;; amdgpu-corpus repo=ROCm/AMDMIGraphX kind=compiled arch=gfx1030 opt=O3
	.text
	.amdgcn_target "amdgcn-amd-amdhsa--gfx1030"
	.amdhsa_code_object_version 6
	.p2align	2                               ; -- Begin function _ZNK8migraphx13basic_printerIZNS_4coutEvEUlT_E_ElsEPKc
	.type	_ZNK8migraphx13basic_printerIZNS_4coutEvEUlT_E_ElsEPKc,@function
_ZNK8migraphx13basic_printerIZNS_4coutEvEUlT_E_ElsEPKc: ; @_ZNK8migraphx13basic_printerIZNS_4coutEvEUlT_E_ElsEPKc
; %bb.0:
	s_waitcnt vmcnt(0) expcnt(0) lgkmcnt(0)
	s_load_dwordx2 s[6:7], s[8:9], 0x50
	v_mbcnt_lo_u32_b32 v33, -1, 0
	v_mov_b32_e32 v8, 0
	v_mov_b32_e32 v9, 0
	v_readfirstlane_b32 s4, v33
	v_cmp_eq_u32_e64 s4, s4, v33
	s_and_saveexec_b32 s5, s4
	s_cbranch_execz .LBB0_6
; %bb.1:
	v_mov_b32_e32 v2, 0
	s_mov_b32 s8, exec_lo
	s_waitcnt lgkmcnt(0)
	global_load_dwordx2 v[5:6], v2, s[6:7] offset:24 glc dlc
	s_waitcnt vmcnt(0)
	buffer_gl1_inv
	buffer_gl0_inv
	s_clause 0x1
	global_load_dwordx2 v[3:4], v2, s[6:7] offset:40
	global_load_dwordx2 v[7:8], v2, s[6:7]
	s_waitcnt vmcnt(1)
	v_and_b32_e32 v4, v4, v6
	v_and_b32_e32 v3, v3, v5
	v_mul_lo_u32 v4, v4, 24
	v_mul_hi_u32 v9, v3, 24
	v_mul_lo_u32 v3, v3, 24
	v_add_nc_u32_e32 v4, v9, v4
	s_waitcnt vmcnt(0)
	v_add_co_u32 v3, vcc_lo, v7, v3
	v_add_co_ci_u32_e32 v4, vcc_lo, v8, v4, vcc_lo
	global_load_dwordx2 v[3:4], v[3:4], off glc dlc
	s_waitcnt vmcnt(0)
	global_atomic_cmpswap_x2 v[8:9], v2, v[3:6], s[6:7] offset:24 glc
	s_waitcnt vmcnt(0)
	buffer_gl1_inv
	buffer_gl0_inv
	v_cmpx_ne_u64_e64 v[8:9], v[5:6]
	s_cbranch_execz .LBB0_5
; %bb.2:
	s_mov_b32 s9, 0
	.p2align	6
.LBB0_3:                                ; =>This Inner Loop Header: Depth=1
	s_sleep 1
	s_clause 0x1
	global_load_dwordx2 v[3:4], v2, s[6:7] offset:40
	global_load_dwordx2 v[10:11], v2, s[6:7]
	v_mov_b32_e32 v5, v8
	v_mov_b32_e32 v6, v9
	s_waitcnt vmcnt(1)
	v_and_b32_e32 v3, v3, v5
	v_and_b32_e32 v4, v4, v6
	s_waitcnt vmcnt(0)
	v_mad_u64_u32 v[7:8], null, v3, 24, v[10:11]
	v_mov_b32_e32 v3, v8
	v_mad_u64_u32 v[3:4], null, v4, 24, v[3:4]
	v_mov_b32_e32 v8, v3
	global_load_dwordx2 v[3:4], v[7:8], off glc dlc
	s_waitcnt vmcnt(0)
	global_atomic_cmpswap_x2 v[8:9], v2, v[3:6], s[6:7] offset:24 glc
	s_waitcnt vmcnt(0)
	buffer_gl1_inv
	buffer_gl0_inv
	v_cmp_eq_u64_e32 vcc_lo, v[8:9], v[5:6]
	s_or_b32 s9, vcc_lo, s9
	s_andn2_b32 exec_lo, exec_lo, s9
	s_cbranch_execnz .LBB0_3
; %bb.4:
	s_or_b32 exec_lo, exec_lo, s9
.LBB0_5:
	s_or_b32 exec_lo, exec_lo, s8
.LBB0_6:
	s_or_b32 exec_lo, exec_lo, s5
	v_mov_b32_e32 v7, 0
	v_readfirstlane_b32 s8, v8
	v_readfirstlane_b32 s9, v9
	s_mov_b32 s5, exec_lo
	s_waitcnt lgkmcnt(0)
	s_clause 0x1
	global_load_dwordx2 v[10:11], v7, s[6:7] offset:40
	global_load_dwordx4 v[2:5], v7, s[6:7]
	s_waitcnt vmcnt(1)
	v_readfirstlane_b32 s10, v10
	v_readfirstlane_b32 s11, v11
	s_and_b64 s[10:11], s[8:9], s[10:11]
	s_mul_i32 s12, s11, 24
	s_mul_hi_u32 s13, s10, 24
	s_mul_i32 s14, s10, 24
	s_add_i32 s13, s13, s12
	s_waitcnt vmcnt(0)
	v_add_co_u32 v10, vcc_lo, v2, s14
	v_add_co_ci_u32_e32 v11, vcc_lo, s13, v3, vcc_lo
	s_and_saveexec_b32 s12, s4
	s_cbranch_execz .LBB0_8
; %bb.7:
	v_mov_b32_e32 v6, s5
	v_mov_b32_e32 v8, 2
	;; [unrolled: 1-line block ×3, first 2 shown]
	global_store_dwordx4 v[10:11], v[6:9], off offset:8
.LBB0_8:
	s_or_b32 exec_lo, exec_lo, s12
	s_lshl_b64 s[10:11], s[10:11], 12
	v_lshlrev_b32_e32 v32, 6, v33
	v_add_co_u32 v4, vcc_lo, v4, s10
	v_add_co_ci_u32_e32 v5, vcc_lo, s11, v5, vcc_lo
	s_mov_b32 s12, 0
	v_add_co_u32 v12, vcc_lo, v4, v32
	s_mov_b32 s15, s12
	s_mov_b32 s13, s12
	;; [unrolled: 1-line block ×3, first 2 shown]
	v_mov_b32_e32 v6, 33
	v_mov_b32_e32 v8, v7
	;; [unrolled: 1-line block ×3, first 2 shown]
	v_readfirstlane_b32 s10, v4
	v_readfirstlane_b32 s11, v5
	v_mov_b32_e32 v17, s15
	v_add_co_ci_u32_e32 v13, vcc_lo, 0, v5, vcc_lo
	v_mov_b32_e32 v16, s14
	v_mov_b32_e32 v15, s13
	;; [unrolled: 1-line block ×3, first 2 shown]
	global_store_dwordx4 v32, v[6:9], s[10:11]
	global_store_dwordx4 v32, v[14:17], s[10:11] offset:16
	global_store_dwordx4 v32, v[14:17], s[10:11] offset:32
	;; [unrolled: 1-line block ×3, first 2 shown]
	s_and_saveexec_b32 s5, s4
	s_cbranch_execz .LBB0_16
; %bb.9:
	v_mov_b32_e32 v8, 0
	v_mov_b32_e32 v14, s8
	;; [unrolled: 1-line block ×3, first 2 shown]
	s_mov_b32 s10, exec_lo
	s_clause 0x1
	global_load_dwordx2 v[16:17], v8, s[6:7] offset:32 glc dlc
	global_load_dwordx2 v[4:5], v8, s[6:7] offset:40
	s_waitcnt vmcnt(0)
	v_and_b32_e32 v5, s9, v5
	v_and_b32_e32 v4, s8, v4
	v_mul_lo_u32 v5, v5, 24
	v_mul_hi_u32 v6, v4, 24
	v_mul_lo_u32 v4, v4, 24
	v_add_nc_u32_e32 v5, v6, v5
	v_add_co_u32 v6, vcc_lo, v2, v4
	v_add_co_ci_u32_e32 v7, vcc_lo, v3, v5, vcc_lo
	global_store_dwordx2 v[6:7], v[16:17], off
	s_waitcnt_vscnt null, 0x0
	global_atomic_cmpswap_x2 v[4:5], v8, v[14:17], s[6:7] offset:32 glc
	s_waitcnt vmcnt(0)
	v_cmpx_ne_u64_e64 v[4:5], v[16:17]
	s_cbranch_execz .LBB0_12
; %bb.10:
	s_mov_b32 s11, 0
.LBB0_11:                               ; =>This Inner Loop Header: Depth=1
	v_mov_b32_e32 v2, s8
	v_mov_b32_e32 v3, s9
	s_sleep 1
	global_store_dwordx2 v[6:7], v[4:5], off
	s_waitcnt_vscnt null, 0x0
	global_atomic_cmpswap_x2 v[2:3], v8, v[2:5], s[6:7] offset:32 glc
	s_waitcnt vmcnt(0)
	v_cmp_eq_u64_e32 vcc_lo, v[2:3], v[4:5]
	v_mov_b32_e32 v5, v3
	v_mov_b32_e32 v4, v2
	s_or_b32 s11, vcc_lo, s11
	s_andn2_b32 exec_lo, exec_lo, s11
	s_cbranch_execnz .LBB0_11
.LBB0_12:
	s_or_b32 exec_lo, exec_lo, s10
	v_mov_b32_e32 v5, 0
	s_mov_b32 s11, exec_lo
	s_mov_b32 s10, exec_lo
	v_mbcnt_lo_u32_b32 v4, s11, 0
	global_load_dwordx2 v[2:3], v5, s[6:7] offset:16
	v_cmpx_eq_u32_e32 0, v4
	s_cbranch_execz .LBB0_14
; %bb.13:
	s_bcnt1_i32_b32 s11, s11
	v_mov_b32_e32 v4, s11
	s_waitcnt vmcnt(0)
	global_atomic_add_x2 v[2:3], v[4:5], off offset:8
.LBB0_14:
	s_or_b32 exec_lo, exec_lo, s10
	s_waitcnt vmcnt(0)
	global_load_dwordx2 v[4:5], v[2:3], off offset:16
	s_waitcnt vmcnt(0)
	v_cmp_eq_u64_e32 vcc_lo, 0, v[4:5]
	s_cbranch_vccnz .LBB0_16
; %bb.15:
	global_load_dword v2, v[2:3], off offset:24
	v_mov_b32_e32 v3, 0
	s_waitcnt vmcnt(0)
	v_and_b32_e32 v6, 0x7fffff, v2
	s_waitcnt_vscnt null, 0x0
	global_store_dwordx2 v[4:5], v[2:3], off
	v_readfirstlane_b32 m0, v6
	s_sendmsg sendmsg(MSG_INTERRUPT)
.LBB0_16:
	s_or_b32 exec_lo, exec_lo, s5
	s_branch .LBB0_20
	.p2align	6
.LBB0_17:                               ;   in Loop: Header=BB0_20 Depth=1
	s_or_b32 exec_lo, exec_lo, s5
	v_readfirstlane_b32 s5, v2
	s_cmp_eq_u32 s5, 0
	s_cbranch_scc1 .LBB0_19
; %bb.18:                               ;   in Loop: Header=BB0_20 Depth=1
	s_sleep 1
	s_cbranch_execnz .LBB0_20
	s_branch .LBB0_22
	.p2align	6
.LBB0_19:
	s_branch .LBB0_22
.LBB0_20:                               ; =>This Inner Loop Header: Depth=1
	v_mov_b32_e32 v2, 1
	s_and_saveexec_b32 s5, s4
	s_cbranch_execz .LBB0_17
; %bb.21:                               ;   in Loop: Header=BB0_20 Depth=1
	global_load_dword v2, v[10:11], off offset:20 glc dlc
	s_waitcnt vmcnt(0)
	buffer_gl1_inv
	buffer_gl0_inv
	v_and_b32_e32 v2, 1, v2
	s_branch .LBB0_17
.LBB0_22:
	global_load_dwordx2 v[6:7], v[12:13], off
	s_and_saveexec_b32 s5, s4
	s_cbranch_execz .LBB0_26
; %bb.23:
	v_mov_b32_e32 v10, 0
	s_clause 0x2
	global_load_dwordx2 v[4:5], v10, s[6:7] offset:40
	global_load_dwordx2 v[11:12], v10, s[6:7] offset:24 glc dlc
	global_load_dwordx2 v[8:9], v10, s[6:7]
	s_waitcnt vmcnt(2)
	v_add_co_u32 v13, vcc_lo, v4, 1
	v_add_co_ci_u32_e32 v14, vcc_lo, 0, v5, vcc_lo
	v_add_co_u32 v2, vcc_lo, v13, s8
	v_add_co_ci_u32_e32 v3, vcc_lo, s9, v14, vcc_lo
	v_cmp_eq_u64_e32 vcc_lo, 0, v[2:3]
	v_cndmask_b32_e32 v3, v3, v14, vcc_lo
	v_cndmask_b32_e32 v2, v2, v13, vcc_lo
	v_and_b32_e32 v5, v3, v5
	v_and_b32_e32 v4, v2, v4
	v_mul_lo_u32 v5, v5, 24
	v_mul_hi_u32 v13, v4, 24
	v_mul_lo_u32 v4, v4, 24
	v_add_nc_u32_e32 v5, v13, v5
	s_waitcnt vmcnt(0)
	v_add_co_u32 v8, vcc_lo, v8, v4
	v_mov_b32_e32 v4, v11
	v_add_co_ci_u32_e32 v9, vcc_lo, v9, v5, vcc_lo
	v_mov_b32_e32 v5, v12
	global_store_dwordx2 v[8:9], v[11:12], off
	s_waitcnt_vscnt null, 0x0
	global_atomic_cmpswap_x2 v[4:5], v10, v[2:5], s[6:7] offset:24 glc
	s_waitcnt vmcnt(0)
	v_cmp_ne_u64_e32 vcc_lo, v[4:5], v[11:12]
	s_and_b32 exec_lo, exec_lo, vcc_lo
	s_cbranch_execz .LBB0_26
; %bb.24:
	s_mov_b32 s4, 0
.LBB0_25:                               ; =>This Inner Loop Header: Depth=1
	s_sleep 1
	global_store_dwordx2 v[8:9], v[4:5], off
	s_waitcnt_vscnt null, 0x0
	global_atomic_cmpswap_x2 v[11:12], v10, v[2:5], s[6:7] offset:24 glc
	s_waitcnt vmcnt(0)
	v_cmp_eq_u64_e32 vcc_lo, v[11:12], v[4:5]
	v_mov_b32_e32 v4, v11
	v_mov_b32_e32 v5, v12
	s_or_b32 s4, vcc_lo, s4
	s_andn2_b32 exec_lo, exec_lo, s4
	s_cbranch_execnz .LBB0_25
.LBB0_26:
	s_or_b32 exec_lo, exec_lo, s5
	s_getpc_b64 s[8:9]
	s_add_u32 s8, s8, .str.5@rel32@lo+4
	s_addc_u32 s9, s9, .str.5@rel32@hi+12
	s_cmp_lg_u64 s[8:9], 0
	s_cbranch_scc0 .LBB0_105
; %bb.27:
	s_waitcnt vmcnt(0)
	v_and_b32_e32 v30, 2, v6
	v_mov_b32_e32 v9, 0
	v_and_b32_e32 v2, -3, v6
	v_mov_b32_e32 v3, v7
	v_mov_b32_e32 v10, 2
	;; [unrolled: 1-line block ×3, first 2 shown]
	s_mov_b64 s[10:11], 3
	s_branch .LBB0_29
.LBB0_28:                               ;   in Loop: Header=BB0_29 Depth=1
	s_or_b32 exec_lo, exec_lo, s5
	s_sub_u32 s10, s10, s12
	s_subb_u32 s11, s11, s13
	s_add_u32 s8, s8, s12
	s_addc_u32 s9, s9, s13
	s_cmp_lg_u64 s[10:11], 0
	s_cbranch_scc0 .LBB0_104
.LBB0_29:                               ; =>This Loop Header: Depth=1
                                        ;     Child Loop BB0_38 Depth 2
                                        ;     Child Loop BB0_34 Depth 2
	;; [unrolled: 1-line block ×11, first 2 shown]
	v_cmp_lt_u64_e64 s4, s[10:11], 56
	v_cmp_gt_u64_e64 s5, s[10:11], 7
                                        ; implicit-def: $vgpr4_vgpr5
                                        ; implicit-def: $sgpr18
	s_and_b32 s4, s4, exec_lo
	s_cselect_b32 s13, s11, 0
	s_cselect_b32 s12, s10, 56
	s_and_b32 vcc_lo, exec_lo, s5
	s_mov_b32 s4, -1
	s_cbranch_vccz .LBB0_36
; %bb.30:                               ;   in Loop: Header=BB0_29 Depth=1
	s_andn2_b32 vcc_lo, exec_lo, s4
	s_mov_b64 s[4:5], s[8:9]
	s_cbranch_vccz .LBB0_40
.LBB0_31:                               ;   in Loop: Header=BB0_29 Depth=1
	s_cmp_gt_u32 s18, 7
	s_cbranch_scc1 .LBB0_41
.LBB0_32:                               ;   in Loop: Header=BB0_29 Depth=1
	v_mov_b32_e32 v12, 0
	v_mov_b32_e32 v13, 0
	s_cmp_eq_u32 s18, 0
	s_cbranch_scc1 .LBB0_35
; %bb.33:                               ;   in Loop: Header=BB0_29 Depth=1
	s_mov_b64 s[14:15], 0
	s_mov_b64 s[16:17], 0
.LBB0_34:                               ;   Parent Loop BB0_29 Depth=1
                                        ; =>  This Inner Loop Header: Depth=2
	s_add_u32 s20, s4, s16
	s_addc_u32 s21, s5, s17
	s_add_u32 s16, s16, 1
	global_load_ubyte v8, v9, s[20:21]
	s_addc_u32 s17, s17, 0
	s_waitcnt vmcnt(0)
	v_and_b32_e32 v8, 0xffff, v8
	v_lshlrev_b64 v[14:15], s14, v[8:9]
	s_add_u32 s14, s14, 8
	s_addc_u32 s15, s15, 0
	s_cmp_lg_u32 s18, s16
	v_or_b32_e32 v12, v14, v12
	v_or_b32_e32 v13, v15, v13
	s_cbranch_scc1 .LBB0_34
.LBB0_35:                               ;   in Loop: Header=BB0_29 Depth=1
	s_mov_b32 s19, 0
	s_cbranch_execz .LBB0_42
	s_branch .LBB0_43
.LBB0_36:                               ;   in Loop: Header=BB0_29 Depth=1
	s_waitcnt vmcnt(0)
	v_mov_b32_e32 v4, 0
	v_mov_b32_e32 v5, 0
	s_cmp_eq_u64 s[10:11], 0
	s_mov_b64 s[4:5], 0
	s_cbranch_scc1 .LBB0_39
; %bb.37:                               ;   in Loop: Header=BB0_29 Depth=1
	v_mov_b32_e32 v4, 0
	v_mov_b32_e32 v5, 0
	s_lshl_b64 s[14:15], s[12:13], 3
	s_mov_b64 s[16:17], s[8:9]
.LBB0_38:                               ;   Parent Loop BB0_29 Depth=1
                                        ; =>  This Inner Loop Header: Depth=2
	global_load_ubyte v8, v9, s[16:17]
	s_waitcnt vmcnt(0)
	v_and_b32_e32 v8, 0xffff, v8
	v_lshlrev_b64 v[12:13], s4, v[8:9]
	s_add_u32 s4, s4, 8
	s_addc_u32 s5, s5, 0
	s_add_u32 s16, s16, 1
	s_addc_u32 s17, s17, 0
	s_cmp_lg_u32 s14, s4
	v_or_b32_e32 v4, v12, v4
	v_or_b32_e32 v5, v13, v5
	s_cbranch_scc1 .LBB0_38
.LBB0_39:                               ;   in Loop: Header=BB0_29 Depth=1
	s_mov_b32 s18, 0
	s_mov_b64 s[4:5], s[8:9]
	s_cbranch_execnz .LBB0_31
.LBB0_40:                               ;   in Loop: Header=BB0_29 Depth=1
	global_load_dwordx2 v[4:5], v9, s[8:9]
	s_add_i32 s18, s12, -8
	s_add_u32 s4, s8, 8
	s_addc_u32 s5, s9, 0
	s_cmp_gt_u32 s18, 7
	s_cbranch_scc0 .LBB0_32
.LBB0_41:                               ;   in Loop: Header=BB0_29 Depth=1
                                        ; implicit-def: $vgpr12_vgpr13
                                        ; implicit-def: $sgpr19
.LBB0_42:                               ;   in Loop: Header=BB0_29 Depth=1
	global_load_dwordx2 v[12:13], v9, s[4:5]
	s_add_i32 s19, s18, -8
	s_add_u32 s4, s4, 8
	s_addc_u32 s5, s5, 0
.LBB0_43:                               ;   in Loop: Header=BB0_29 Depth=1
	s_cmp_gt_u32 s19, 7
	s_cbranch_scc1 .LBB0_48
; %bb.44:                               ;   in Loop: Header=BB0_29 Depth=1
	v_mov_b32_e32 v14, 0
	v_mov_b32_e32 v15, 0
	s_cmp_eq_u32 s19, 0
	s_cbranch_scc1 .LBB0_47
; %bb.45:                               ;   in Loop: Header=BB0_29 Depth=1
	s_mov_b64 s[14:15], 0
	s_mov_b64 s[16:17], 0
.LBB0_46:                               ;   Parent Loop BB0_29 Depth=1
                                        ; =>  This Inner Loop Header: Depth=2
	s_add_u32 s20, s4, s16
	s_addc_u32 s21, s5, s17
	s_add_u32 s16, s16, 1
	global_load_ubyte v8, v9, s[20:21]
	s_addc_u32 s17, s17, 0
	s_waitcnt vmcnt(0)
	v_and_b32_e32 v8, 0xffff, v8
	v_lshlrev_b64 v[16:17], s14, v[8:9]
	s_add_u32 s14, s14, 8
	s_addc_u32 s15, s15, 0
	s_cmp_lg_u32 s19, s16
	v_or_b32_e32 v14, v16, v14
	v_or_b32_e32 v15, v17, v15
	s_cbranch_scc1 .LBB0_46
.LBB0_47:                               ;   in Loop: Header=BB0_29 Depth=1
	s_mov_b32 s18, 0
	s_cbranch_execz .LBB0_49
	s_branch .LBB0_50
.LBB0_48:                               ;   in Loop: Header=BB0_29 Depth=1
                                        ; implicit-def: $sgpr18
.LBB0_49:                               ;   in Loop: Header=BB0_29 Depth=1
	global_load_dwordx2 v[14:15], v9, s[4:5]
	s_add_i32 s18, s19, -8
	s_add_u32 s4, s4, 8
	s_addc_u32 s5, s5, 0
.LBB0_50:                               ;   in Loop: Header=BB0_29 Depth=1
	s_cmp_gt_u32 s18, 7
	s_cbranch_scc1 .LBB0_55
; %bb.51:                               ;   in Loop: Header=BB0_29 Depth=1
	v_mov_b32_e32 v16, 0
	v_mov_b32_e32 v17, 0
	s_cmp_eq_u32 s18, 0
	s_cbranch_scc1 .LBB0_54
; %bb.52:                               ;   in Loop: Header=BB0_29 Depth=1
	s_mov_b64 s[14:15], 0
	s_mov_b64 s[16:17], 0
.LBB0_53:                               ;   Parent Loop BB0_29 Depth=1
                                        ; =>  This Inner Loop Header: Depth=2
	s_add_u32 s20, s4, s16
	s_addc_u32 s21, s5, s17
	s_add_u32 s16, s16, 1
	global_load_ubyte v8, v9, s[20:21]
	s_addc_u32 s17, s17, 0
	s_waitcnt vmcnt(0)
	v_and_b32_e32 v8, 0xffff, v8
	v_lshlrev_b64 v[18:19], s14, v[8:9]
	s_add_u32 s14, s14, 8
	s_addc_u32 s15, s15, 0
	s_cmp_lg_u32 s18, s16
	v_or_b32_e32 v16, v18, v16
	v_or_b32_e32 v17, v19, v17
	s_cbranch_scc1 .LBB0_53
.LBB0_54:                               ;   in Loop: Header=BB0_29 Depth=1
	s_mov_b32 s19, 0
	s_cbranch_execz .LBB0_56
	s_branch .LBB0_57
.LBB0_55:                               ;   in Loop: Header=BB0_29 Depth=1
                                        ; implicit-def: $vgpr16_vgpr17
                                        ; implicit-def: $sgpr19
.LBB0_56:                               ;   in Loop: Header=BB0_29 Depth=1
	global_load_dwordx2 v[16:17], v9, s[4:5]
	s_add_i32 s19, s18, -8
	s_add_u32 s4, s4, 8
	s_addc_u32 s5, s5, 0
.LBB0_57:                               ;   in Loop: Header=BB0_29 Depth=1
	s_cmp_gt_u32 s19, 7
	s_cbranch_scc1 .LBB0_62
; %bb.58:                               ;   in Loop: Header=BB0_29 Depth=1
	v_mov_b32_e32 v18, 0
	v_mov_b32_e32 v19, 0
	s_cmp_eq_u32 s19, 0
	s_cbranch_scc1 .LBB0_61
; %bb.59:                               ;   in Loop: Header=BB0_29 Depth=1
	s_mov_b64 s[14:15], 0
	s_mov_b64 s[16:17], 0
.LBB0_60:                               ;   Parent Loop BB0_29 Depth=1
                                        ; =>  This Inner Loop Header: Depth=2
	s_add_u32 s20, s4, s16
	s_addc_u32 s21, s5, s17
	s_add_u32 s16, s16, 1
	global_load_ubyte v8, v9, s[20:21]
	s_addc_u32 s17, s17, 0
	s_waitcnt vmcnt(0)
	v_and_b32_e32 v8, 0xffff, v8
	v_lshlrev_b64 v[20:21], s14, v[8:9]
	s_add_u32 s14, s14, 8
	s_addc_u32 s15, s15, 0
	s_cmp_lg_u32 s19, s16
	v_or_b32_e32 v18, v20, v18
	v_or_b32_e32 v19, v21, v19
	s_cbranch_scc1 .LBB0_60
.LBB0_61:                               ;   in Loop: Header=BB0_29 Depth=1
	s_mov_b32 s18, 0
	s_cbranch_execz .LBB0_63
	s_branch .LBB0_64
.LBB0_62:                               ;   in Loop: Header=BB0_29 Depth=1
                                        ; implicit-def: $sgpr18
.LBB0_63:                               ;   in Loop: Header=BB0_29 Depth=1
	global_load_dwordx2 v[18:19], v9, s[4:5]
	s_add_i32 s18, s19, -8
	s_add_u32 s4, s4, 8
	s_addc_u32 s5, s5, 0
.LBB0_64:                               ;   in Loop: Header=BB0_29 Depth=1
	s_cmp_gt_u32 s18, 7
	s_cbranch_scc1 .LBB0_69
; %bb.65:                               ;   in Loop: Header=BB0_29 Depth=1
	v_mov_b32_e32 v20, 0
	v_mov_b32_e32 v21, 0
	s_cmp_eq_u32 s18, 0
	s_cbranch_scc1 .LBB0_68
; %bb.66:                               ;   in Loop: Header=BB0_29 Depth=1
	s_mov_b64 s[14:15], 0
	s_mov_b64 s[16:17], 0
.LBB0_67:                               ;   Parent Loop BB0_29 Depth=1
                                        ; =>  This Inner Loop Header: Depth=2
	s_add_u32 s20, s4, s16
	s_addc_u32 s21, s5, s17
	s_add_u32 s16, s16, 1
	global_load_ubyte v8, v9, s[20:21]
	s_addc_u32 s17, s17, 0
	s_waitcnt vmcnt(0)
	v_and_b32_e32 v8, 0xffff, v8
	v_lshlrev_b64 v[22:23], s14, v[8:9]
	s_add_u32 s14, s14, 8
	s_addc_u32 s15, s15, 0
	s_cmp_lg_u32 s18, s16
	v_or_b32_e32 v20, v22, v20
	v_or_b32_e32 v21, v23, v21
	s_cbranch_scc1 .LBB0_67
.LBB0_68:                               ;   in Loop: Header=BB0_29 Depth=1
	s_mov_b32 s19, 0
	s_cbranch_execz .LBB0_70
	s_branch .LBB0_71
.LBB0_69:                               ;   in Loop: Header=BB0_29 Depth=1
                                        ; implicit-def: $vgpr20_vgpr21
                                        ; implicit-def: $sgpr19
.LBB0_70:                               ;   in Loop: Header=BB0_29 Depth=1
	global_load_dwordx2 v[20:21], v9, s[4:5]
	s_add_i32 s19, s18, -8
	s_add_u32 s4, s4, 8
	s_addc_u32 s5, s5, 0
.LBB0_71:                               ;   in Loop: Header=BB0_29 Depth=1
	s_cmp_gt_u32 s19, 7
	s_cbranch_scc1 .LBB0_76
; %bb.72:                               ;   in Loop: Header=BB0_29 Depth=1
	v_mov_b32_e32 v22, 0
	v_mov_b32_e32 v23, 0
	s_cmp_eq_u32 s19, 0
	s_cbranch_scc1 .LBB0_75
; %bb.73:                               ;   in Loop: Header=BB0_29 Depth=1
	s_mov_b64 s[14:15], 0
	s_mov_b64 s[16:17], s[4:5]
.LBB0_74:                               ;   Parent Loop BB0_29 Depth=1
                                        ; =>  This Inner Loop Header: Depth=2
	global_load_ubyte v8, v9, s[16:17]
	s_add_i32 s19, s19, -1
	s_waitcnt vmcnt(0)
	v_and_b32_e32 v8, 0xffff, v8
	v_lshlrev_b64 v[24:25], s14, v[8:9]
	s_add_u32 s14, s14, 8
	s_addc_u32 s15, s15, 0
	s_add_u32 s16, s16, 1
	s_addc_u32 s17, s17, 0
	s_cmp_lg_u32 s19, 0
	v_or_b32_e32 v22, v24, v22
	v_or_b32_e32 v23, v25, v23
	s_cbranch_scc1 .LBB0_74
.LBB0_75:                               ;   in Loop: Header=BB0_29 Depth=1
	s_cbranch_execz .LBB0_77
	s_branch .LBB0_78
.LBB0_76:                               ;   in Loop: Header=BB0_29 Depth=1
.LBB0_77:                               ;   in Loop: Header=BB0_29 Depth=1
	global_load_dwordx2 v[22:23], v9, s[4:5]
.LBB0_78:                               ;   in Loop: Header=BB0_29 Depth=1
	v_readfirstlane_b32 s4, v33
	v_mov_b32_e32 v28, 0
	v_mov_b32_e32 v29, 0
	v_cmp_eq_u32_e64 s4, s4, v33
	s_and_saveexec_b32 s5, s4
	s_cbranch_execz .LBB0_84
; %bb.79:                               ;   in Loop: Header=BB0_29 Depth=1
	global_load_dwordx2 v[26:27], v9, s[6:7] offset:24 glc dlc
	s_waitcnt vmcnt(0)
	buffer_gl1_inv
	buffer_gl0_inv
	s_clause 0x1
	global_load_dwordx2 v[24:25], v9, s[6:7] offset:40
	global_load_dwordx2 v[28:29], v9, s[6:7]
	s_mov_b32 s14, exec_lo
	s_waitcnt vmcnt(1)
	v_and_b32_e32 v8, v25, v27
	v_and_b32_e32 v24, v24, v26
	v_mul_lo_u32 v8, v8, 24
	v_mul_hi_u32 v25, v24, 24
	v_mul_lo_u32 v24, v24, 24
	v_add_nc_u32_e32 v8, v25, v8
	s_waitcnt vmcnt(0)
	v_add_co_u32 v24, vcc_lo, v28, v24
	v_add_co_ci_u32_e32 v25, vcc_lo, v29, v8, vcc_lo
	global_load_dwordx2 v[24:25], v[24:25], off glc dlc
	s_waitcnt vmcnt(0)
	global_atomic_cmpswap_x2 v[28:29], v9, v[24:27], s[6:7] offset:24 glc
	s_waitcnt vmcnt(0)
	buffer_gl1_inv
	buffer_gl0_inv
	v_cmpx_ne_u64_e64 v[28:29], v[26:27]
	s_cbranch_execz .LBB0_83
; %bb.80:                               ;   in Loop: Header=BB0_29 Depth=1
	s_mov_b32 s15, 0
	.p2align	6
.LBB0_81:                               ;   Parent Loop BB0_29 Depth=1
                                        ; =>  This Inner Loop Header: Depth=2
	s_sleep 1
	s_clause 0x1
	global_load_dwordx2 v[24:25], v9, s[6:7] offset:40
	global_load_dwordx2 v[34:35], v9, s[6:7]
	v_mov_b32_e32 v26, v28
	v_mov_b32_e32 v27, v29
	s_waitcnt vmcnt(1)
	v_and_b32_e32 v8, v24, v26
	v_and_b32_e32 v24, v25, v27
	s_waitcnt vmcnt(0)
	v_mad_u64_u32 v[28:29], null, v8, 24, v[34:35]
	v_mov_b32_e32 v8, v29
	v_mad_u64_u32 v[24:25], null, v24, 24, v[8:9]
	v_mov_b32_e32 v29, v24
	global_load_dwordx2 v[24:25], v[28:29], off glc dlc
	s_waitcnt vmcnt(0)
	global_atomic_cmpswap_x2 v[28:29], v9, v[24:27], s[6:7] offset:24 glc
	s_waitcnt vmcnt(0)
	buffer_gl1_inv
	buffer_gl0_inv
	v_cmp_eq_u64_e32 vcc_lo, v[28:29], v[26:27]
	s_or_b32 s15, vcc_lo, s15
	s_andn2_b32 exec_lo, exec_lo, s15
	s_cbranch_execnz .LBB0_81
; %bb.82:                               ;   in Loop: Header=BB0_29 Depth=1
	s_or_b32 exec_lo, exec_lo, s15
.LBB0_83:                               ;   in Loop: Header=BB0_29 Depth=1
	s_or_b32 exec_lo, exec_lo, s14
.LBB0_84:                               ;   in Loop: Header=BB0_29 Depth=1
	s_or_b32 exec_lo, exec_lo, s5
	s_clause 0x1
	global_load_dwordx2 v[34:35], v9, s[6:7] offset:40
	global_load_dwordx4 v[24:27], v9, s[6:7]
	v_readfirstlane_b32 s14, v28
	v_readfirstlane_b32 s15, v29
	s_mov_b32 s5, exec_lo
	s_waitcnt vmcnt(1)
	v_readfirstlane_b32 s16, v34
	v_readfirstlane_b32 s17, v35
	s_and_b64 s[16:17], s[14:15], s[16:17]
	s_mul_i32 s18, s17, 24
	s_mul_hi_u32 s19, s16, 24
	s_mul_i32 s20, s16, 24
	s_add_i32 s19, s19, s18
	s_waitcnt vmcnt(0)
	v_add_co_u32 v28, vcc_lo, v24, s20
	v_add_co_ci_u32_e32 v29, vcc_lo, s19, v25, vcc_lo
	s_and_saveexec_b32 s18, s4
	s_cbranch_execz .LBB0_86
; %bb.85:                               ;   in Loop: Header=BB0_29 Depth=1
	v_mov_b32_e32 v8, s5
	global_store_dwordx4 v[28:29], v[8:11], off offset:8
.LBB0_86:                               ;   in Loop: Header=BB0_29 Depth=1
	s_or_b32 exec_lo, exec_lo, s18
	s_lshl_b64 s[16:17], s[16:17], 12
	v_cmp_gt_u64_e64 vcc_lo, s[10:11], 56
	v_or_b32_e32 v31, v2, v30
	v_add_co_u32 v26, s5, v26, s16
	v_add_co_ci_u32_e64 v27, s5, s17, v27, s5
	s_lshl_b32 s5, s12, 2
	v_or_b32_e32 v8, 0, v3
	v_cndmask_b32_e32 v2, v31, v2, vcc_lo
	s_add_i32 s5, s5, 28
	v_readfirstlane_b32 s16, v26
	s_and_b32 s5, s5, 0x1e0
	v_cndmask_b32_e32 v3, v8, v3, vcc_lo
	v_readfirstlane_b32 s17, v27
	v_and_or_b32 v2, 0xffffff1f, v2, s5
	global_store_dwordx4 v32, v[2:5], s[16:17]
	global_store_dwordx4 v32, v[12:15], s[16:17] offset:16
	global_store_dwordx4 v32, v[16:19], s[16:17] offset:32
	;; [unrolled: 1-line block ×3, first 2 shown]
	s_and_saveexec_b32 s5, s4
	s_cbranch_execz .LBB0_94
; %bb.87:                               ;   in Loop: Header=BB0_29 Depth=1
	s_clause 0x1
	global_load_dwordx2 v[16:17], v9, s[6:7] offset:32 glc dlc
	global_load_dwordx2 v[2:3], v9, s[6:7] offset:40
	v_mov_b32_e32 v14, s14
	v_mov_b32_e32 v15, s15
	s_waitcnt vmcnt(0)
	v_readfirstlane_b32 s16, v2
	v_readfirstlane_b32 s17, v3
	s_and_b64 s[16:17], s[16:17], s[14:15]
	s_mul_i32 s17, s17, 24
	s_mul_hi_u32 s18, s16, 24
	s_mul_i32 s16, s16, 24
	s_add_i32 s18, s18, s17
	v_add_co_u32 v12, vcc_lo, v24, s16
	v_add_co_ci_u32_e32 v13, vcc_lo, s18, v25, vcc_lo
	s_mov_b32 s16, exec_lo
	global_store_dwordx2 v[12:13], v[16:17], off
	s_waitcnt_vscnt null, 0x0
	global_atomic_cmpswap_x2 v[4:5], v9, v[14:17], s[6:7] offset:32 glc
	s_waitcnt vmcnt(0)
	v_cmpx_ne_u64_e64 v[4:5], v[16:17]
	s_cbranch_execz .LBB0_90
; %bb.88:                               ;   in Loop: Header=BB0_29 Depth=1
	s_mov_b32 s17, 0
.LBB0_89:                               ;   Parent Loop BB0_29 Depth=1
                                        ; =>  This Inner Loop Header: Depth=2
	v_mov_b32_e32 v2, s14
	v_mov_b32_e32 v3, s15
	s_sleep 1
	global_store_dwordx2 v[12:13], v[4:5], off
	s_waitcnt_vscnt null, 0x0
	global_atomic_cmpswap_x2 v[2:3], v9, v[2:5], s[6:7] offset:32 glc
	s_waitcnt vmcnt(0)
	v_cmp_eq_u64_e32 vcc_lo, v[2:3], v[4:5]
	v_mov_b32_e32 v5, v3
	v_mov_b32_e32 v4, v2
	s_or_b32 s17, vcc_lo, s17
	s_andn2_b32 exec_lo, exec_lo, s17
	s_cbranch_execnz .LBB0_89
.LBB0_90:                               ;   in Loop: Header=BB0_29 Depth=1
	s_or_b32 exec_lo, exec_lo, s16
	global_load_dwordx2 v[2:3], v9, s[6:7] offset:16
	s_mov_b32 s17, exec_lo
	s_mov_b32 s16, exec_lo
	v_mbcnt_lo_u32_b32 v4, s17, 0
	v_cmpx_eq_u32_e32 0, v4
	s_cbranch_execz .LBB0_92
; %bb.91:                               ;   in Loop: Header=BB0_29 Depth=1
	s_bcnt1_i32_b32 s17, s17
	v_mov_b32_e32 v8, s17
	s_waitcnt vmcnt(0)
	global_atomic_add_x2 v[2:3], v[8:9], off offset:8
.LBB0_92:                               ;   in Loop: Header=BB0_29 Depth=1
	s_or_b32 exec_lo, exec_lo, s16
	s_waitcnt vmcnt(0)
	global_load_dwordx2 v[4:5], v[2:3], off offset:16
	s_waitcnt vmcnt(0)
	v_cmp_eq_u64_e32 vcc_lo, 0, v[4:5]
	s_cbranch_vccnz .LBB0_94
; %bb.93:                               ;   in Loop: Header=BB0_29 Depth=1
	global_load_dword v8, v[2:3], off offset:24
	s_waitcnt vmcnt(0)
	v_and_b32_e32 v2, 0x7fffff, v8
	s_waitcnt_vscnt null, 0x0
	global_store_dwordx2 v[4:5], v[8:9], off
	v_readfirstlane_b32 m0, v2
	s_sendmsg sendmsg(MSG_INTERRUPT)
.LBB0_94:                               ;   in Loop: Header=BB0_29 Depth=1
	s_or_b32 exec_lo, exec_lo, s5
	v_add_co_u32 v2, vcc_lo, v26, v32
	v_add_co_ci_u32_e32 v3, vcc_lo, 0, v27, vcc_lo
	s_branch .LBB0_98
	.p2align	6
.LBB0_95:                               ;   in Loop: Header=BB0_98 Depth=2
	s_or_b32 exec_lo, exec_lo, s5
	v_readfirstlane_b32 s5, v4
	s_cmp_eq_u32 s5, 0
	s_cbranch_scc1 .LBB0_97
; %bb.96:                               ;   in Loop: Header=BB0_98 Depth=2
	s_sleep 1
	s_cbranch_execnz .LBB0_98
	s_branch .LBB0_100
	.p2align	6
.LBB0_97:                               ;   in Loop: Header=BB0_29 Depth=1
	s_branch .LBB0_100
.LBB0_98:                               ;   Parent Loop BB0_29 Depth=1
                                        ; =>  This Inner Loop Header: Depth=2
	v_mov_b32_e32 v4, 1
	s_and_saveexec_b32 s5, s4
	s_cbranch_execz .LBB0_95
; %bb.99:                               ;   in Loop: Header=BB0_98 Depth=2
	global_load_dword v4, v[28:29], off offset:20 glc dlc
	s_waitcnt vmcnt(0)
	buffer_gl1_inv
	buffer_gl0_inv
	v_and_b32_e32 v4, 1, v4
	s_branch .LBB0_95
.LBB0_100:                              ;   in Loop: Header=BB0_29 Depth=1
	global_load_dwordx4 v[2:5], v[2:3], off
	s_and_saveexec_b32 s5, s4
	s_cbranch_execz .LBB0_28
; %bb.101:                              ;   in Loop: Header=BB0_29 Depth=1
	s_clause 0x2
	global_load_dwordx2 v[4:5], v9, s[6:7] offset:40
	global_load_dwordx2 v[16:17], v9, s[6:7] offset:24 glc dlc
	global_load_dwordx2 v[14:15], v9, s[6:7]
	s_waitcnt vmcnt(2)
	v_add_co_u32 v8, vcc_lo, v4, 1
	v_add_co_ci_u32_e32 v18, vcc_lo, 0, v5, vcc_lo
	v_add_co_u32 v12, vcc_lo, v8, s14
	v_add_co_ci_u32_e32 v13, vcc_lo, s15, v18, vcc_lo
	v_cmp_eq_u64_e32 vcc_lo, 0, v[12:13]
	v_cndmask_b32_e32 v13, v13, v18, vcc_lo
	v_cndmask_b32_e32 v12, v12, v8, vcc_lo
	v_and_b32_e32 v5, v13, v5
	v_and_b32_e32 v4, v12, v4
	v_mul_lo_u32 v5, v5, 24
	v_mul_hi_u32 v8, v4, 24
	v_mul_lo_u32 v4, v4, 24
	v_add_nc_u32_e32 v5, v8, v5
	s_waitcnt vmcnt(0)
	v_add_co_u32 v4, vcc_lo, v14, v4
	v_mov_b32_e32 v14, v16
	v_add_co_ci_u32_e32 v5, vcc_lo, v15, v5, vcc_lo
	v_mov_b32_e32 v15, v17
	global_store_dwordx2 v[4:5], v[16:17], off
	s_waitcnt_vscnt null, 0x0
	global_atomic_cmpswap_x2 v[14:15], v9, v[12:15], s[6:7] offset:24 glc
	s_waitcnt vmcnt(0)
	v_cmp_ne_u64_e32 vcc_lo, v[14:15], v[16:17]
	s_and_b32 exec_lo, exec_lo, vcc_lo
	s_cbranch_execz .LBB0_28
; %bb.102:                              ;   in Loop: Header=BB0_29 Depth=1
	s_mov_b32 s4, 0
.LBB0_103:                              ;   Parent Loop BB0_29 Depth=1
                                        ; =>  This Inner Loop Header: Depth=2
	s_sleep 1
	global_store_dwordx2 v[4:5], v[14:15], off
	s_waitcnt_vscnt null, 0x0
	global_atomic_cmpswap_x2 v[16:17], v9, v[12:15], s[6:7] offset:24 glc
	s_waitcnt vmcnt(0)
	v_cmp_eq_u64_e32 vcc_lo, v[16:17], v[14:15]
	v_mov_b32_e32 v14, v16
	v_mov_b32_e32 v15, v17
	s_or_b32 s4, vcc_lo, s4
	s_andn2_b32 exec_lo, exec_lo, s4
	s_cbranch_execnz .LBB0_103
	s_branch .LBB0_28
.LBB0_104:
	s_branch .LBB0_133
.LBB0_105:
                                        ; implicit-def: $vgpr2_vgpr3
	s_cbranch_execz .LBB0_133
; %bb.106:
	v_readfirstlane_b32 s4, v33
	v_mov_b32_e32 v9, 0
	v_mov_b32_e32 v10, 0
	v_cmp_eq_u32_e64 s4, s4, v33
	s_and_saveexec_b32 s5, s4
	s_cbranch_execz .LBB0_112
; %bb.107:
	s_waitcnt vmcnt(0)
	v_mov_b32_e32 v2, 0
	s_mov_b32 s8, exec_lo
	global_load_dwordx2 v[11:12], v2, s[6:7] offset:24 glc dlc
	s_waitcnt vmcnt(0)
	buffer_gl1_inv
	buffer_gl0_inv
	s_clause 0x1
	global_load_dwordx2 v[3:4], v2, s[6:7] offset:40
	global_load_dwordx2 v[8:9], v2, s[6:7]
	s_waitcnt vmcnt(1)
	v_and_b32_e32 v4, v4, v12
	v_and_b32_e32 v3, v3, v11
	v_mul_lo_u32 v4, v4, 24
	v_mul_hi_u32 v5, v3, 24
	v_mul_lo_u32 v3, v3, 24
	v_add_nc_u32_e32 v4, v5, v4
	s_waitcnt vmcnt(0)
	v_add_co_u32 v3, vcc_lo, v8, v3
	v_add_co_ci_u32_e32 v4, vcc_lo, v9, v4, vcc_lo
	global_load_dwordx2 v[9:10], v[3:4], off glc dlc
	s_waitcnt vmcnt(0)
	global_atomic_cmpswap_x2 v[9:10], v2, v[9:12], s[6:7] offset:24 glc
	s_waitcnt vmcnt(0)
	buffer_gl1_inv
	buffer_gl0_inv
	v_cmpx_ne_u64_e64 v[9:10], v[11:12]
	s_cbranch_execz .LBB0_111
; %bb.108:
	s_mov_b32 s9, 0
	.p2align	6
.LBB0_109:                              ; =>This Inner Loop Header: Depth=1
	s_sleep 1
	s_clause 0x1
	global_load_dwordx2 v[3:4], v2, s[6:7] offset:40
	global_load_dwordx2 v[13:14], v2, s[6:7]
	v_mov_b32_e32 v12, v10
	v_mov_b32_e32 v11, v9
	s_waitcnt vmcnt(1)
	v_and_b32_e32 v3, v3, v11
	v_and_b32_e32 v4, v4, v12
	s_waitcnt vmcnt(0)
	v_mad_u64_u32 v[8:9], null, v3, 24, v[13:14]
	v_mov_b32_e32 v3, v9
	v_mad_u64_u32 v[3:4], null, v4, 24, v[3:4]
	v_mov_b32_e32 v9, v3
	global_load_dwordx2 v[9:10], v[8:9], off glc dlc
	s_waitcnt vmcnt(0)
	global_atomic_cmpswap_x2 v[9:10], v2, v[9:12], s[6:7] offset:24 glc
	s_waitcnt vmcnt(0)
	buffer_gl1_inv
	buffer_gl0_inv
	v_cmp_eq_u64_e32 vcc_lo, v[9:10], v[11:12]
	s_or_b32 s9, vcc_lo, s9
	s_andn2_b32 exec_lo, exec_lo, s9
	s_cbranch_execnz .LBB0_109
; %bb.110:
	s_or_b32 exec_lo, exec_lo, s9
.LBB0_111:
	s_or_b32 exec_lo, exec_lo, s8
.LBB0_112:
	s_or_b32 exec_lo, exec_lo, s5
	v_mov_b32_e32 v8, 0
	v_readfirstlane_b32 s8, v9
	v_readfirstlane_b32 s9, v10
	s_mov_b32 s5, exec_lo
	s_clause 0x1
	global_load_dwordx2 v[11:12], v8, s[6:7] offset:40
	global_load_dwordx4 v[2:5], v8, s[6:7]
	s_waitcnt vmcnt(1)
	v_readfirstlane_b32 s10, v11
	v_readfirstlane_b32 s11, v12
	s_and_b64 s[10:11], s[8:9], s[10:11]
	s_mul_i32 s12, s11, 24
	s_mul_hi_u32 s13, s10, 24
	s_mul_i32 s14, s10, 24
	s_add_i32 s13, s13, s12
	s_waitcnt vmcnt(0)
	v_add_co_u32 v10, vcc_lo, v2, s14
	v_add_co_ci_u32_e32 v11, vcc_lo, s13, v3, vcc_lo
	s_and_saveexec_b32 s12, s4
	s_cbranch_execz .LBB0_114
; %bb.113:
	v_mov_b32_e32 v12, s5
	v_mov_b32_e32 v13, v8
	;; [unrolled: 1-line block ×4, first 2 shown]
	global_store_dwordx4 v[10:11], v[12:15], off offset:8
.LBB0_114:
	s_or_b32 exec_lo, exec_lo, s12
	s_lshl_b64 s[10:11], s[10:11], 12
	s_mov_b32 s12, 0
	v_add_co_u32 v4, vcc_lo, v4, s10
	v_add_co_ci_u32_e32 v5, vcc_lo, s11, v5, vcc_lo
	s_mov_b32 s15, s12
	v_add_co_u32 v12, vcc_lo, v4, v32
	s_mov_b32 s13, s12
	s_mov_b32 s14, s12
	v_and_or_b32 v6, 0xffffff1f, v6, 32
	v_mov_b32_e32 v9, v8
	v_readfirstlane_b32 s10, v4
	v_readfirstlane_b32 s11, v5
	v_mov_b32_e32 v17, s15
	v_add_co_ci_u32_e32 v13, vcc_lo, 0, v5, vcc_lo
	v_mov_b32_e32 v16, s14
	v_mov_b32_e32 v15, s13
	;; [unrolled: 1-line block ×3, first 2 shown]
	global_store_dwordx4 v32, v[6:9], s[10:11]
	global_store_dwordx4 v32, v[14:17], s[10:11] offset:16
	global_store_dwordx4 v32, v[14:17], s[10:11] offset:32
	;; [unrolled: 1-line block ×3, first 2 shown]
	s_and_saveexec_b32 s5, s4
	s_cbranch_execz .LBB0_122
; %bb.115:
	v_mov_b32_e32 v8, 0
	v_mov_b32_e32 v14, s8
	;; [unrolled: 1-line block ×3, first 2 shown]
	s_clause 0x1
	global_load_dwordx2 v[16:17], v8, s[6:7] offset:32 glc dlc
	global_load_dwordx2 v[4:5], v8, s[6:7] offset:40
	s_waitcnt vmcnt(0)
	v_readfirstlane_b32 s10, v4
	v_readfirstlane_b32 s11, v5
	s_and_b64 s[10:11], s[10:11], s[8:9]
	s_mul_i32 s11, s11, 24
	s_mul_hi_u32 s12, s10, 24
	s_mul_i32 s10, s10, 24
	s_add_i32 s12, s12, s11
	v_add_co_u32 v6, vcc_lo, v2, s10
	v_add_co_ci_u32_e32 v7, vcc_lo, s12, v3, vcc_lo
	s_mov_b32 s10, exec_lo
	global_store_dwordx2 v[6:7], v[16:17], off
	s_waitcnt_vscnt null, 0x0
	global_atomic_cmpswap_x2 v[4:5], v8, v[14:17], s[6:7] offset:32 glc
	s_waitcnt vmcnt(0)
	v_cmpx_ne_u64_e64 v[4:5], v[16:17]
	s_cbranch_execz .LBB0_118
; %bb.116:
	s_mov_b32 s11, 0
.LBB0_117:                              ; =>This Inner Loop Header: Depth=1
	v_mov_b32_e32 v2, s8
	v_mov_b32_e32 v3, s9
	s_sleep 1
	global_store_dwordx2 v[6:7], v[4:5], off
	s_waitcnt_vscnt null, 0x0
	global_atomic_cmpswap_x2 v[2:3], v8, v[2:5], s[6:7] offset:32 glc
	s_waitcnt vmcnt(0)
	v_cmp_eq_u64_e32 vcc_lo, v[2:3], v[4:5]
	v_mov_b32_e32 v5, v3
	v_mov_b32_e32 v4, v2
	s_or_b32 s11, vcc_lo, s11
	s_andn2_b32 exec_lo, exec_lo, s11
	s_cbranch_execnz .LBB0_117
.LBB0_118:
	s_or_b32 exec_lo, exec_lo, s10
	v_mov_b32_e32 v5, 0
	s_mov_b32 s11, exec_lo
	s_mov_b32 s10, exec_lo
	v_mbcnt_lo_u32_b32 v4, s11, 0
	global_load_dwordx2 v[2:3], v5, s[6:7] offset:16
	v_cmpx_eq_u32_e32 0, v4
	s_cbranch_execz .LBB0_120
; %bb.119:
	s_bcnt1_i32_b32 s11, s11
	v_mov_b32_e32 v4, s11
	s_waitcnt vmcnt(0)
	global_atomic_add_x2 v[2:3], v[4:5], off offset:8
.LBB0_120:
	s_or_b32 exec_lo, exec_lo, s10
	s_waitcnt vmcnt(0)
	global_load_dwordx2 v[4:5], v[2:3], off offset:16
	s_waitcnt vmcnt(0)
	v_cmp_eq_u64_e32 vcc_lo, 0, v[4:5]
	s_cbranch_vccnz .LBB0_122
; %bb.121:
	global_load_dword v2, v[2:3], off offset:24
	v_mov_b32_e32 v3, 0
	s_waitcnt vmcnt(0)
	v_and_b32_e32 v6, 0x7fffff, v2
	s_waitcnt_vscnt null, 0x0
	global_store_dwordx2 v[4:5], v[2:3], off
	v_readfirstlane_b32 m0, v6
	s_sendmsg sendmsg(MSG_INTERRUPT)
.LBB0_122:
	s_or_b32 exec_lo, exec_lo, s5
	s_branch .LBB0_126
	.p2align	6
.LBB0_123:                              ;   in Loop: Header=BB0_126 Depth=1
	s_or_b32 exec_lo, exec_lo, s5
	v_readfirstlane_b32 s5, v2
	s_cmp_eq_u32 s5, 0
	s_cbranch_scc1 .LBB0_125
; %bb.124:                              ;   in Loop: Header=BB0_126 Depth=1
	s_sleep 1
	s_cbranch_execnz .LBB0_126
	s_branch .LBB0_128
	.p2align	6
.LBB0_125:
	s_branch .LBB0_128
.LBB0_126:                              ; =>This Inner Loop Header: Depth=1
	v_mov_b32_e32 v2, 1
	s_and_saveexec_b32 s5, s4
	s_cbranch_execz .LBB0_123
; %bb.127:                              ;   in Loop: Header=BB0_126 Depth=1
	global_load_dword v2, v[10:11], off offset:20 glc dlc
	s_waitcnt vmcnt(0)
	buffer_gl1_inv
	buffer_gl0_inv
	v_and_b32_e32 v2, 1, v2
	s_branch .LBB0_123
.LBB0_128:
	global_load_dwordx2 v[2:3], v[12:13], off
	s_and_saveexec_b32 s5, s4
	s_cbranch_execz .LBB0_132
; %bb.129:
	v_mov_b32_e32 v10, 0
	s_clause 0x2
	global_load_dwordx2 v[6:7], v10, s[6:7] offset:40
	global_load_dwordx2 v[11:12], v10, s[6:7] offset:24 glc dlc
	global_load_dwordx2 v[8:9], v10, s[6:7]
	s_waitcnt vmcnt(2)
	v_add_co_u32 v13, vcc_lo, v6, 1
	v_add_co_ci_u32_e32 v14, vcc_lo, 0, v7, vcc_lo
	v_add_co_u32 v4, vcc_lo, v13, s8
	v_add_co_ci_u32_e32 v5, vcc_lo, s9, v14, vcc_lo
	v_cmp_eq_u64_e32 vcc_lo, 0, v[4:5]
	v_cndmask_b32_e32 v5, v5, v14, vcc_lo
	v_cndmask_b32_e32 v4, v4, v13, vcc_lo
	v_and_b32_e32 v7, v5, v7
	v_and_b32_e32 v6, v4, v6
	v_mul_lo_u32 v7, v7, 24
	v_mul_hi_u32 v13, v6, 24
	v_mul_lo_u32 v6, v6, 24
	v_add_nc_u32_e32 v7, v13, v7
	s_waitcnt vmcnt(0)
	v_add_co_u32 v8, vcc_lo, v8, v6
	v_mov_b32_e32 v6, v11
	v_add_co_ci_u32_e32 v9, vcc_lo, v9, v7, vcc_lo
	v_mov_b32_e32 v7, v12
	global_store_dwordx2 v[8:9], v[11:12], off
	s_waitcnt_vscnt null, 0x0
	global_atomic_cmpswap_x2 v[6:7], v10, v[4:7], s[6:7] offset:24 glc
	s_waitcnt vmcnt(0)
	v_cmp_ne_u64_e32 vcc_lo, v[6:7], v[11:12]
	s_and_b32 exec_lo, exec_lo, vcc_lo
	s_cbranch_execz .LBB0_132
; %bb.130:
	s_mov_b32 s4, 0
.LBB0_131:                              ; =>This Inner Loop Header: Depth=1
	s_sleep 1
	global_store_dwordx2 v[8:9], v[6:7], off
	s_waitcnt_vscnt null, 0x0
	global_atomic_cmpswap_x2 v[11:12], v10, v[4:7], s[6:7] offset:24 glc
	s_waitcnt vmcnt(0)
	v_cmp_eq_u64_e32 vcc_lo, v[11:12], v[6:7]
	v_mov_b32_e32 v6, v11
	v_mov_b32_e32 v7, v12
	s_or_b32 s4, vcc_lo, s4
	s_andn2_b32 exec_lo, exec_lo, s4
	s_cbranch_execnz .LBB0_131
.LBB0_132:
	s_or_b32 exec_lo, exec_lo, s5
.LBB0_133:
	v_cmp_ne_u64_e32 vcc_lo, 0, v[0:1]
	v_mov_b32_e32 v26, 0
	v_mov_b32_e32 v27, 0
	s_and_saveexec_b32 s5, vcc_lo
	s_cbranch_execnz .LBB0_158
; %bb.134:
	s_or_b32 exec_lo, exec_lo, s5
	s_and_saveexec_b32 s4, vcc_lo
	s_xor_b32 s12, exec_lo, s4
	s_cbranch_execnz .LBB0_161
.LBB0_135:
	s_andn2_saveexec_b32 s5, s12
	s_cbranch_execz .LBB0_251
.LBB0_136:
	v_readfirstlane_b32 s4, v33
	v_mov_b32_e32 v0, 0
	v_mov_b32_e32 v1, 0
	v_cmp_eq_u32_e64 s4, s4, v33
	s_and_saveexec_b32 s8, s4
	s_cbranch_execz .LBB0_142
; %bb.137:
	s_waitcnt vmcnt(0)
	v_mov_b32_e32 v4, 0
	s_mov_b32 s9, exec_lo
	global_load_dwordx2 v[7:8], v4, s[6:7] offset:24 glc dlc
	s_waitcnt vmcnt(0)
	buffer_gl1_inv
	buffer_gl0_inv
	s_clause 0x1
	global_load_dwordx2 v[0:1], v4, s[6:7] offset:40
	global_load_dwordx2 v[5:6], v4, s[6:7]
	s_waitcnt vmcnt(1)
	v_and_b32_e32 v1, v1, v8
	v_and_b32_e32 v0, v0, v7
	v_mul_lo_u32 v1, v1, 24
	v_mul_hi_u32 v9, v0, 24
	v_mul_lo_u32 v0, v0, 24
	v_add_nc_u32_e32 v1, v9, v1
	s_waitcnt vmcnt(0)
	v_add_co_u32 v0, vcc_lo, v5, v0
	v_add_co_ci_u32_e32 v1, vcc_lo, v6, v1, vcc_lo
	global_load_dwordx2 v[5:6], v[0:1], off glc dlc
	s_waitcnt vmcnt(0)
	global_atomic_cmpswap_x2 v[0:1], v4, v[5:8], s[6:7] offset:24 glc
	s_waitcnt vmcnt(0)
	buffer_gl1_inv
	buffer_gl0_inv
	v_cmpx_ne_u64_e64 v[0:1], v[7:8]
	s_cbranch_execz .LBB0_141
; %bb.138:
	s_mov_b32 s10, 0
	.p2align	6
.LBB0_139:                              ; =>This Inner Loop Header: Depth=1
	s_sleep 1
	s_clause 0x1
	global_load_dwordx2 v[5:6], v4, s[6:7] offset:40
	global_load_dwordx2 v[9:10], v4, s[6:7]
	v_mov_b32_e32 v8, v1
	v_mov_b32_e32 v7, v0
	s_waitcnt vmcnt(1)
	v_and_b32_e32 v0, v5, v7
	v_and_b32_e32 v5, v6, v8
	s_waitcnt vmcnt(0)
	v_mad_u64_u32 v[0:1], null, v0, 24, v[9:10]
	v_mad_u64_u32 v[5:6], null, v5, 24, v[1:2]
	v_mov_b32_e32 v1, v5
	global_load_dwordx2 v[5:6], v[0:1], off glc dlc
	s_waitcnt vmcnt(0)
	global_atomic_cmpswap_x2 v[0:1], v4, v[5:8], s[6:7] offset:24 glc
	s_waitcnt vmcnt(0)
	buffer_gl1_inv
	buffer_gl0_inv
	v_cmp_eq_u64_e32 vcc_lo, v[0:1], v[7:8]
	s_or_b32 s10, vcc_lo, s10
	s_andn2_b32 exec_lo, exec_lo, s10
	s_cbranch_execnz .LBB0_139
; %bb.140:
	s_or_b32 exec_lo, exec_lo, s10
.LBB0_141:
	s_or_b32 exec_lo, exec_lo, s9
.LBB0_142:
	s_or_b32 exec_lo, exec_lo, s8
	s_waitcnt vmcnt(0)
	v_mov_b32_e32 v4, 0
	v_readfirstlane_b32 s8, v0
	v_readfirstlane_b32 s9, v1
	s_mov_b32 s12, exec_lo
	s_clause 0x1
	global_load_dwordx2 v[10:11], v4, s[6:7] offset:40
	global_load_dwordx4 v[6:9], v4, s[6:7]
	s_waitcnt vmcnt(1)
	v_readfirstlane_b32 s10, v10
	v_readfirstlane_b32 s11, v11
	s_and_b64 s[10:11], s[8:9], s[10:11]
	s_mul_i32 s13, s11, 24
	s_mul_hi_u32 s14, s10, 24
	s_mul_i32 s15, s10, 24
	s_add_i32 s14, s14, s13
	s_waitcnt vmcnt(0)
	v_add_co_u32 v10, vcc_lo, v6, s15
	v_add_co_ci_u32_e32 v11, vcc_lo, s14, v7, vcc_lo
	s_and_saveexec_b32 s13, s4
	s_cbranch_execz .LBB0_144
; %bb.143:
	v_mov_b32_e32 v12, s12
	v_mov_b32_e32 v13, v4
	;; [unrolled: 1-line block ×4, first 2 shown]
	global_store_dwordx4 v[10:11], v[12:15], off offset:8
.LBB0_144:
	s_or_b32 exec_lo, exec_lo, s13
	s_lshl_b64 s[10:11], s[10:11], 12
	s_mov_b32 s12, 0
	v_add_co_u32 v0, vcc_lo, v8, s10
	v_add_co_ci_u32_e32 v1, vcc_lo, s11, v9, vcc_lo
	s_mov_b32 s13, s12
	s_mov_b32 s14, s12
	;; [unrolled: 1-line block ×3, first 2 shown]
	v_and_or_b32 v2, 0xffffff1d, v2, 34
	v_mov_b32_e32 v5, v4
	v_readfirstlane_b32 s10, v0
	v_readfirstlane_b32 s11, v1
	v_mov_b32_e32 v12, s12
	v_mov_b32_e32 v13, s13
	v_mov_b32_e32 v14, s14
	v_mov_b32_e32 v15, s15
	global_store_dwordx4 v32, v[2:5], s[10:11]
	global_store_dwordx4 v32, v[12:15], s[10:11] offset:16
	global_store_dwordx4 v32, v[12:15], s[10:11] offset:32
	;; [unrolled: 1-line block ×3, first 2 shown]
	s_and_saveexec_b32 s10, s4
	s_cbranch_execz .LBB0_152
; %bb.145:
	v_mov_b32_e32 v8, 0
	v_mov_b32_e32 v12, s8
	;; [unrolled: 1-line block ×3, first 2 shown]
	s_clause 0x1
	global_load_dwordx2 v[14:15], v8, s[6:7] offset:32 glc dlc
	global_load_dwordx2 v[0:1], v8, s[6:7] offset:40
	s_waitcnt vmcnt(0)
	v_readfirstlane_b32 s12, v0
	v_readfirstlane_b32 s13, v1
	s_and_b64 s[12:13], s[12:13], s[8:9]
	s_mul_i32 s11, s13, 24
	s_mul_hi_u32 s13, s12, 24
	s_mul_i32 s12, s12, 24
	s_add_i32 s13, s13, s11
	v_add_co_u32 v4, vcc_lo, v6, s12
	v_add_co_ci_u32_e32 v5, vcc_lo, s13, v7, vcc_lo
	s_mov_b32 s11, exec_lo
	global_store_dwordx2 v[4:5], v[14:15], off
	s_waitcnt_vscnt null, 0x0
	global_atomic_cmpswap_x2 v[2:3], v8, v[12:15], s[6:7] offset:32 glc
	s_waitcnt vmcnt(0)
	v_cmpx_ne_u64_e64 v[2:3], v[14:15]
	s_cbranch_execz .LBB0_148
; %bb.146:
	s_mov_b32 s12, 0
.LBB0_147:                              ; =>This Inner Loop Header: Depth=1
	v_mov_b32_e32 v0, s8
	v_mov_b32_e32 v1, s9
	s_sleep 1
	global_store_dwordx2 v[4:5], v[2:3], off
	s_waitcnt_vscnt null, 0x0
	global_atomic_cmpswap_x2 v[0:1], v8, v[0:3], s[6:7] offset:32 glc
	s_waitcnt vmcnt(0)
	v_cmp_eq_u64_e32 vcc_lo, v[0:1], v[2:3]
	v_mov_b32_e32 v3, v1
	v_mov_b32_e32 v2, v0
	s_or_b32 s12, vcc_lo, s12
	s_andn2_b32 exec_lo, exec_lo, s12
	s_cbranch_execnz .LBB0_147
.LBB0_148:
	s_or_b32 exec_lo, exec_lo, s11
	v_mov_b32_e32 v3, 0
	s_mov_b32 s12, exec_lo
	s_mov_b32 s11, exec_lo
	v_mbcnt_lo_u32_b32 v2, s12, 0
	global_load_dwordx2 v[0:1], v3, s[6:7] offset:16
	v_cmpx_eq_u32_e32 0, v2
	s_cbranch_execz .LBB0_150
; %bb.149:
	s_bcnt1_i32_b32 s12, s12
	v_mov_b32_e32 v2, s12
	s_waitcnt vmcnt(0)
	global_atomic_add_x2 v[0:1], v[2:3], off offset:8
.LBB0_150:
	s_or_b32 exec_lo, exec_lo, s11
	s_waitcnt vmcnt(0)
	global_load_dwordx2 v[2:3], v[0:1], off offset:16
	s_waitcnt vmcnt(0)
	v_cmp_eq_u64_e32 vcc_lo, 0, v[2:3]
	s_cbranch_vccnz .LBB0_152
; %bb.151:
	global_load_dword v0, v[0:1], off offset:24
	v_mov_b32_e32 v1, 0
	s_waitcnt vmcnt(0)
	v_and_b32_e32 v4, 0x7fffff, v0
	s_waitcnt_vscnt null, 0x0
	global_store_dwordx2 v[2:3], v[0:1], off
	v_readfirstlane_b32 m0, v4
	s_sendmsg sendmsg(MSG_INTERRUPT)
.LBB0_152:
	s_or_b32 exec_lo, exec_lo, s10
	s_branch .LBB0_156
	.p2align	6
.LBB0_153:                              ;   in Loop: Header=BB0_156 Depth=1
	s_or_b32 exec_lo, exec_lo, s10
	v_readfirstlane_b32 s10, v0
	s_cmp_eq_u32 s10, 0
	s_cbranch_scc1 .LBB0_155
; %bb.154:                              ;   in Loop: Header=BB0_156 Depth=1
	s_sleep 1
	s_cbranch_execnz .LBB0_156
	s_branch .LBB0_245
	.p2align	6
.LBB0_155:
	s_branch .LBB0_245
.LBB0_156:                              ; =>This Inner Loop Header: Depth=1
	v_mov_b32_e32 v0, 1
	s_and_saveexec_b32 s10, s4
	s_cbranch_execz .LBB0_153
; %bb.157:                              ;   in Loop: Header=BB0_156 Depth=1
	global_load_dword v0, v[10:11], off offset:20 glc dlc
	s_waitcnt vmcnt(0)
	buffer_gl1_inv
	buffer_gl0_inv
	v_and_b32_e32 v0, 1, v0
	s_branch .LBB0_153
.LBB0_158:
	s_waitcnt vmcnt(0)
	v_add_co_u32 v4, s4, v0, -1
	v_add_co_ci_u32_e64 v5, s4, -1, v1, s4
	s_mov_b32 s8, 0
.LBB0_159:                              ; =>This Inner Loop Header: Depth=1
	flat_load_ubyte v8, v[4:5] offset:1
	v_add_co_u32 v6, s4, v4, 1
	v_add_co_ci_u32_e64 v7, s4, 0, v5, s4
	v_mov_b32_e32 v4, v6
	v_mov_b32_e32 v5, v7
	s_waitcnt vmcnt(0) lgkmcnt(0)
	v_cmp_eq_u16_e64 s4, 0, v8
	s_or_b32 s8, s4, s8
	s_andn2_b32 exec_lo, exec_lo, s8
	s_cbranch_execnz .LBB0_159
; %bb.160:
	s_or_b32 exec_lo, exec_lo, s8
	v_sub_co_u32 v4, s4, v6, v0
	v_sub_co_ci_u32_e64 v5, s4, v7, v1, s4
	v_add_co_u32 v26, s4, v4, 1
	v_add_co_ci_u32_e64 v27, s4, 0, v5, s4
	s_or_b32 exec_lo, exec_lo, s5
	s_and_saveexec_b32 s4, vcc_lo
	s_xor_b32 s12, exec_lo, s4
	s_cbranch_execz .LBB0_135
.LBB0_161:
	s_waitcnt vmcnt(0)
	v_and_b32_e32 v2, -3, v2
	v_mov_b32_e32 v7, 0
	v_mov_b32_e32 v8, 2
	;; [unrolled: 1-line block ×3, first 2 shown]
	s_mov_b32 s14, 0
	s_mov_b32 s13, 0
	s_branch .LBB0_163
.LBB0_162:                              ;   in Loop: Header=BB0_163 Depth=1
	s_or_b32 exec_lo, exec_lo, s5
	v_sub_co_u32 v26, vcc_lo, v26, v28
	v_sub_co_ci_u32_e32 v27, vcc_lo, v27, v29, vcc_lo
	v_add_co_u32 v0, s4, v0, v28
	v_add_co_ci_u32_e64 v1, s4, v1, v29, s4
	v_cmp_eq_u64_e32 vcc_lo, 0, v[26:27]
	s_or_b32 s13, vcc_lo, s13
	s_andn2_b32 exec_lo, exec_lo, s13
	s_cbranch_execz .LBB0_250
.LBB0_163:                              ; =>This Loop Header: Depth=1
                                        ;     Child Loop BB0_166 Depth 2
                                        ;     Child Loop BB0_174 Depth 2
	;; [unrolled: 1-line block ×11, first 2 shown]
	v_cmp_gt_u64_e32 vcc_lo, 56, v[26:27]
	s_mov_b32 s5, exec_lo
                                        ; implicit-def: $sgpr8
	v_cndmask_b32_e32 v29, 0, v27, vcc_lo
	v_cndmask_b32_e32 v28, 56, v26, vcc_lo
	v_cmpx_gt_u64_e32 8, v[26:27]
	s_xor_b32 s5, exec_lo, s5
	s_cbranch_execz .LBB0_169
; %bb.164:                              ;   in Loop: Header=BB0_163 Depth=1
	s_waitcnt vmcnt(0)
	v_mov_b32_e32 v4, 0
	v_mov_b32_e32 v5, 0
	s_mov_b64 s[8:9], 0
	s_mov_b32 s10, exec_lo
	v_cmpx_ne_u64_e32 0, v[26:27]
	s_cbranch_execz .LBB0_168
; %bb.165:                              ;   in Loop: Header=BB0_163 Depth=1
	v_lshlrev_b64 v[10:11], 3, v[28:29]
	v_mov_b32_e32 v4, 0
	v_mov_b32_e32 v12, v1
	;; [unrolled: 1-line block ×4, first 2 shown]
	s_mov_b32 s11, 0
	.p2align	6
.LBB0_166:                              ;   Parent Loop BB0_163 Depth=1
                                        ; =>  This Inner Loop Header: Depth=2
	flat_load_ubyte v6, v[11:12]
	v_mov_b32_e32 v14, s14
	v_add_co_u32 v11, vcc_lo, v11, 1
	v_add_co_ci_u32_e32 v12, vcc_lo, 0, v12, vcc_lo
	s_waitcnt vmcnt(0) lgkmcnt(0)
	v_and_b32_e32 v13, 0xffff, v6
	v_lshlrev_b64 v[13:14], s8, v[13:14]
	s_add_u32 s8, s8, 8
	s_addc_u32 s9, s9, 0
	v_cmp_eq_u32_e64 s4, s8, v10
	v_or_b32_e32 v5, v14, v5
	v_or_b32_e32 v4, v13, v4
	s_or_b32 s11, s4, s11
	s_andn2_b32 exec_lo, exec_lo, s11
	s_cbranch_execnz .LBB0_166
; %bb.167:                              ;   in Loop: Header=BB0_163 Depth=1
	s_or_b32 exec_lo, exec_lo, s11
.LBB0_168:                              ;   in Loop: Header=BB0_163 Depth=1
	s_or_b32 exec_lo, exec_lo, s10
	s_mov_b32 s8, 0
.LBB0_169:                              ;   in Loop: Header=BB0_163 Depth=1
	s_or_saveexec_b32 s4, s5
	v_mov_b32_e32 v23, v1
	v_mov_b32_e32 v6, s8
	;; [unrolled: 1-line block ×3, first 2 shown]
	s_xor_b32 exec_lo, exec_lo, s4
	s_cbranch_execz .LBB0_171
; %bb.170:                              ;   in Loop: Header=BB0_163 Depth=1
	s_waitcnt vmcnt(0)
	flat_load_dwordx2 v[4:5], v[0:1]
	v_add_co_u32 v22, vcc_lo, v0, 8
	v_add_co_ci_u32_e32 v23, vcc_lo, 0, v1, vcc_lo
	s_waitcnt vmcnt(0) lgkmcnt(0)
	v_and_b32_e32 v6, 0xff, v5
	v_and_b32_e32 v10, 0xff00, v5
	;; [unrolled: 1-line block ×4, first 2 shown]
	v_or3_b32 v4, v4, 0, 0
	v_or_b32_e32 v10, v6, v10
	v_add_nc_u32_e32 v6, -8, v28
	v_or3_b32 v5, v10, v11, v5
.LBB0_171:                              ;   in Loop: Header=BB0_163 Depth=1
	s_or_b32 exec_lo, exec_lo, s4
                                        ; implicit-def: $vgpr10_vgpr11
                                        ; implicit-def: $sgpr5
	s_mov_b32 s4, exec_lo
	v_cmpx_gt_u32_e32 8, v6
	s_xor_b32 s10, exec_lo, s4
	s_cbranch_execz .LBB0_177
; %bb.172:                              ;   in Loop: Header=BB0_163 Depth=1
	v_mov_b32_e32 v10, 0
	v_mov_b32_e32 v11, 0
	s_mov_b32 s11, exec_lo
	v_cmpx_ne_u32_e32 0, v6
	s_cbranch_execz .LBB0_176
; %bb.173:                              ;   in Loop: Header=BB0_163 Depth=1
	v_mov_b32_e32 v10, 0
	v_mov_b32_e32 v11, 0
	s_mov_b64 s[4:5], 0
	s_mov_b32 s15, 0
	s_mov_b64 s[8:9], 0
	.p2align	6
.LBB0_174:                              ;   Parent Loop BB0_163 Depth=1
                                        ; =>  This Inner Loop Header: Depth=2
	v_add_co_u32 v12, vcc_lo, v22, s8
	v_add_co_ci_u32_e32 v13, vcc_lo, s9, v23, vcc_lo
	s_add_u32 s8, s8, 1
	s_addc_u32 s9, s9, 0
	v_cmp_eq_u32_e32 vcc_lo, s8, v6
	flat_load_ubyte v12, v[12:13]
	v_mov_b32_e32 v13, s14
	s_waitcnt vmcnt(0) lgkmcnt(0)
	v_and_b32_e32 v12, 0xffff, v12
	v_lshlrev_b64 v[12:13], s4, v[12:13]
	s_add_u32 s4, s4, 8
	s_addc_u32 s5, s5, 0
	s_or_b32 s15, vcc_lo, s15
	v_or_b32_e32 v11, v13, v11
	v_or_b32_e32 v10, v12, v10
	s_andn2_b32 exec_lo, exec_lo, s15
	s_cbranch_execnz .LBB0_174
; %bb.175:                              ;   in Loop: Header=BB0_163 Depth=1
	s_or_b32 exec_lo, exec_lo, s15
.LBB0_176:                              ;   in Loop: Header=BB0_163 Depth=1
	s_or_b32 exec_lo, exec_lo, s11
	s_mov_b32 s5, 0
                                        ; implicit-def: $vgpr6
.LBB0_177:                              ;   in Loop: Header=BB0_163 Depth=1
	s_or_saveexec_b32 s4, s10
	v_mov_b32_e32 v14, s5
	s_xor_b32 exec_lo, exec_lo, s4
	s_cbranch_execz .LBB0_179
; %bb.178:                              ;   in Loop: Header=BB0_163 Depth=1
	flat_load_dwordx2 v[10:11], v[22:23]
	v_add_co_u32 v22, vcc_lo, v22, 8
	v_add_nc_u32_e32 v14, -8, v6
	v_add_co_ci_u32_e32 v23, vcc_lo, 0, v23, vcc_lo
	s_waitcnt vmcnt(0) lgkmcnt(0)
	v_and_b32_e32 v12, 0xff, v11
	v_and_b32_e32 v13, 0xff00, v11
	;; [unrolled: 1-line block ×4, first 2 shown]
	v_or3_b32 v10, v10, 0, 0
	v_or_b32_e32 v12, v12, v13
	v_or3_b32 v11, v12, v15, v11
.LBB0_179:                              ;   in Loop: Header=BB0_163 Depth=1
	s_or_b32 exec_lo, exec_lo, s4
                                        ; implicit-def: $sgpr5
	s_mov_b32 s4, exec_lo
	v_cmpx_gt_u32_e32 8, v14
	s_xor_b32 s10, exec_lo, s4
	s_cbranch_execz .LBB0_185
; %bb.180:                              ;   in Loop: Header=BB0_163 Depth=1
	v_mov_b32_e32 v12, 0
	v_mov_b32_e32 v13, 0
	s_mov_b32 s11, exec_lo
	v_cmpx_ne_u32_e32 0, v14
	s_cbranch_execz .LBB0_184
; %bb.181:                              ;   in Loop: Header=BB0_163 Depth=1
	v_mov_b32_e32 v12, 0
	v_mov_b32_e32 v13, 0
	s_mov_b64 s[4:5], 0
	s_mov_b32 s15, 0
	s_mov_b64 s[8:9], 0
	.p2align	6
.LBB0_182:                              ;   Parent Loop BB0_163 Depth=1
                                        ; =>  This Inner Loop Header: Depth=2
	v_add_co_u32 v15, vcc_lo, v22, s8
	v_add_co_ci_u32_e32 v16, vcc_lo, s9, v23, vcc_lo
	s_add_u32 s8, s8, 1
	s_addc_u32 s9, s9, 0
	v_cmp_eq_u32_e32 vcc_lo, s8, v14
	flat_load_ubyte v6, v[15:16]
	v_mov_b32_e32 v16, s14
	s_waitcnt vmcnt(0) lgkmcnt(0)
	v_and_b32_e32 v15, 0xffff, v6
	v_lshlrev_b64 v[15:16], s4, v[15:16]
	s_add_u32 s4, s4, 8
	s_addc_u32 s5, s5, 0
	s_or_b32 s15, vcc_lo, s15
	v_or_b32_e32 v13, v16, v13
	v_or_b32_e32 v12, v15, v12
	s_andn2_b32 exec_lo, exec_lo, s15
	s_cbranch_execnz .LBB0_182
; %bb.183:                              ;   in Loop: Header=BB0_163 Depth=1
	s_or_b32 exec_lo, exec_lo, s15
.LBB0_184:                              ;   in Loop: Header=BB0_163 Depth=1
	s_or_b32 exec_lo, exec_lo, s11
	s_mov_b32 s5, 0
                                        ; implicit-def: $vgpr14
.LBB0_185:                              ;   in Loop: Header=BB0_163 Depth=1
	s_or_saveexec_b32 s4, s10
	v_mov_b32_e32 v6, s5
	s_xor_b32 exec_lo, exec_lo, s4
	s_cbranch_execz .LBB0_187
; %bb.186:                              ;   in Loop: Header=BB0_163 Depth=1
	flat_load_dwordx2 v[12:13], v[22:23]
	v_add_co_u32 v22, vcc_lo, v22, 8
	v_add_co_ci_u32_e32 v23, vcc_lo, 0, v23, vcc_lo
	s_waitcnt vmcnt(0) lgkmcnt(0)
	v_and_b32_e32 v6, 0xff, v13
	v_and_b32_e32 v15, 0xff00, v13
	;; [unrolled: 1-line block ×4, first 2 shown]
	v_or3_b32 v12, v12, 0, 0
	v_or_b32_e32 v15, v6, v15
	v_add_nc_u32_e32 v6, -8, v14
	v_or3_b32 v13, v15, v16, v13
.LBB0_187:                              ;   in Loop: Header=BB0_163 Depth=1
	s_or_b32 exec_lo, exec_lo, s4
                                        ; implicit-def: $vgpr14_vgpr15
                                        ; implicit-def: $sgpr5
	s_mov_b32 s4, exec_lo
	v_cmpx_gt_u32_e32 8, v6
	s_xor_b32 s10, exec_lo, s4
	s_cbranch_execz .LBB0_193
; %bb.188:                              ;   in Loop: Header=BB0_163 Depth=1
	v_mov_b32_e32 v14, 0
	v_mov_b32_e32 v15, 0
	s_mov_b32 s11, exec_lo
	v_cmpx_ne_u32_e32 0, v6
	s_cbranch_execz .LBB0_192
; %bb.189:                              ;   in Loop: Header=BB0_163 Depth=1
	v_mov_b32_e32 v14, 0
	v_mov_b32_e32 v15, 0
	s_mov_b64 s[4:5], 0
	s_mov_b32 s15, 0
	s_mov_b64 s[8:9], 0
	.p2align	6
.LBB0_190:                              ;   Parent Loop BB0_163 Depth=1
                                        ; =>  This Inner Loop Header: Depth=2
	v_add_co_u32 v16, vcc_lo, v22, s8
	v_add_co_ci_u32_e32 v17, vcc_lo, s9, v23, vcc_lo
	s_add_u32 s8, s8, 1
	s_addc_u32 s9, s9, 0
	v_cmp_eq_u32_e32 vcc_lo, s8, v6
	flat_load_ubyte v16, v[16:17]
	v_mov_b32_e32 v17, s14
	s_waitcnt vmcnt(0) lgkmcnt(0)
	v_and_b32_e32 v16, 0xffff, v16
	v_lshlrev_b64 v[16:17], s4, v[16:17]
	s_add_u32 s4, s4, 8
	s_addc_u32 s5, s5, 0
	s_or_b32 s15, vcc_lo, s15
	v_or_b32_e32 v15, v17, v15
	v_or_b32_e32 v14, v16, v14
	s_andn2_b32 exec_lo, exec_lo, s15
	s_cbranch_execnz .LBB0_190
; %bb.191:                              ;   in Loop: Header=BB0_163 Depth=1
	s_or_b32 exec_lo, exec_lo, s15
.LBB0_192:                              ;   in Loop: Header=BB0_163 Depth=1
	s_or_b32 exec_lo, exec_lo, s11
	s_mov_b32 s5, 0
                                        ; implicit-def: $vgpr6
.LBB0_193:                              ;   in Loop: Header=BB0_163 Depth=1
	s_or_saveexec_b32 s4, s10
	v_mov_b32_e32 v18, s5
	s_xor_b32 exec_lo, exec_lo, s4
	s_cbranch_execz .LBB0_195
; %bb.194:                              ;   in Loop: Header=BB0_163 Depth=1
	flat_load_dwordx2 v[14:15], v[22:23]
	v_add_co_u32 v22, vcc_lo, v22, 8
	v_add_nc_u32_e32 v18, -8, v6
	v_add_co_ci_u32_e32 v23, vcc_lo, 0, v23, vcc_lo
	s_waitcnt vmcnt(0) lgkmcnt(0)
	v_and_b32_e32 v16, 0xff, v15
	v_and_b32_e32 v17, 0xff00, v15
	;; [unrolled: 1-line block ×4, first 2 shown]
	v_or3_b32 v14, v14, 0, 0
	v_or_b32_e32 v16, v16, v17
	v_or3_b32 v15, v16, v19, v15
.LBB0_195:                              ;   in Loop: Header=BB0_163 Depth=1
	s_or_b32 exec_lo, exec_lo, s4
                                        ; implicit-def: $sgpr5
	s_mov_b32 s4, exec_lo
	v_cmpx_gt_u32_e32 8, v18
	s_xor_b32 s10, exec_lo, s4
	s_cbranch_execz .LBB0_201
; %bb.196:                              ;   in Loop: Header=BB0_163 Depth=1
	v_mov_b32_e32 v16, 0
	v_mov_b32_e32 v17, 0
	s_mov_b32 s11, exec_lo
	v_cmpx_ne_u32_e32 0, v18
	s_cbranch_execz .LBB0_200
; %bb.197:                              ;   in Loop: Header=BB0_163 Depth=1
	v_mov_b32_e32 v16, 0
	v_mov_b32_e32 v17, 0
	s_mov_b64 s[4:5], 0
	s_mov_b32 s15, 0
	s_mov_b64 s[8:9], 0
	.p2align	6
.LBB0_198:                              ;   Parent Loop BB0_163 Depth=1
                                        ; =>  This Inner Loop Header: Depth=2
	v_add_co_u32 v19, vcc_lo, v22, s8
	v_add_co_ci_u32_e32 v20, vcc_lo, s9, v23, vcc_lo
	s_add_u32 s8, s8, 1
	s_addc_u32 s9, s9, 0
	v_cmp_eq_u32_e32 vcc_lo, s8, v18
	flat_load_ubyte v6, v[19:20]
	v_mov_b32_e32 v20, s14
	s_waitcnt vmcnt(0) lgkmcnt(0)
	v_and_b32_e32 v19, 0xffff, v6
	v_lshlrev_b64 v[19:20], s4, v[19:20]
	s_add_u32 s4, s4, 8
	s_addc_u32 s5, s5, 0
	s_or_b32 s15, vcc_lo, s15
	v_or_b32_e32 v17, v20, v17
	v_or_b32_e32 v16, v19, v16
	s_andn2_b32 exec_lo, exec_lo, s15
	s_cbranch_execnz .LBB0_198
; %bb.199:                              ;   in Loop: Header=BB0_163 Depth=1
	s_or_b32 exec_lo, exec_lo, s15
.LBB0_200:                              ;   in Loop: Header=BB0_163 Depth=1
	s_or_b32 exec_lo, exec_lo, s11
	s_mov_b32 s5, 0
                                        ; implicit-def: $vgpr18
.LBB0_201:                              ;   in Loop: Header=BB0_163 Depth=1
	s_or_saveexec_b32 s4, s10
	v_mov_b32_e32 v6, s5
	s_xor_b32 exec_lo, exec_lo, s4
	s_cbranch_execz .LBB0_203
; %bb.202:                              ;   in Loop: Header=BB0_163 Depth=1
	flat_load_dwordx2 v[16:17], v[22:23]
	v_add_co_u32 v22, vcc_lo, v22, 8
	v_add_co_ci_u32_e32 v23, vcc_lo, 0, v23, vcc_lo
	s_waitcnt vmcnt(0) lgkmcnt(0)
	v_and_b32_e32 v6, 0xff, v17
	v_and_b32_e32 v19, 0xff00, v17
	;; [unrolled: 1-line block ×4, first 2 shown]
	v_or3_b32 v16, v16, 0, 0
	v_or_b32_e32 v19, v6, v19
	v_add_nc_u32_e32 v6, -8, v18
	v_or3_b32 v17, v19, v20, v17
.LBB0_203:                              ;   in Loop: Header=BB0_163 Depth=1
	s_or_b32 exec_lo, exec_lo, s4
                                        ; implicit-def: $vgpr18_vgpr19
                                        ; implicit-def: $sgpr5
	s_mov_b32 s4, exec_lo
	v_cmpx_gt_u32_e32 8, v6
	s_xor_b32 s10, exec_lo, s4
	s_cbranch_execz .LBB0_209
; %bb.204:                              ;   in Loop: Header=BB0_163 Depth=1
	v_mov_b32_e32 v18, 0
	v_mov_b32_e32 v19, 0
	s_mov_b32 s11, exec_lo
	v_cmpx_ne_u32_e32 0, v6
	s_cbranch_execz .LBB0_208
; %bb.205:                              ;   in Loop: Header=BB0_163 Depth=1
	v_mov_b32_e32 v18, 0
	v_mov_b32_e32 v19, 0
	s_mov_b64 s[4:5], 0
	s_mov_b32 s15, 0
	s_mov_b64 s[8:9], 0
	.p2align	6
.LBB0_206:                              ;   Parent Loop BB0_163 Depth=1
                                        ; =>  This Inner Loop Header: Depth=2
	v_add_co_u32 v20, vcc_lo, v22, s8
	v_add_co_ci_u32_e32 v21, vcc_lo, s9, v23, vcc_lo
	s_add_u32 s8, s8, 1
	s_addc_u32 s9, s9, 0
	v_cmp_eq_u32_e32 vcc_lo, s8, v6
	flat_load_ubyte v20, v[20:21]
	v_mov_b32_e32 v21, s14
	s_waitcnt vmcnt(0) lgkmcnt(0)
	v_and_b32_e32 v20, 0xffff, v20
	v_lshlrev_b64 v[20:21], s4, v[20:21]
	s_add_u32 s4, s4, 8
	s_addc_u32 s5, s5, 0
	s_or_b32 s15, vcc_lo, s15
	v_or_b32_e32 v19, v21, v19
	v_or_b32_e32 v18, v20, v18
	s_andn2_b32 exec_lo, exec_lo, s15
	s_cbranch_execnz .LBB0_206
; %bb.207:                              ;   in Loop: Header=BB0_163 Depth=1
	s_or_b32 exec_lo, exec_lo, s15
.LBB0_208:                              ;   in Loop: Header=BB0_163 Depth=1
	s_or_b32 exec_lo, exec_lo, s11
	s_mov_b32 s5, 0
                                        ; implicit-def: $vgpr6
.LBB0_209:                              ;   in Loop: Header=BB0_163 Depth=1
	s_or_saveexec_b32 s4, s10
	v_mov_b32_e32 v24, s5
	s_xor_b32 exec_lo, exec_lo, s4
	s_cbranch_execz .LBB0_211
; %bb.210:                              ;   in Loop: Header=BB0_163 Depth=1
	flat_load_dwordx2 v[18:19], v[22:23]
	v_add_co_u32 v22, vcc_lo, v22, 8
	v_add_nc_u32_e32 v24, -8, v6
	v_add_co_ci_u32_e32 v23, vcc_lo, 0, v23, vcc_lo
	s_waitcnt vmcnt(0) lgkmcnt(0)
	v_and_b32_e32 v20, 0xff, v19
	v_and_b32_e32 v21, 0xff00, v19
	;; [unrolled: 1-line block ×4, first 2 shown]
	v_or3_b32 v18, v18, 0, 0
	v_or_b32_e32 v20, v20, v21
	v_or3_b32 v19, v20, v25, v19
.LBB0_211:                              ;   in Loop: Header=BB0_163 Depth=1
	s_or_b32 exec_lo, exec_lo, s4
	s_mov_b32 s4, exec_lo
	v_cmpx_gt_u32_e32 8, v24
	s_xor_b32 s8, exec_lo, s4
	s_cbranch_execz .LBB0_217
; %bb.212:                              ;   in Loop: Header=BB0_163 Depth=1
	v_mov_b32_e32 v20, 0
	v_mov_b32_e32 v21, 0
	s_mov_b32 s9, exec_lo
	v_cmpx_ne_u32_e32 0, v24
	s_cbranch_execz .LBB0_216
; %bb.213:                              ;   in Loop: Header=BB0_163 Depth=1
	v_mov_b32_e32 v20, 0
	v_mov_b32_e32 v21, 0
	s_mov_b64 s[4:5], 0
	s_mov_b32 s10, 0
	.p2align	6
.LBB0_214:                              ;   Parent Loop BB0_163 Depth=1
                                        ; =>  This Inner Loop Header: Depth=2
	flat_load_ubyte v6, v[22:23]
	v_mov_b32_e32 v31, s14
	v_add_nc_u32_e32 v24, -1, v24
	v_add_co_u32 v22, vcc_lo, v22, 1
	v_add_co_ci_u32_e32 v23, vcc_lo, 0, v23, vcc_lo
	v_cmp_eq_u32_e32 vcc_lo, 0, v24
	s_waitcnt vmcnt(0) lgkmcnt(0)
	v_and_b32_e32 v30, 0xffff, v6
	v_lshlrev_b64 v[30:31], s4, v[30:31]
	s_add_u32 s4, s4, 8
	s_addc_u32 s5, s5, 0
	s_or_b32 s10, vcc_lo, s10
	v_or_b32_e32 v21, v31, v21
	v_or_b32_e32 v20, v30, v20
	s_andn2_b32 exec_lo, exec_lo, s10
	s_cbranch_execnz .LBB0_214
; %bb.215:                              ;   in Loop: Header=BB0_163 Depth=1
	s_or_b32 exec_lo, exec_lo, s10
.LBB0_216:                              ;   in Loop: Header=BB0_163 Depth=1
	s_or_b32 exec_lo, exec_lo, s9
                                        ; implicit-def: $vgpr22_vgpr23
.LBB0_217:                              ;   in Loop: Header=BB0_163 Depth=1
	s_andn2_saveexec_b32 s4, s8
	s_cbranch_execz .LBB0_219
; %bb.218:                              ;   in Loop: Header=BB0_163 Depth=1
	flat_load_dwordx2 v[20:21], v[22:23]
	s_waitcnt vmcnt(0) lgkmcnt(0)
	v_and_b32_e32 v6, 0xff, v21
	v_and_b32_e32 v22, 0xff00, v21
	;; [unrolled: 1-line block ×4, first 2 shown]
	v_or3_b32 v20, v20, 0, 0
	v_or_b32_e32 v6, v6, v22
	v_or3_b32 v21, v6, v23, v21
.LBB0_219:                              ;   in Loop: Header=BB0_163 Depth=1
	s_or_b32 exec_lo, exec_lo, s4
	v_readfirstlane_b32 s4, v33
	v_mov_b32_e32 v30, 0
	v_mov_b32_e32 v31, 0
	v_cmp_eq_u32_e64 s4, s4, v33
	s_and_saveexec_b32 s5, s4
	s_cbranch_execz .LBB0_225
; %bb.220:                              ;   in Loop: Header=BB0_163 Depth=1
	global_load_dwordx2 v[24:25], v7, s[6:7] offset:24 glc dlc
	s_waitcnt vmcnt(0)
	buffer_gl1_inv
	buffer_gl0_inv
	s_clause 0x1
	global_load_dwordx2 v[22:23], v7, s[6:7] offset:40
	global_load_dwordx2 v[30:31], v7, s[6:7]
	s_mov_b32 s8, exec_lo
	s_waitcnt vmcnt(1)
	v_and_b32_e32 v6, v23, v25
	v_and_b32_e32 v22, v22, v24
	v_mul_lo_u32 v6, v6, 24
	v_mul_hi_u32 v23, v22, 24
	v_mul_lo_u32 v22, v22, 24
	v_add_nc_u32_e32 v6, v23, v6
	s_waitcnt vmcnt(0)
	v_add_co_u32 v22, vcc_lo, v30, v22
	v_add_co_ci_u32_e32 v23, vcc_lo, v31, v6, vcc_lo
	global_load_dwordx2 v[22:23], v[22:23], off glc dlc
	s_waitcnt vmcnt(0)
	global_atomic_cmpswap_x2 v[30:31], v7, v[22:25], s[6:7] offset:24 glc
	s_waitcnt vmcnt(0)
	buffer_gl1_inv
	buffer_gl0_inv
	v_cmpx_ne_u64_e64 v[30:31], v[24:25]
	s_cbranch_execz .LBB0_224
; %bb.221:                              ;   in Loop: Header=BB0_163 Depth=1
	s_mov_b32 s9, 0
	.p2align	6
.LBB0_222:                              ;   Parent Loop BB0_163 Depth=1
                                        ; =>  This Inner Loop Header: Depth=2
	s_sleep 1
	s_clause 0x1
	global_load_dwordx2 v[22:23], v7, s[6:7] offset:40
	global_load_dwordx2 v[34:35], v7, s[6:7]
	v_mov_b32_e32 v24, v30
	v_mov_b32_e32 v25, v31
	s_waitcnt vmcnt(1)
	v_and_b32_e32 v6, v22, v24
	v_and_b32_e32 v22, v23, v25
	s_waitcnt vmcnt(0)
	v_mad_u64_u32 v[30:31], null, v6, 24, v[34:35]
	v_mov_b32_e32 v6, v31
	v_mad_u64_u32 v[22:23], null, v22, 24, v[6:7]
	v_mov_b32_e32 v31, v22
	global_load_dwordx2 v[22:23], v[30:31], off glc dlc
	s_waitcnt vmcnt(0)
	global_atomic_cmpswap_x2 v[30:31], v7, v[22:25], s[6:7] offset:24 glc
	s_waitcnt vmcnt(0)
	buffer_gl1_inv
	buffer_gl0_inv
	v_cmp_eq_u64_e32 vcc_lo, v[30:31], v[24:25]
	s_or_b32 s9, vcc_lo, s9
	s_andn2_b32 exec_lo, exec_lo, s9
	s_cbranch_execnz .LBB0_222
; %bb.223:                              ;   in Loop: Header=BB0_163 Depth=1
	s_or_b32 exec_lo, exec_lo, s9
.LBB0_224:                              ;   in Loop: Header=BB0_163 Depth=1
	s_or_b32 exec_lo, exec_lo, s8
.LBB0_225:                              ;   in Loop: Header=BB0_163 Depth=1
	s_or_b32 exec_lo, exec_lo, s5
	s_clause 0x1
	global_load_dwordx2 v[34:35], v7, s[6:7] offset:40
	global_load_dwordx4 v[22:25], v7, s[6:7]
	v_readfirstlane_b32 s8, v30
	v_readfirstlane_b32 s9, v31
	s_mov_b32 s5, exec_lo
	s_waitcnt vmcnt(1)
	v_readfirstlane_b32 s10, v34
	v_readfirstlane_b32 s11, v35
	s_and_b64 s[10:11], s[8:9], s[10:11]
	s_mul_i32 s15, s11, 24
	s_mul_hi_u32 s16, s10, 24
	s_mul_i32 s17, s10, 24
	s_add_i32 s16, s16, s15
	s_waitcnt vmcnt(0)
	v_add_co_u32 v30, vcc_lo, v22, s17
	v_add_co_ci_u32_e32 v31, vcc_lo, s16, v23, vcc_lo
	s_and_saveexec_b32 s15, s4
	s_cbranch_execz .LBB0_227
; %bb.226:                              ;   in Loop: Header=BB0_163 Depth=1
	v_mov_b32_e32 v6, s5
	global_store_dwordx4 v[30:31], v[6:9], off offset:8
.LBB0_227:                              ;   in Loop: Header=BB0_163 Depth=1
	s_or_b32 exec_lo, exec_lo, s15
	s_lshl_b64 s[10:11], s[10:11], 12
	v_or_b32_e32 v6, 2, v2
	v_add_co_u32 v24, vcc_lo, v24, s10
	v_add_co_ci_u32_e32 v25, vcc_lo, s11, v25, vcc_lo
	v_cmp_lt_u64_e32 vcc_lo, 56, v[26:27]
	v_lshl_add_u32 v34, v28, 2, 28
	v_readfirstlane_b32 s10, v24
	v_readfirstlane_b32 s11, v25
	v_cndmask_b32_e32 v2, v6, v2, vcc_lo
	v_and_b32_e32 v6, 0x1e0, v34
	v_and_or_b32 v2, 0xffffff1f, v2, v6
	global_store_dwordx4 v32, v[10:13], s[10:11] offset:16
	global_store_dwordx4 v32, v[14:17], s[10:11] offset:32
	global_store_dwordx4 v32, v[2:5], s[10:11]
	global_store_dwordx4 v32, v[18:21], s[10:11] offset:48
	s_and_saveexec_b32 s5, s4
	s_cbranch_execz .LBB0_235
; %bb.228:                              ;   in Loop: Header=BB0_163 Depth=1
	s_clause 0x1
	global_load_dwordx2 v[14:15], v7, s[6:7] offset:32 glc dlc
	global_load_dwordx2 v[2:3], v7, s[6:7] offset:40
	v_mov_b32_e32 v12, s8
	v_mov_b32_e32 v13, s9
	s_waitcnt vmcnt(0)
	v_readfirstlane_b32 s10, v2
	v_readfirstlane_b32 s11, v3
	s_and_b64 s[10:11], s[10:11], s[8:9]
	s_mul_i32 s11, s11, 24
	s_mul_hi_u32 s15, s10, 24
	s_mul_i32 s10, s10, 24
	s_add_i32 s15, s15, s11
	v_add_co_u32 v10, vcc_lo, v22, s10
	v_add_co_ci_u32_e32 v11, vcc_lo, s15, v23, vcc_lo
	s_mov_b32 s10, exec_lo
	global_store_dwordx2 v[10:11], v[14:15], off
	s_waitcnt_vscnt null, 0x0
	global_atomic_cmpswap_x2 v[4:5], v7, v[12:15], s[6:7] offset:32 glc
	s_waitcnt vmcnt(0)
	v_cmpx_ne_u64_e64 v[4:5], v[14:15]
	s_cbranch_execz .LBB0_231
; %bb.229:                              ;   in Loop: Header=BB0_163 Depth=1
	s_mov_b32 s11, 0
.LBB0_230:                              ;   Parent Loop BB0_163 Depth=1
                                        ; =>  This Inner Loop Header: Depth=2
	v_mov_b32_e32 v2, s8
	v_mov_b32_e32 v3, s9
	s_sleep 1
	global_store_dwordx2 v[10:11], v[4:5], off
	s_waitcnt_vscnt null, 0x0
	global_atomic_cmpswap_x2 v[2:3], v7, v[2:5], s[6:7] offset:32 glc
	s_waitcnt vmcnt(0)
	v_cmp_eq_u64_e32 vcc_lo, v[2:3], v[4:5]
	v_mov_b32_e32 v5, v3
	v_mov_b32_e32 v4, v2
	s_or_b32 s11, vcc_lo, s11
	s_andn2_b32 exec_lo, exec_lo, s11
	s_cbranch_execnz .LBB0_230
.LBB0_231:                              ;   in Loop: Header=BB0_163 Depth=1
	s_or_b32 exec_lo, exec_lo, s10
	global_load_dwordx2 v[2:3], v7, s[6:7] offset:16
	s_mov_b32 s11, exec_lo
	s_mov_b32 s10, exec_lo
	v_mbcnt_lo_u32_b32 v4, s11, 0
	v_cmpx_eq_u32_e32 0, v4
	s_cbranch_execz .LBB0_233
; %bb.232:                              ;   in Loop: Header=BB0_163 Depth=1
	s_bcnt1_i32_b32 s11, s11
	v_mov_b32_e32 v6, s11
	s_waitcnt vmcnt(0)
	global_atomic_add_x2 v[2:3], v[6:7], off offset:8
.LBB0_233:                              ;   in Loop: Header=BB0_163 Depth=1
	s_or_b32 exec_lo, exec_lo, s10
	s_waitcnt vmcnt(0)
	global_load_dwordx2 v[4:5], v[2:3], off offset:16
	s_waitcnt vmcnt(0)
	v_cmp_eq_u64_e32 vcc_lo, 0, v[4:5]
	s_cbranch_vccnz .LBB0_235
; %bb.234:                              ;   in Loop: Header=BB0_163 Depth=1
	global_load_dword v6, v[2:3], off offset:24
	s_waitcnt vmcnt(0)
	v_and_b32_e32 v2, 0x7fffff, v6
	s_waitcnt_vscnt null, 0x0
	global_store_dwordx2 v[4:5], v[6:7], off
	v_readfirstlane_b32 m0, v2
	s_sendmsg sendmsg(MSG_INTERRUPT)
.LBB0_235:                              ;   in Loop: Header=BB0_163 Depth=1
	s_or_b32 exec_lo, exec_lo, s5
	v_add_co_u32 v2, vcc_lo, v24, v32
	v_add_co_ci_u32_e32 v3, vcc_lo, 0, v25, vcc_lo
	s_branch .LBB0_239
	.p2align	6
.LBB0_236:                              ;   in Loop: Header=BB0_239 Depth=2
	s_or_b32 exec_lo, exec_lo, s5
	v_readfirstlane_b32 s5, v4
	s_cmp_eq_u32 s5, 0
	s_cbranch_scc1 .LBB0_238
; %bb.237:                              ;   in Loop: Header=BB0_239 Depth=2
	s_sleep 1
	s_cbranch_execnz .LBB0_239
	s_branch .LBB0_241
	.p2align	6
.LBB0_238:                              ;   in Loop: Header=BB0_163 Depth=1
	s_branch .LBB0_241
.LBB0_239:                              ;   Parent Loop BB0_163 Depth=1
                                        ; =>  This Inner Loop Header: Depth=2
	v_mov_b32_e32 v4, 1
	s_and_saveexec_b32 s5, s4
	s_cbranch_execz .LBB0_236
; %bb.240:                              ;   in Loop: Header=BB0_239 Depth=2
	global_load_dword v4, v[30:31], off offset:20 glc dlc
	s_waitcnt vmcnt(0)
	buffer_gl1_inv
	buffer_gl0_inv
	v_and_b32_e32 v4, 1, v4
	s_branch .LBB0_236
.LBB0_241:                              ;   in Loop: Header=BB0_163 Depth=1
	global_load_dwordx4 v[2:5], v[2:3], off
	s_and_saveexec_b32 s5, s4
	s_cbranch_execz .LBB0_162
; %bb.242:                              ;   in Loop: Header=BB0_163 Depth=1
	s_clause 0x2
	global_load_dwordx2 v[4:5], v7, s[6:7] offset:40
	global_load_dwordx2 v[14:15], v7, s[6:7] offset:24 glc dlc
	global_load_dwordx2 v[12:13], v7, s[6:7]
	s_waitcnt vmcnt(2)
	v_add_co_u32 v6, vcc_lo, v4, 1
	v_add_co_ci_u32_e32 v16, vcc_lo, 0, v5, vcc_lo
	v_add_co_u32 v10, vcc_lo, v6, s8
	v_add_co_ci_u32_e32 v11, vcc_lo, s9, v16, vcc_lo
	v_cmp_eq_u64_e32 vcc_lo, 0, v[10:11]
	v_cndmask_b32_e32 v11, v11, v16, vcc_lo
	v_cndmask_b32_e32 v10, v10, v6, vcc_lo
	v_and_b32_e32 v5, v11, v5
	v_and_b32_e32 v4, v10, v4
	v_mul_lo_u32 v5, v5, 24
	v_mul_hi_u32 v6, v4, 24
	v_mul_lo_u32 v4, v4, 24
	v_add_nc_u32_e32 v5, v6, v5
	s_waitcnt vmcnt(0)
	v_add_co_u32 v4, vcc_lo, v12, v4
	v_mov_b32_e32 v12, v14
	v_add_co_ci_u32_e32 v5, vcc_lo, v13, v5, vcc_lo
	v_mov_b32_e32 v13, v15
	global_store_dwordx2 v[4:5], v[14:15], off
	s_waitcnt_vscnt null, 0x0
	global_atomic_cmpswap_x2 v[12:13], v7, v[10:13], s[6:7] offset:24 glc
	s_waitcnt vmcnt(0)
	v_cmp_ne_u64_e32 vcc_lo, v[12:13], v[14:15]
	s_and_b32 exec_lo, exec_lo, vcc_lo
	s_cbranch_execz .LBB0_162
; %bb.243:                              ;   in Loop: Header=BB0_163 Depth=1
	s_mov_b32 s4, 0
.LBB0_244:                              ;   Parent Loop BB0_163 Depth=1
                                        ; =>  This Inner Loop Header: Depth=2
	s_sleep 1
	global_store_dwordx2 v[4:5], v[12:13], off
	s_waitcnt_vscnt null, 0x0
	global_atomic_cmpswap_x2 v[14:15], v7, v[10:13], s[6:7] offset:24 glc
	s_waitcnt vmcnt(0)
	v_cmp_eq_u64_e32 vcc_lo, v[14:15], v[12:13]
	v_mov_b32_e32 v12, v14
	v_mov_b32_e32 v13, v15
	s_or_b32 s4, vcc_lo, s4
	s_andn2_b32 exec_lo, exec_lo, s4
	s_cbranch_execnz .LBB0_244
	s_branch .LBB0_162
.LBB0_245:
	s_and_saveexec_b32 s10, s4
	s_cbranch_execz .LBB0_249
; %bb.246:
	v_mov_b32_e32 v6, 0
	s_clause 0x2
	global_load_dwordx2 v[2:3], v6, s[6:7] offset:40
	global_load_dwordx2 v[7:8], v6, s[6:7] offset:24 glc dlc
	global_load_dwordx2 v[4:5], v6, s[6:7]
	s_waitcnt vmcnt(2)
	v_add_co_u32 v9, vcc_lo, v2, 1
	v_add_co_ci_u32_e32 v10, vcc_lo, 0, v3, vcc_lo
	v_add_co_u32 v0, vcc_lo, v9, s8
	v_add_co_ci_u32_e32 v1, vcc_lo, s9, v10, vcc_lo
	v_cmp_eq_u64_e32 vcc_lo, 0, v[0:1]
	v_cndmask_b32_e32 v1, v1, v10, vcc_lo
	v_cndmask_b32_e32 v0, v0, v9, vcc_lo
	v_and_b32_e32 v3, v1, v3
	v_and_b32_e32 v2, v0, v2
	v_mul_lo_u32 v3, v3, 24
	v_mul_hi_u32 v9, v2, 24
	v_mul_lo_u32 v2, v2, 24
	v_add_nc_u32_e32 v3, v9, v3
	s_waitcnt vmcnt(0)
	v_add_co_u32 v4, vcc_lo, v4, v2
	v_mov_b32_e32 v2, v7
	v_add_co_ci_u32_e32 v5, vcc_lo, v5, v3, vcc_lo
	v_mov_b32_e32 v3, v8
	global_store_dwordx2 v[4:5], v[7:8], off
	s_waitcnt_vscnt null, 0x0
	global_atomic_cmpswap_x2 v[2:3], v6, v[0:3], s[6:7] offset:24 glc
	s_waitcnt vmcnt(0)
	v_cmp_ne_u64_e32 vcc_lo, v[2:3], v[7:8]
	s_and_b32 exec_lo, exec_lo, vcc_lo
	s_cbranch_execz .LBB0_249
; %bb.247:
	s_mov_b32 s4, 0
.LBB0_248:                              ; =>This Inner Loop Header: Depth=1
	s_sleep 1
	global_store_dwordx2 v[4:5], v[2:3], off
	s_waitcnt_vscnt null, 0x0
	global_atomic_cmpswap_x2 v[7:8], v6, v[0:3], s[6:7] offset:24 glc
	s_waitcnt vmcnt(0)
	v_cmp_eq_u64_e32 vcc_lo, v[7:8], v[2:3]
	v_mov_b32_e32 v2, v7
	v_mov_b32_e32 v3, v8
	s_or_b32 s4, vcc_lo, s4
	s_andn2_b32 exec_lo, exec_lo, s4
	s_cbranch_execnz .LBB0_248
.LBB0_249:
	s_or_b32 exec_lo, exec_lo, s10
	s_or_b32 exec_lo, exec_lo, s5
	s_waitcnt lgkmcnt(0)
	s_setpc_b64 s[30:31]
.LBB0_250:
	s_or_b32 exec_lo, exec_lo, s13
                                        ; implicit-def: $vgpr2_vgpr3
                                        ; implicit-def: $vgpr32
                                        ; implicit-def: $vgpr33
	s_andn2_saveexec_b32 s5, s12
	s_cbranch_execnz .LBB0_136
.LBB0_251:
	s_or_b32 exec_lo, exec_lo, s5
	s_waitcnt vmcnt(0) lgkmcnt(0)
	s_setpc_b64 s[30:31]
.Lfunc_end0:
	.size	_ZNK8migraphx13basic_printerIZNS_4coutEvEUlT_E_ElsEPKc, .Lfunc_end0-_ZNK8migraphx13basic_printerIZNS_4coutEvEUlT_E_ElsEPKc
                                        ; -- End function
	.section	.AMDGPU.csdata,"",@progbits
; Function info:
; codeLenInByte = 9188
; NumSgprs: 34
; NumVgprs: 36
; ScratchSize: 0
; MemoryBound: 0
	.text
	.p2align	2                               ; -- Begin function _ZN8migraphx4test12print_streamIKNS_13basic_printerIZNS_4coutEvEUlT_E_EEPiEEvRS3_RKT0_
	.type	_ZN8migraphx4test12print_streamIKNS_13basic_printerIZNS_4coutEvEUlT_E_EEPiEEvRS3_RKT0_,@function
_ZN8migraphx4test12print_streamIKNS_13basic_printerIZNS_4coutEvEUlT_E_EEPiEEvRS3_RKT0_: ; @_ZN8migraphx4test12print_streamIKNS_13basic_printerIZNS_4coutEvEUlT_E_EEPiEEvRS3_RKT0_
; %bb.0:
	s_waitcnt vmcnt(0) expcnt(0) lgkmcnt(0)
	s_load_dwordx2 s[6:7], s[8:9], 0x50
	v_mbcnt_lo_u32_b32 v28, -1, 0
	s_mov_b32 s4, exec_lo
	v_cmpx_ne_u64_e32 0, v[0:1]
	s_xor_b32 s18, exec_lo, s4
	s_cbranch_execz .LBB1_106
; %bb.1:
	v_readfirstlane_b32 s4, v28
	v_mov_b32_e32 v6, 0
	v_mov_b32_e32 v7, 0
	v_cmp_eq_u32_e64 s4, s4, v28
	s_and_saveexec_b32 s5, s4
	s_cbranch_execz .LBB1_7
; %bb.2:
	v_mov_b32_e32 v0, 0
	s_mov_b32 s8, exec_lo
	s_waitcnt lgkmcnt(0)
	global_load_dwordx2 v[3:4], v0, s[6:7] offset:24 glc dlc
	s_waitcnt vmcnt(0)
	buffer_gl1_inv
	buffer_gl0_inv
	s_clause 0x1
	global_load_dwordx2 v[1:2], v0, s[6:7] offset:40
	global_load_dwordx2 v[5:6], v0, s[6:7]
	s_waitcnt vmcnt(1)
	v_and_b32_e32 v2, v2, v4
	v_and_b32_e32 v1, v1, v3
	v_mul_lo_u32 v2, v2, 24
	v_mul_hi_u32 v7, v1, 24
	v_mul_lo_u32 v1, v1, 24
	v_add_nc_u32_e32 v2, v7, v2
	s_waitcnt vmcnt(0)
	v_add_co_u32 v1, vcc_lo, v5, v1
	v_add_co_ci_u32_e32 v2, vcc_lo, v6, v2, vcc_lo
	global_load_dwordx2 v[1:2], v[1:2], off glc dlc
	s_waitcnt vmcnt(0)
	global_atomic_cmpswap_x2 v[6:7], v0, v[1:4], s[6:7] offset:24 glc
	s_waitcnt vmcnt(0)
	buffer_gl1_inv
	buffer_gl0_inv
	v_cmpx_ne_u64_e64 v[6:7], v[3:4]
	s_cbranch_execz .LBB1_6
; %bb.3:
	s_mov_b32 s9, 0
	.p2align	6
.LBB1_4:                                ; =>This Inner Loop Header: Depth=1
	s_sleep 1
	s_clause 0x1
	global_load_dwordx2 v[1:2], v0, s[6:7] offset:40
	global_load_dwordx2 v[8:9], v0, s[6:7]
	v_mov_b32_e32 v3, v6
	v_mov_b32_e32 v4, v7
	s_waitcnt vmcnt(1)
	v_and_b32_e32 v1, v1, v3
	v_and_b32_e32 v2, v2, v4
	s_waitcnt vmcnt(0)
	v_mad_u64_u32 v[5:6], null, v1, 24, v[8:9]
	v_mov_b32_e32 v1, v6
	v_mad_u64_u32 v[1:2], null, v2, 24, v[1:2]
	v_mov_b32_e32 v6, v1
	global_load_dwordx2 v[1:2], v[5:6], off glc dlc
	s_waitcnt vmcnt(0)
	global_atomic_cmpswap_x2 v[6:7], v0, v[1:4], s[6:7] offset:24 glc
	s_waitcnt vmcnt(0)
	buffer_gl1_inv
	buffer_gl0_inv
	v_cmp_eq_u64_e32 vcc_lo, v[6:7], v[3:4]
	s_or_b32 s9, vcc_lo, s9
	s_andn2_b32 exec_lo, exec_lo, s9
	s_cbranch_execnz .LBB1_4
; %bb.5:
	s_or_b32 exec_lo, exec_lo, s9
.LBB1_6:
	s_or_b32 exec_lo, exec_lo, s8
.LBB1_7:
	s_or_b32 exec_lo, exec_lo, s5
	v_mov_b32_e32 v5, 0
	v_readfirstlane_b32 s8, v6
	v_readfirstlane_b32 s9, v7
	s_mov_b32 s5, exec_lo
	s_waitcnt lgkmcnt(0)
	s_clause 0x1
	global_load_dwordx2 v[8:9], v5, s[6:7] offset:40
	global_load_dwordx4 v[0:3], v5, s[6:7]
	s_waitcnt vmcnt(1)
	v_readfirstlane_b32 s10, v8
	v_readfirstlane_b32 s11, v9
	s_and_b64 s[10:11], s[8:9], s[10:11]
	s_mul_i32 s12, s11, 24
	s_mul_hi_u32 s13, s10, 24
	s_mul_i32 s14, s10, 24
	s_add_i32 s13, s13, s12
	s_waitcnt vmcnt(0)
	v_add_co_u32 v8, vcc_lo, v0, s14
	v_add_co_ci_u32_e32 v9, vcc_lo, s13, v1, vcc_lo
	s_and_saveexec_b32 s12, s4
	s_cbranch_execz .LBB1_9
; %bb.8:
	v_mov_b32_e32 v4, s5
	v_mov_b32_e32 v6, 2
	;; [unrolled: 1-line block ×3, first 2 shown]
	global_store_dwordx4 v[8:9], v[4:7], off offset:8
.LBB1_9:
	s_or_b32 exec_lo, exec_lo, s12
	s_lshl_b64 s[10:11], s[10:11], 12
	v_lshlrev_b32_e32 v29, 6, v28
	v_add_co_u32 v2, vcc_lo, v2, s10
	v_add_co_ci_u32_e32 v3, vcc_lo, s11, v3, vcc_lo
	s_mov_b32 s12, 0
	v_add_co_u32 v10, vcc_lo, v2, v29
	s_mov_b32 s13, s12
	s_mov_b32 s14, s12
	;; [unrolled: 1-line block ×3, first 2 shown]
	v_mov_b32_e32 v4, 33
	v_mov_b32_e32 v6, v5
	;; [unrolled: 1-line block ×3, first 2 shown]
	v_readfirstlane_b32 s10, v2
	v_readfirstlane_b32 s11, v3
	v_mov_b32_e32 v12, s12
	v_add_co_ci_u32_e32 v11, vcc_lo, 0, v3, vcc_lo
	v_mov_b32_e32 v13, s13
	v_mov_b32_e32 v14, s14
	;; [unrolled: 1-line block ×3, first 2 shown]
	global_store_dwordx4 v29, v[4:7], s[10:11]
	global_store_dwordx4 v29, v[12:15], s[10:11] offset:16
	global_store_dwordx4 v29, v[12:15], s[10:11] offset:32
	;; [unrolled: 1-line block ×3, first 2 shown]
	s_and_saveexec_b32 s5, s4
	s_cbranch_execz .LBB1_17
; %bb.10:
	v_mov_b32_e32 v6, 0
	v_mov_b32_e32 v12, s8
	;; [unrolled: 1-line block ×3, first 2 shown]
	s_mov_b32 s10, exec_lo
	s_clause 0x1
	global_load_dwordx2 v[14:15], v6, s[6:7] offset:32 glc dlc
	global_load_dwordx2 v[2:3], v6, s[6:7] offset:40
	s_waitcnt vmcnt(0)
	v_and_b32_e32 v3, s9, v3
	v_and_b32_e32 v2, s8, v2
	v_mul_lo_u32 v3, v3, 24
	v_mul_hi_u32 v4, v2, 24
	v_mul_lo_u32 v2, v2, 24
	v_add_nc_u32_e32 v3, v4, v3
	v_add_co_u32 v4, vcc_lo, v0, v2
	v_add_co_ci_u32_e32 v5, vcc_lo, v1, v3, vcc_lo
	global_store_dwordx2 v[4:5], v[14:15], off
	s_waitcnt_vscnt null, 0x0
	global_atomic_cmpswap_x2 v[2:3], v6, v[12:15], s[6:7] offset:32 glc
	s_waitcnt vmcnt(0)
	v_cmpx_ne_u64_e64 v[2:3], v[14:15]
	s_cbranch_execz .LBB1_13
; %bb.11:
	s_mov_b32 s11, 0
.LBB1_12:                               ; =>This Inner Loop Header: Depth=1
	v_mov_b32_e32 v0, s8
	v_mov_b32_e32 v1, s9
	s_sleep 1
	global_store_dwordx2 v[4:5], v[2:3], off
	s_waitcnt_vscnt null, 0x0
	global_atomic_cmpswap_x2 v[0:1], v6, v[0:3], s[6:7] offset:32 glc
	s_waitcnt vmcnt(0)
	v_cmp_eq_u64_e32 vcc_lo, v[0:1], v[2:3]
	v_mov_b32_e32 v3, v1
	v_mov_b32_e32 v2, v0
	s_or_b32 s11, vcc_lo, s11
	s_andn2_b32 exec_lo, exec_lo, s11
	s_cbranch_execnz .LBB1_12
.LBB1_13:
	s_or_b32 exec_lo, exec_lo, s10
	v_mov_b32_e32 v3, 0
	s_mov_b32 s11, exec_lo
	s_mov_b32 s10, exec_lo
	v_mbcnt_lo_u32_b32 v2, s11, 0
	global_load_dwordx2 v[0:1], v3, s[6:7] offset:16
	v_cmpx_eq_u32_e32 0, v2
	s_cbranch_execz .LBB1_15
; %bb.14:
	s_bcnt1_i32_b32 s11, s11
	v_mov_b32_e32 v2, s11
	s_waitcnt vmcnt(0)
	global_atomic_add_x2 v[0:1], v[2:3], off offset:8
.LBB1_15:
	s_or_b32 exec_lo, exec_lo, s10
	s_waitcnt vmcnt(0)
	global_load_dwordx2 v[2:3], v[0:1], off offset:16
	s_waitcnt vmcnt(0)
	v_cmp_eq_u64_e32 vcc_lo, 0, v[2:3]
	s_cbranch_vccnz .LBB1_17
; %bb.16:
	global_load_dword v0, v[0:1], off offset:24
	v_mov_b32_e32 v1, 0
	s_waitcnt vmcnt(0)
	v_and_b32_e32 v4, 0x7fffff, v0
	s_waitcnt_vscnt null, 0x0
	global_store_dwordx2 v[2:3], v[0:1], off
	v_readfirstlane_b32 m0, v4
	s_sendmsg sendmsg(MSG_INTERRUPT)
.LBB1_17:
	s_or_b32 exec_lo, exec_lo, s5
	s_branch .LBB1_21
	.p2align	6
.LBB1_18:                               ;   in Loop: Header=BB1_21 Depth=1
	s_or_b32 exec_lo, exec_lo, s5
	v_readfirstlane_b32 s5, v0
	s_cmp_eq_u32 s5, 0
	s_cbranch_scc1 .LBB1_20
; %bb.19:                               ;   in Loop: Header=BB1_21 Depth=1
	s_sleep 1
	s_cbranch_execnz .LBB1_21
	s_branch .LBB1_23
	.p2align	6
.LBB1_20:
	s_branch .LBB1_23
.LBB1_21:                               ; =>This Inner Loop Header: Depth=1
	v_mov_b32_e32 v0, 1
	s_and_saveexec_b32 s5, s4
	s_cbranch_execz .LBB1_18
; %bb.22:                               ;   in Loop: Header=BB1_21 Depth=1
	global_load_dword v0, v[8:9], off offset:20 glc dlc
	s_waitcnt vmcnt(0)
	buffer_gl1_inv
	buffer_gl0_inv
	v_and_b32_e32 v0, 1, v0
	s_branch .LBB1_18
.LBB1_23:
	global_load_dwordx2 v[0:1], v[10:11], off
	s_and_saveexec_b32 s5, s4
	s_cbranch_execz .LBB1_27
; %bb.24:
	v_mov_b32_e32 v8, 0
	s_clause 0x2
	global_load_dwordx2 v[4:5], v8, s[6:7] offset:40
	global_load_dwordx2 v[9:10], v8, s[6:7] offset:24 glc dlc
	global_load_dwordx2 v[6:7], v8, s[6:7]
	s_waitcnt vmcnt(2)
	v_add_co_u32 v11, vcc_lo, v4, 1
	v_add_co_ci_u32_e32 v12, vcc_lo, 0, v5, vcc_lo
	v_add_co_u32 v2, vcc_lo, v11, s8
	v_add_co_ci_u32_e32 v3, vcc_lo, s9, v12, vcc_lo
	v_cmp_eq_u64_e32 vcc_lo, 0, v[2:3]
	v_cndmask_b32_e32 v3, v3, v12, vcc_lo
	v_cndmask_b32_e32 v2, v2, v11, vcc_lo
	v_and_b32_e32 v5, v3, v5
	v_and_b32_e32 v4, v2, v4
	v_mul_lo_u32 v5, v5, 24
	v_mul_hi_u32 v11, v4, 24
	v_mul_lo_u32 v4, v4, 24
	v_add_nc_u32_e32 v5, v11, v5
	s_waitcnt vmcnt(0)
	v_add_co_u32 v6, vcc_lo, v6, v4
	v_mov_b32_e32 v4, v9
	v_add_co_ci_u32_e32 v7, vcc_lo, v7, v5, vcc_lo
	v_mov_b32_e32 v5, v10
	global_store_dwordx2 v[6:7], v[9:10], off
	s_waitcnt_vscnt null, 0x0
	global_atomic_cmpswap_x2 v[4:5], v8, v[2:5], s[6:7] offset:24 glc
	s_waitcnt vmcnt(0)
	v_cmp_ne_u64_e32 vcc_lo, v[4:5], v[9:10]
	s_and_b32 exec_lo, exec_lo, vcc_lo
	s_cbranch_execz .LBB1_27
; %bb.25:
	s_mov_b32 s4, 0
.LBB1_26:                               ; =>This Inner Loop Header: Depth=1
	s_sleep 1
	global_store_dwordx2 v[6:7], v[4:5], off
	s_waitcnt_vscnt null, 0x0
	global_atomic_cmpswap_x2 v[9:10], v8, v[2:5], s[6:7] offset:24 glc
	s_waitcnt vmcnt(0)
	v_cmp_eq_u64_e32 vcc_lo, v[9:10], v[4:5]
	v_mov_b32_e32 v4, v9
	v_mov_b32_e32 v5, v10
	s_or_b32 s4, vcc_lo, s4
	s_andn2_b32 exec_lo, exec_lo, s4
	s_cbranch_execnz .LBB1_26
.LBB1_27:
	s_or_b32 exec_lo, exec_lo, s5
	s_getpc_b64 s[8:9]
	s_add_u32 s8, s8, .str.11@rel32@lo+4
	s_addc_u32 s9, s9, .str.11@rel32@hi+12
	s_cmp_lg_u64 s[8:9], 0
	s_cbranch_scc0 .LBB1_213
; %bb.28:
	s_waitcnt vmcnt(0)
	v_and_b32_e32 v6, -3, v0
	v_mov_b32_e32 v7, v1
	v_mov_b32_e32 v3, 0
	;; [unrolled: 1-line block ×4, first 2 shown]
	s_mov_b64 s[10:11], 5
	s_branch .LBB1_30
.LBB1_29:                               ;   in Loop: Header=BB1_30 Depth=1
	s_or_b32 exec_lo, exec_lo, s5
	s_sub_u32 s10, s10, s12
	s_subb_u32 s11, s11, s13
	s_add_u32 s8, s8, s12
	s_addc_u32 s9, s9, s13
	s_cmp_eq_u64 s[10:11], 0
	s_cbranch_scc1 .LBB1_105
.LBB1_30:                               ; =>This Loop Header: Depth=1
                                        ;     Child Loop BB1_39 Depth 2
                                        ;     Child Loop BB1_35 Depth 2
	;; [unrolled: 1-line block ×11, first 2 shown]
	v_cmp_lt_u64_e64 s4, s[10:11], 56
	v_cmp_gt_u64_e64 s5, s[10:11], 7
                                        ; implicit-def: $sgpr19
	s_and_b32 s4, s4, exec_lo
	s_cselect_b32 s13, s11, 0
	s_cselect_b32 s12, s10, 56
	s_and_b32 vcc_lo, exec_lo, s5
	s_mov_b32 s4, -1
	s_cbranch_vccz .LBB1_37
; %bb.31:                               ;   in Loop: Header=BB1_30 Depth=1
	s_andn2_b32 vcc_lo, exec_lo, s4
	s_mov_b64 s[4:5], s[8:9]
	s_cbranch_vccz .LBB1_41
.LBB1_32:                               ;   in Loop: Header=BB1_30 Depth=1
	s_cmp_gt_u32 s19, 7
	s_cbranch_scc1 .LBB1_42
.LBB1_33:                               ;   in Loop: Header=BB1_30 Depth=1
	v_mov_b32_e32 v10, 0
	v_mov_b32_e32 v11, 0
	s_cmp_eq_u32 s19, 0
	s_cbranch_scc1 .LBB1_36
; %bb.34:                               ;   in Loop: Header=BB1_30 Depth=1
	s_mov_b64 s[14:15], 0
	s_mov_b64 s[16:17], 0
.LBB1_35:                               ;   Parent Loop BB1_30 Depth=1
                                        ; =>  This Inner Loop Header: Depth=2
	s_add_u32 s20, s4, s16
	s_addc_u32 s21, s5, s17
	s_add_u32 s16, s16, 1
	global_load_ubyte v2, v3, s[20:21]
	s_addc_u32 s17, s17, 0
	s_waitcnt vmcnt(0)
	v_and_b32_e32 v2, 0xffff, v2
	v_lshlrev_b64 v[12:13], s14, v[2:3]
	s_add_u32 s14, s14, 8
	s_addc_u32 s15, s15, 0
	s_cmp_lg_u32 s19, s16
	v_or_b32_e32 v10, v12, v10
	v_or_b32_e32 v11, v13, v11
	s_cbranch_scc1 .LBB1_35
.LBB1_36:                               ;   in Loop: Header=BB1_30 Depth=1
	s_mov_b32 s20, 0
	s_cbranch_execz .LBB1_43
	s_branch .LBB1_44
.LBB1_37:                               ;   in Loop: Header=BB1_30 Depth=1
	s_waitcnt vmcnt(0)
	v_mov_b32_e32 v8, 0
	v_mov_b32_e32 v9, 0
	s_cmp_eq_u64 s[10:11], 0
	s_mov_b64 s[4:5], 0
	s_cbranch_scc1 .LBB1_40
; %bb.38:                               ;   in Loop: Header=BB1_30 Depth=1
	v_mov_b32_e32 v8, 0
	v_mov_b32_e32 v9, 0
	s_lshl_b64 s[14:15], s[12:13], 3
	s_mov_b64 s[16:17], s[8:9]
.LBB1_39:                               ;   Parent Loop BB1_30 Depth=1
                                        ; =>  This Inner Loop Header: Depth=2
	global_load_ubyte v2, v3, s[16:17]
	s_waitcnt vmcnt(0)
	v_and_b32_e32 v2, 0xffff, v2
	v_lshlrev_b64 v[10:11], s4, v[2:3]
	s_add_u32 s4, s4, 8
	s_addc_u32 s5, s5, 0
	s_add_u32 s16, s16, 1
	s_addc_u32 s17, s17, 0
	s_cmp_lg_u32 s14, s4
	v_or_b32_e32 v8, v10, v8
	v_or_b32_e32 v9, v11, v9
	s_cbranch_scc1 .LBB1_39
.LBB1_40:                               ;   in Loop: Header=BB1_30 Depth=1
	s_mov_b32 s19, 0
	s_mov_b64 s[4:5], s[8:9]
	s_cbranch_execnz .LBB1_32
.LBB1_41:                               ;   in Loop: Header=BB1_30 Depth=1
	global_load_dwordx2 v[8:9], v3, s[8:9]
	s_add_i32 s19, s12, -8
	s_add_u32 s4, s8, 8
	s_addc_u32 s5, s9, 0
	s_cmp_gt_u32 s19, 7
	s_cbranch_scc0 .LBB1_33
.LBB1_42:                               ;   in Loop: Header=BB1_30 Depth=1
                                        ; implicit-def: $vgpr10_vgpr11
                                        ; implicit-def: $sgpr20
.LBB1_43:                               ;   in Loop: Header=BB1_30 Depth=1
	global_load_dwordx2 v[10:11], v3, s[4:5]
	s_add_i32 s20, s19, -8
	s_add_u32 s4, s4, 8
	s_addc_u32 s5, s5, 0
.LBB1_44:                               ;   in Loop: Header=BB1_30 Depth=1
	s_cmp_gt_u32 s20, 7
	s_cbranch_scc1 .LBB1_49
; %bb.45:                               ;   in Loop: Header=BB1_30 Depth=1
	v_mov_b32_e32 v12, 0
	v_mov_b32_e32 v13, 0
	s_cmp_eq_u32 s20, 0
	s_cbranch_scc1 .LBB1_48
; %bb.46:                               ;   in Loop: Header=BB1_30 Depth=1
	s_mov_b64 s[14:15], 0
	s_mov_b64 s[16:17], 0
.LBB1_47:                               ;   Parent Loop BB1_30 Depth=1
                                        ; =>  This Inner Loop Header: Depth=2
	s_add_u32 s22, s4, s16
	s_addc_u32 s23, s5, s17
	s_add_u32 s16, s16, 1
	global_load_ubyte v2, v3, s[22:23]
	s_addc_u32 s17, s17, 0
	s_waitcnt vmcnt(0)
	v_and_b32_e32 v2, 0xffff, v2
	v_lshlrev_b64 v[14:15], s14, v[2:3]
	s_add_u32 s14, s14, 8
	s_addc_u32 s15, s15, 0
	s_cmp_lg_u32 s20, s16
	v_or_b32_e32 v12, v14, v12
	v_or_b32_e32 v13, v15, v13
	s_cbranch_scc1 .LBB1_47
.LBB1_48:                               ;   in Loop: Header=BB1_30 Depth=1
	s_mov_b32 s19, 0
	s_cbranch_execz .LBB1_50
	s_branch .LBB1_51
.LBB1_49:                               ;   in Loop: Header=BB1_30 Depth=1
                                        ; implicit-def: $sgpr19
.LBB1_50:                               ;   in Loop: Header=BB1_30 Depth=1
	global_load_dwordx2 v[12:13], v3, s[4:5]
	s_add_i32 s19, s20, -8
	s_add_u32 s4, s4, 8
	s_addc_u32 s5, s5, 0
.LBB1_51:                               ;   in Loop: Header=BB1_30 Depth=1
	s_cmp_gt_u32 s19, 7
	s_cbranch_scc1 .LBB1_56
; %bb.52:                               ;   in Loop: Header=BB1_30 Depth=1
	v_mov_b32_e32 v14, 0
	v_mov_b32_e32 v15, 0
	s_cmp_eq_u32 s19, 0
	s_cbranch_scc1 .LBB1_55
; %bb.53:                               ;   in Loop: Header=BB1_30 Depth=1
	s_mov_b64 s[14:15], 0
	s_mov_b64 s[16:17], 0
.LBB1_54:                               ;   Parent Loop BB1_30 Depth=1
                                        ; =>  This Inner Loop Header: Depth=2
	s_add_u32 s20, s4, s16
	s_addc_u32 s21, s5, s17
	s_add_u32 s16, s16, 1
	global_load_ubyte v2, v3, s[20:21]
	s_addc_u32 s17, s17, 0
	s_waitcnt vmcnt(0)
	v_and_b32_e32 v2, 0xffff, v2
	v_lshlrev_b64 v[16:17], s14, v[2:3]
	s_add_u32 s14, s14, 8
	s_addc_u32 s15, s15, 0
	s_cmp_lg_u32 s19, s16
	v_or_b32_e32 v14, v16, v14
	v_or_b32_e32 v15, v17, v15
	s_cbranch_scc1 .LBB1_54
.LBB1_55:                               ;   in Loop: Header=BB1_30 Depth=1
	s_mov_b32 s20, 0
	s_cbranch_execz .LBB1_57
	s_branch .LBB1_58
.LBB1_56:                               ;   in Loop: Header=BB1_30 Depth=1
                                        ; implicit-def: $vgpr14_vgpr15
                                        ; implicit-def: $sgpr20
.LBB1_57:                               ;   in Loop: Header=BB1_30 Depth=1
	global_load_dwordx2 v[14:15], v3, s[4:5]
	s_add_i32 s20, s19, -8
	s_add_u32 s4, s4, 8
	s_addc_u32 s5, s5, 0
.LBB1_58:                               ;   in Loop: Header=BB1_30 Depth=1
	s_cmp_gt_u32 s20, 7
	s_cbranch_scc1 .LBB1_63
; %bb.59:                               ;   in Loop: Header=BB1_30 Depth=1
	v_mov_b32_e32 v16, 0
	v_mov_b32_e32 v17, 0
	s_cmp_eq_u32 s20, 0
	s_cbranch_scc1 .LBB1_62
; %bb.60:                               ;   in Loop: Header=BB1_30 Depth=1
	s_mov_b64 s[14:15], 0
	s_mov_b64 s[16:17], 0
.LBB1_61:                               ;   Parent Loop BB1_30 Depth=1
                                        ; =>  This Inner Loop Header: Depth=2
	s_add_u32 s22, s4, s16
	s_addc_u32 s23, s5, s17
	s_add_u32 s16, s16, 1
	global_load_ubyte v2, v3, s[22:23]
	s_addc_u32 s17, s17, 0
	s_waitcnt vmcnt(0)
	v_and_b32_e32 v2, 0xffff, v2
	v_lshlrev_b64 v[18:19], s14, v[2:3]
	s_add_u32 s14, s14, 8
	s_addc_u32 s15, s15, 0
	s_cmp_lg_u32 s20, s16
	v_or_b32_e32 v16, v18, v16
	v_or_b32_e32 v17, v19, v17
	s_cbranch_scc1 .LBB1_61
.LBB1_62:                               ;   in Loop: Header=BB1_30 Depth=1
	s_mov_b32 s19, 0
	s_cbranch_execz .LBB1_64
	s_branch .LBB1_65
.LBB1_63:                               ;   in Loop: Header=BB1_30 Depth=1
                                        ; implicit-def: $sgpr19
.LBB1_64:                               ;   in Loop: Header=BB1_30 Depth=1
	global_load_dwordx2 v[16:17], v3, s[4:5]
	s_add_i32 s19, s20, -8
	s_add_u32 s4, s4, 8
	s_addc_u32 s5, s5, 0
.LBB1_65:                               ;   in Loop: Header=BB1_30 Depth=1
	s_cmp_gt_u32 s19, 7
	s_cbranch_scc1 .LBB1_70
; %bb.66:                               ;   in Loop: Header=BB1_30 Depth=1
	v_mov_b32_e32 v18, 0
	v_mov_b32_e32 v19, 0
	s_cmp_eq_u32 s19, 0
	s_cbranch_scc1 .LBB1_69
; %bb.67:                               ;   in Loop: Header=BB1_30 Depth=1
	s_mov_b64 s[14:15], 0
	s_mov_b64 s[16:17], 0
.LBB1_68:                               ;   Parent Loop BB1_30 Depth=1
                                        ; =>  This Inner Loop Header: Depth=2
	s_add_u32 s20, s4, s16
	s_addc_u32 s21, s5, s17
	s_add_u32 s16, s16, 1
	global_load_ubyte v2, v3, s[20:21]
	s_addc_u32 s17, s17, 0
	s_waitcnt vmcnt(0)
	v_and_b32_e32 v2, 0xffff, v2
	v_lshlrev_b64 v[20:21], s14, v[2:3]
	s_add_u32 s14, s14, 8
	s_addc_u32 s15, s15, 0
	s_cmp_lg_u32 s19, s16
	v_or_b32_e32 v18, v20, v18
	v_or_b32_e32 v19, v21, v19
	s_cbranch_scc1 .LBB1_68
.LBB1_69:                               ;   in Loop: Header=BB1_30 Depth=1
	s_mov_b32 s20, 0
	s_cbranch_execz .LBB1_71
	s_branch .LBB1_72
.LBB1_70:                               ;   in Loop: Header=BB1_30 Depth=1
                                        ; implicit-def: $vgpr18_vgpr19
                                        ; implicit-def: $sgpr20
.LBB1_71:                               ;   in Loop: Header=BB1_30 Depth=1
	global_load_dwordx2 v[18:19], v3, s[4:5]
	s_add_i32 s20, s19, -8
	s_add_u32 s4, s4, 8
	s_addc_u32 s5, s5, 0
.LBB1_72:                               ;   in Loop: Header=BB1_30 Depth=1
	s_cmp_gt_u32 s20, 7
	s_cbranch_scc1 .LBB1_77
; %bb.73:                               ;   in Loop: Header=BB1_30 Depth=1
	v_mov_b32_e32 v20, 0
	v_mov_b32_e32 v21, 0
	s_cmp_eq_u32 s20, 0
	s_cbranch_scc1 .LBB1_76
; %bb.74:                               ;   in Loop: Header=BB1_30 Depth=1
	s_mov_b64 s[14:15], 0
	s_mov_b64 s[16:17], s[4:5]
.LBB1_75:                               ;   Parent Loop BB1_30 Depth=1
                                        ; =>  This Inner Loop Header: Depth=2
	global_load_ubyte v2, v3, s[16:17]
	s_add_i32 s20, s20, -1
	s_waitcnt vmcnt(0)
	v_and_b32_e32 v2, 0xffff, v2
	v_lshlrev_b64 v[22:23], s14, v[2:3]
	s_add_u32 s14, s14, 8
	s_addc_u32 s15, s15, 0
	s_add_u32 s16, s16, 1
	s_addc_u32 s17, s17, 0
	s_cmp_lg_u32 s20, 0
	v_or_b32_e32 v20, v22, v20
	v_or_b32_e32 v21, v23, v21
	s_cbranch_scc1 .LBB1_75
.LBB1_76:                               ;   in Loop: Header=BB1_30 Depth=1
	s_cbranch_execz .LBB1_78
	s_branch .LBB1_79
.LBB1_77:                               ;   in Loop: Header=BB1_30 Depth=1
.LBB1_78:                               ;   in Loop: Header=BB1_30 Depth=1
	global_load_dwordx2 v[20:21], v3, s[4:5]
.LBB1_79:                               ;   in Loop: Header=BB1_30 Depth=1
	v_readfirstlane_b32 s4, v28
	v_mov_b32_e32 v26, 0
	v_mov_b32_e32 v27, 0
	v_cmp_eq_u32_e64 s4, s4, v28
	s_and_saveexec_b32 s5, s4
	s_cbranch_execz .LBB1_85
; %bb.80:                               ;   in Loop: Header=BB1_30 Depth=1
	global_load_dwordx2 v[24:25], v3, s[6:7] offset:24 glc dlc
	s_waitcnt vmcnt(0)
	buffer_gl1_inv
	buffer_gl0_inv
	s_clause 0x1
	global_load_dwordx2 v[22:23], v3, s[6:7] offset:40
	global_load_dwordx2 v[26:27], v3, s[6:7]
	s_mov_b32 s14, exec_lo
	s_waitcnt vmcnt(1)
	v_and_b32_e32 v2, v23, v25
	v_and_b32_e32 v22, v22, v24
	v_mul_lo_u32 v2, v2, 24
	v_mul_hi_u32 v23, v22, 24
	v_mul_lo_u32 v22, v22, 24
	v_add_nc_u32_e32 v2, v23, v2
	s_waitcnt vmcnt(0)
	v_add_co_u32 v22, vcc_lo, v26, v22
	v_add_co_ci_u32_e32 v23, vcc_lo, v27, v2, vcc_lo
	global_load_dwordx2 v[22:23], v[22:23], off glc dlc
	s_waitcnt vmcnt(0)
	global_atomic_cmpswap_x2 v[26:27], v3, v[22:25], s[6:7] offset:24 glc
	s_waitcnt vmcnt(0)
	buffer_gl1_inv
	buffer_gl0_inv
	v_cmpx_ne_u64_e64 v[26:27], v[24:25]
	s_cbranch_execz .LBB1_84
; %bb.81:                               ;   in Loop: Header=BB1_30 Depth=1
	s_mov_b32 s15, 0
	.p2align	6
.LBB1_82:                               ;   Parent Loop BB1_30 Depth=1
                                        ; =>  This Inner Loop Header: Depth=2
	s_sleep 1
	s_clause 0x1
	global_load_dwordx2 v[22:23], v3, s[6:7] offset:40
	global_load_dwordx2 v[30:31], v3, s[6:7]
	v_mov_b32_e32 v24, v26
	v_mov_b32_e32 v25, v27
	s_waitcnt vmcnt(1)
	v_and_b32_e32 v2, v22, v24
	v_and_b32_e32 v22, v23, v25
	s_waitcnt vmcnt(0)
	v_mad_u64_u32 v[26:27], null, v2, 24, v[30:31]
	v_mov_b32_e32 v2, v27
	v_mad_u64_u32 v[22:23], null, v22, 24, v[2:3]
	v_mov_b32_e32 v27, v22
	global_load_dwordx2 v[22:23], v[26:27], off glc dlc
	s_waitcnt vmcnt(0)
	global_atomic_cmpswap_x2 v[26:27], v3, v[22:25], s[6:7] offset:24 glc
	s_waitcnt vmcnt(0)
	buffer_gl1_inv
	buffer_gl0_inv
	v_cmp_eq_u64_e32 vcc_lo, v[26:27], v[24:25]
	s_or_b32 s15, vcc_lo, s15
	s_andn2_b32 exec_lo, exec_lo, s15
	s_cbranch_execnz .LBB1_82
; %bb.83:                               ;   in Loop: Header=BB1_30 Depth=1
	s_or_b32 exec_lo, exec_lo, s15
.LBB1_84:                               ;   in Loop: Header=BB1_30 Depth=1
	s_or_b32 exec_lo, exec_lo, s14
.LBB1_85:                               ;   in Loop: Header=BB1_30 Depth=1
	s_or_b32 exec_lo, exec_lo, s5
	s_clause 0x1
	global_load_dwordx2 v[30:31], v3, s[6:7] offset:40
	global_load_dwordx4 v[22:25], v3, s[6:7]
	v_readfirstlane_b32 s14, v26
	v_readfirstlane_b32 s15, v27
	s_mov_b32 s5, exec_lo
	s_waitcnt vmcnt(1)
	v_readfirstlane_b32 s16, v30
	v_readfirstlane_b32 s17, v31
	s_and_b64 s[16:17], s[14:15], s[16:17]
	s_mul_i32 s19, s17, 24
	s_mul_hi_u32 s20, s16, 24
	s_mul_i32 s21, s16, 24
	s_add_i32 s20, s20, s19
	s_waitcnt vmcnt(0)
	v_add_co_u32 v26, vcc_lo, v22, s21
	v_add_co_ci_u32_e32 v27, vcc_lo, s20, v23, vcc_lo
	s_and_saveexec_b32 s19, s4
	s_cbranch_execz .LBB1_87
; %bb.86:                               ;   in Loop: Header=BB1_30 Depth=1
	v_mov_b32_e32 v2, s5
	global_store_dwordx4 v[26:27], v[2:5], off offset:8
.LBB1_87:                               ;   in Loop: Header=BB1_30 Depth=1
	s_or_b32 exec_lo, exec_lo, s19
	s_lshl_b64 s[16:17], s[16:17], 12
	v_or_b32_e32 v2, 2, v6
	v_add_co_u32 v24, vcc_lo, v24, s16
	v_add_co_ci_u32_e32 v25, vcc_lo, s17, v25, vcc_lo
	v_cmp_gt_u64_e64 vcc_lo, s[10:11], 56
	s_lshl_b32 s5, s12, 2
	v_readfirstlane_b32 s16, v24
	s_add_i32 s5, s5, 28
	v_readfirstlane_b32 s17, v25
	s_and_b32 s5, s5, 0x1e0
	v_cndmask_b32_e32 v2, v2, v6, vcc_lo
	v_and_or_b32 v6, 0xffffff1f, v2, s5
	global_store_dwordx4 v29, v[10:13], s[16:17] offset:16
	global_store_dwordx4 v29, v[6:9], s[16:17]
	global_store_dwordx4 v29, v[14:17], s[16:17] offset:32
	global_store_dwordx4 v29, v[18:21], s[16:17] offset:48
	s_and_saveexec_b32 s5, s4
	s_cbranch_execz .LBB1_95
; %bb.88:                               ;   in Loop: Header=BB1_30 Depth=1
	s_clause 0x1
	global_load_dwordx2 v[14:15], v3, s[6:7] offset:32 glc dlc
	global_load_dwordx2 v[6:7], v3, s[6:7] offset:40
	v_mov_b32_e32 v12, s14
	v_mov_b32_e32 v13, s15
	s_waitcnt vmcnt(0)
	v_readfirstlane_b32 s16, v6
	v_readfirstlane_b32 s17, v7
	s_and_b64 s[16:17], s[16:17], s[14:15]
	s_mul_i32 s17, s17, 24
	s_mul_hi_u32 s19, s16, 24
	s_mul_i32 s16, s16, 24
	s_add_i32 s19, s19, s17
	v_add_co_u32 v10, vcc_lo, v22, s16
	v_add_co_ci_u32_e32 v11, vcc_lo, s19, v23, vcc_lo
	s_mov_b32 s16, exec_lo
	global_store_dwordx2 v[10:11], v[14:15], off
	s_waitcnt_vscnt null, 0x0
	global_atomic_cmpswap_x2 v[8:9], v3, v[12:15], s[6:7] offset:32 glc
	s_waitcnt vmcnt(0)
	v_cmpx_ne_u64_e64 v[8:9], v[14:15]
	s_cbranch_execz .LBB1_91
; %bb.89:                               ;   in Loop: Header=BB1_30 Depth=1
	s_mov_b32 s17, 0
.LBB1_90:                               ;   Parent Loop BB1_30 Depth=1
                                        ; =>  This Inner Loop Header: Depth=2
	v_mov_b32_e32 v6, s14
	v_mov_b32_e32 v7, s15
	s_sleep 1
	global_store_dwordx2 v[10:11], v[8:9], off
	s_waitcnt_vscnt null, 0x0
	global_atomic_cmpswap_x2 v[6:7], v3, v[6:9], s[6:7] offset:32 glc
	s_waitcnt vmcnt(0)
	v_cmp_eq_u64_e32 vcc_lo, v[6:7], v[8:9]
	v_mov_b32_e32 v9, v7
	v_mov_b32_e32 v8, v6
	s_or_b32 s17, vcc_lo, s17
	s_andn2_b32 exec_lo, exec_lo, s17
	s_cbranch_execnz .LBB1_90
.LBB1_91:                               ;   in Loop: Header=BB1_30 Depth=1
	s_or_b32 exec_lo, exec_lo, s16
	global_load_dwordx2 v[6:7], v3, s[6:7] offset:16
	s_mov_b32 s17, exec_lo
	s_mov_b32 s16, exec_lo
	v_mbcnt_lo_u32_b32 v2, s17, 0
	v_cmpx_eq_u32_e32 0, v2
	s_cbranch_execz .LBB1_93
; %bb.92:                               ;   in Loop: Header=BB1_30 Depth=1
	s_bcnt1_i32_b32 s17, s17
	v_mov_b32_e32 v2, s17
	s_waitcnt vmcnt(0)
	global_atomic_add_x2 v[6:7], v[2:3], off offset:8
.LBB1_93:                               ;   in Loop: Header=BB1_30 Depth=1
	s_or_b32 exec_lo, exec_lo, s16
	s_waitcnt vmcnt(0)
	global_load_dwordx2 v[8:9], v[6:7], off offset:16
	s_waitcnt vmcnt(0)
	v_cmp_eq_u64_e32 vcc_lo, 0, v[8:9]
	s_cbranch_vccnz .LBB1_95
; %bb.94:                               ;   in Loop: Header=BB1_30 Depth=1
	global_load_dword v2, v[6:7], off offset:24
	s_waitcnt vmcnt(0)
	v_and_b32_e32 v6, 0x7fffff, v2
	s_waitcnt_vscnt null, 0x0
	global_store_dwordx2 v[8:9], v[2:3], off
	v_readfirstlane_b32 m0, v6
	s_sendmsg sendmsg(MSG_INTERRUPT)
.LBB1_95:                               ;   in Loop: Header=BB1_30 Depth=1
	s_or_b32 exec_lo, exec_lo, s5
	v_add_co_u32 v6, vcc_lo, v24, v29
	v_add_co_ci_u32_e32 v7, vcc_lo, 0, v25, vcc_lo
	s_branch .LBB1_99
	.p2align	6
.LBB1_96:                               ;   in Loop: Header=BB1_99 Depth=2
	s_or_b32 exec_lo, exec_lo, s5
	v_readfirstlane_b32 s5, v2
	s_cmp_eq_u32 s5, 0
	s_cbranch_scc1 .LBB1_98
; %bb.97:                               ;   in Loop: Header=BB1_99 Depth=2
	s_sleep 1
	s_cbranch_execnz .LBB1_99
	s_branch .LBB1_101
	.p2align	6
.LBB1_98:                               ;   in Loop: Header=BB1_30 Depth=1
	s_branch .LBB1_101
.LBB1_99:                               ;   Parent Loop BB1_30 Depth=1
                                        ; =>  This Inner Loop Header: Depth=2
	v_mov_b32_e32 v2, 1
	s_and_saveexec_b32 s5, s4
	s_cbranch_execz .LBB1_96
; %bb.100:                              ;   in Loop: Header=BB1_99 Depth=2
	global_load_dword v2, v[26:27], off offset:20 glc dlc
	s_waitcnt vmcnt(0)
	buffer_gl1_inv
	buffer_gl0_inv
	v_and_b32_e32 v2, 1, v2
	s_branch .LBB1_96
.LBB1_101:                              ;   in Loop: Header=BB1_30 Depth=1
	global_load_dwordx4 v[6:9], v[6:7], off
	s_and_saveexec_b32 s5, s4
	s_cbranch_execz .LBB1_29
; %bb.102:                              ;   in Loop: Header=BB1_30 Depth=1
	s_clause 0x2
	global_load_dwordx2 v[10:11], v3, s[6:7] offset:40
	global_load_dwordx2 v[14:15], v3, s[6:7] offset:24 glc dlc
	global_load_dwordx2 v[12:13], v3, s[6:7]
	s_waitcnt vmcnt(2)
	v_add_co_u32 v2, vcc_lo, v10, 1
	v_add_co_ci_u32_e32 v16, vcc_lo, 0, v11, vcc_lo
	v_add_co_u32 v8, vcc_lo, v2, s14
	v_add_co_ci_u32_e32 v9, vcc_lo, s15, v16, vcc_lo
	v_cmp_eq_u64_e32 vcc_lo, 0, v[8:9]
	v_cndmask_b32_e32 v9, v9, v16, vcc_lo
	v_cndmask_b32_e32 v8, v8, v2, vcc_lo
	v_and_b32_e32 v2, v9, v11
	v_and_b32_e32 v10, v8, v10
	v_mul_lo_u32 v2, v2, 24
	v_mul_hi_u32 v11, v10, 24
	v_mul_lo_u32 v10, v10, 24
	v_add_nc_u32_e32 v2, v11, v2
	s_waitcnt vmcnt(0)
	v_add_co_u32 v12, vcc_lo, v12, v10
	v_mov_b32_e32 v10, v14
	v_mov_b32_e32 v11, v15
	v_add_co_ci_u32_e32 v13, vcc_lo, v13, v2, vcc_lo
	global_store_dwordx2 v[12:13], v[14:15], off
	s_waitcnt_vscnt null, 0x0
	global_atomic_cmpswap_x2 v[10:11], v3, v[8:11], s[6:7] offset:24 glc
	s_waitcnt vmcnt(0)
	v_cmp_ne_u64_e32 vcc_lo, v[10:11], v[14:15]
	s_and_b32 exec_lo, exec_lo, vcc_lo
	s_cbranch_execz .LBB1_29
; %bb.103:                              ;   in Loop: Header=BB1_30 Depth=1
	s_mov_b32 s4, 0
.LBB1_104:                              ;   Parent Loop BB1_30 Depth=1
                                        ; =>  This Inner Loop Header: Depth=2
	s_sleep 1
	global_store_dwordx2 v[12:13], v[10:11], off
	s_waitcnt_vscnt null, 0x0
	global_atomic_cmpswap_x2 v[14:15], v3, v[8:11], s[6:7] offset:24 glc
	s_waitcnt vmcnt(0)
	v_cmp_eq_u64_e32 vcc_lo, v[14:15], v[10:11]
	v_mov_b32_e32 v10, v14
	v_mov_b32_e32 v11, v15
	s_or_b32 s4, vcc_lo, s4
	s_andn2_b32 exec_lo, exec_lo, s4
	s_cbranch_execnz .LBB1_104
	s_branch .LBB1_29
.LBB1_105:
.LBB1_106:
	s_andn2_saveexec_b32 s18, s18
	s_cbranch_execz .LBB1_212
.LBB1_107:
	v_readfirstlane_b32 s4, v28
	s_waitcnt vmcnt(0)
	v_mov_b32_e32 v6, 0
	v_mov_b32_e32 v7, 0
	v_cmp_eq_u32_e64 s4, s4, v28
	s_and_saveexec_b32 s5, s4
	s_cbranch_execz .LBB1_113
; %bb.108:
	v_mov_b32_e32 v0, 0
	s_mov_b32 s8, exec_lo
	s_waitcnt lgkmcnt(0)
	global_load_dwordx2 v[3:4], v0, s[6:7] offset:24 glc dlc
	s_waitcnt vmcnt(0)
	buffer_gl1_inv
	buffer_gl0_inv
	s_clause 0x1
	global_load_dwordx2 v[1:2], v0, s[6:7] offset:40
	global_load_dwordx2 v[5:6], v0, s[6:7]
	s_waitcnt vmcnt(1)
	v_and_b32_e32 v2, v2, v4
	v_and_b32_e32 v1, v1, v3
	v_mul_lo_u32 v2, v2, 24
	v_mul_hi_u32 v7, v1, 24
	v_mul_lo_u32 v1, v1, 24
	v_add_nc_u32_e32 v2, v7, v2
	s_waitcnt vmcnt(0)
	v_add_co_u32 v1, vcc_lo, v5, v1
	v_add_co_ci_u32_e32 v2, vcc_lo, v6, v2, vcc_lo
	global_load_dwordx2 v[1:2], v[1:2], off glc dlc
	s_waitcnt vmcnt(0)
	global_atomic_cmpswap_x2 v[6:7], v0, v[1:4], s[6:7] offset:24 glc
	s_waitcnt vmcnt(0)
	buffer_gl1_inv
	buffer_gl0_inv
	v_cmpx_ne_u64_e64 v[6:7], v[3:4]
	s_cbranch_execz .LBB1_112
; %bb.109:
	s_mov_b32 s9, 0
	.p2align	6
.LBB1_110:                              ; =>This Inner Loop Header: Depth=1
	s_sleep 1
	s_clause 0x1
	global_load_dwordx2 v[1:2], v0, s[6:7] offset:40
	global_load_dwordx2 v[8:9], v0, s[6:7]
	v_mov_b32_e32 v3, v6
	v_mov_b32_e32 v4, v7
	s_waitcnt vmcnt(1)
	v_and_b32_e32 v1, v1, v3
	v_and_b32_e32 v2, v2, v4
	s_waitcnt vmcnt(0)
	v_mad_u64_u32 v[5:6], null, v1, 24, v[8:9]
	v_mov_b32_e32 v1, v6
	v_mad_u64_u32 v[1:2], null, v2, 24, v[1:2]
	v_mov_b32_e32 v6, v1
	global_load_dwordx2 v[1:2], v[5:6], off glc dlc
	s_waitcnt vmcnt(0)
	global_atomic_cmpswap_x2 v[6:7], v0, v[1:4], s[6:7] offset:24 glc
	s_waitcnt vmcnt(0)
	buffer_gl1_inv
	buffer_gl0_inv
	v_cmp_eq_u64_e32 vcc_lo, v[6:7], v[3:4]
	s_or_b32 s9, vcc_lo, s9
	s_andn2_b32 exec_lo, exec_lo, s9
	s_cbranch_execnz .LBB1_110
; %bb.111:
	s_or_b32 exec_lo, exec_lo, s9
.LBB1_112:
	s_or_b32 exec_lo, exec_lo, s8
.LBB1_113:
	s_or_b32 exec_lo, exec_lo, s5
	v_mov_b32_e32 v5, 0
	v_readfirstlane_b32 s8, v6
	v_readfirstlane_b32 s9, v7
	s_mov_b32 s5, exec_lo
	s_waitcnt lgkmcnt(0)
	s_clause 0x1
	global_load_dwordx2 v[8:9], v5, s[6:7] offset:40
	global_load_dwordx4 v[0:3], v5, s[6:7]
	s_waitcnt vmcnt(1)
	v_readfirstlane_b32 s10, v8
	v_readfirstlane_b32 s11, v9
	s_and_b64 s[10:11], s[8:9], s[10:11]
	s_mul_i32 s12, s11, 24
	s_mul_hi_u32 s13, s10, 24
	s_mul_i32 s14, s10, 24
	s_add_i32 s13, s13, s12
	s_waitcnt vmcnt(0)
	v_add_co_u32 v8, vcc_lo, v0, s14
	v_add_co_ci_u32_e32 v9, vcc_lo, s13, v1, vcc_lo
	s_and_saveexec_b32 s12, s4
	s_cbranch_execz .LBB1_115
; %bb.114:
	v_mov_b32_e32 v4, s5
	v_mov_b32_e32 v6, 2
	;; [unrolled: 1-line block ×3, first 2 shown]
	global_store_dwordx4 v[8:9], v[4:7], off offset:8
.LBB1_115:
	s_or_b32 exec_lo, exec_lo, s12
	s_lshl_b64 s[10:11], s[10:11], 12
	v_lshlrev_b32_e32 v29, 6, v28
	v_add_co_u32 v2, vcc_lo, v2, s10
	v_add_co_ci_u32_e32 v3, vcc_lo, s11, v3, vcc_lo
	s_mov_b32 s12, 0
	v_add_co_u32 v10, vcc_lo, v2, v29
	s_mov_b32 s13, s12
	s_mov_b32 s14, s12
	;; [unrolled: 1-line block ×3, first 2 shown]
	v_mov_b32_e32 v4, 33
	v_mov_b32_e32 v6, v5
	;; [unrolled: 1-line block ×3, first 2 shown]
	v_readfirstlane_b32 s10, v2
	v_readfirstlane_b32 s11, v3
	v_mov_b32_e32 v12, s12
	v_add_co_ci_u32_e32 v11, vcc_lo, 0, v3, vcc_lo
	v_mov_b32_e32 v13, s13
	v_mov_b32_e32 v14, s14
	;; [unrolled: 1-line block ×3, first 2 shown]
	global_store_dwordx4 v29, v[4:7], s[10:11]
	global_store_dwordx4 v29, v[12:15], s[10:11] offset:16
	global_store_dwordx4 v29, v[12:15], s[10:11] offset:32
	;; [unrolled: 1-line block ×3, first 2 shown]
	s_and_saveexec_b32 s5, s4
	s_cbranch_execz .LBB1_123
; %bb.116:
	v_mov_b32_e32 v6, 0
	v_mov_b32_e32 v12, s8
	;; [unrolled: 1-line block ×3, first 2 shown]
	s_mov_b32 s10, exec_lo
	s_clause 0x1
	global_load_dwordx2 v[14:15], v6, s[6:7] offset:32 glc dlc
	global_load_dwordx2 v[2:3], v6, s[6:7] offset:40
	s_waitcnt vmcnt(0)
	v_and_b32_e32 v3, s9, v3
	v_and_b32_e32 v2, s8, v2
	v_mul_lo_u32 v3, v3, 24
	v_mul_hi_u32 v4, v2, 24
	v_mul_lo_u32 v2, v2, 24
	v_add_nc_u32_e32 v3, v4, v3
	v_add_co_u32 v4, vcc_lo, v0, v2
	v_add_co_ci_u32_e32 v5, vcc_lo, v1, v3, vcc_lo
	global_store_dwordx2 v[4:5], v[14:15], off
	s_waitcnt_vscnt null, 0x0
	global_atomic_cmpswap_x2 v[2:3], v6, v[12:15], s[6:7] offset:32 glc
	s_waitcnt vmcnt(0)
	v_cmpx_ne_u64_e64 v[2:3], v[14:15]
	s_cbranch_execz .LBB1_119
; %bb.117:
	s_mov_b32 s11, 0
.LBB1_118:                              ; =>This Inner Loop Header: Depth=1
	v_mov_b32_e32 v0, s8
	v_mov_b32_e32 v1, s9
	s_sleep 1
	global_store_dwordx2 v[4:5], v[2:3], off
	s_waitcnt_vscnt null, 0x0
	global_atomic_cmpswap_x2 v[0:1], v6, v[0:3], s[6:7] offset:32 glc
	s_waitcnt vmcnt(0)
	v_cmp_eq_u64_e32 vcc_lo, v[0:1], v[2:3]
	v_mov_b32_e32 v3, v1
	v_mov_b32_e32 v2, v0
	s_or_b32 s11, vcc_lo, s11
	s_andn2_b32 exec_lo, exec_lo, s11
	s_cbranch_execnz .LBB1_118
.LBB1_119:
	s_or_b32 exec_lo, exec_lo, s10
	v_mov_b32_e32 v3, 0
	s_mov_b32 s11, exec_lo
	s_mov_b32 s10, exec_lo
	v_mbcnt_lo_u32_b32 v2, s11, 0
	global_load_dwordx2 v[0:1], v3, s[6:7] offset:16
	v_cmpx_eq_u32_e32 0, v2
	s_cbranch_execz .LBB1_121
; %bb.120:
	s_bcnt1_i32_b32 s11, s11
	v_mov_b32_e32 v2, s11
	s_waitcnt vmcnt(0)
	global_atomic_add_x2 v[0:1], v[2:3], off offset:8
.LBB1_121:
	s_or_b32 exec_lo, exec_lo, s10
	s_waitcnt vmcnt(0)
	global_load_dwordx2 v[2:3], v[0:1], off offset:16
	s_waitcnt vmcnt(0)
	v_cmp_eq_u64_e32 vcc_lo, 0, v[2:3]
	s_cbranch_vccnz .LBB1_123
; %bb.122:
	global_load_dword v0, v[0:1], off offset:24
	v_mov_b32_e32 v1, 0
	s_waitcnt vmcnt(0)
	v_and_b32_e32 v4, 0x7fffff, v0
	s_waitcnt_vscnt null, 0x0
	global_store_dwordx2 v[2:3], v[0:1], off
	v_readfirstlane_b32 m0, v4
	s_sendmsg sendmsg(MSG_INTERRUPT)
.LBB1_123:
	s_or_b32 exec_lo, exec_lo, s5
	s_branch .LBB1_127
	.p2align	6
.LBB1_124:                              ;   in Loop: Header=BB1_127 Depth=1
	s_or_b32 exec_lo, exec_lo, s5
	v_readfirstlane_b32 s5, v0
	s_cmp_eq_u32 s5, 0
	s_cbranch_scc1 .LBB1_126
; %bb.125:                              ;   in Loop: Header=BB1_127 Depth=1
	s_sleep 1
	s_cbranch_execnz .LBB1_127
	s_branch .LBB1_129
	.p2align	6
.LBB1_126:
	s_branch .LBB1_129
.LBB1_127:                              ; =>This Inner Loop Header: Depth=1
	v_mov_b32_e32 v0, 1
	s_and_saveexec_b32 s5, s4
	s_cbranch_execz .LBB1_124
; %bb.128:                              ;   in Loop: Header=BB1_127 Depth=1
	global_load_dword v0, v[8:9], off offset:20 glc dlc
	s_waitcnt vmcnt(0)
	buffer_gl1_inv
	buffer_gl0_inv
	v_and_b32_e32 v0, 1, v0
	s_branch .LBB1_124
.LBB1_129:
	global_load_dwordx2 v[0:1], v[10:11], off
	s_and_saveexec_b32 s5, s4
	s_cbranch_execz .LBB1_133
; %bb.130:
	v_mov_b32_e32 v8, 0
	s_clause 0x2
	global_load_dwordx2 v[4:5], v8, s[6:7] offset:40
	global_load_dwordx2 v[9:10], v8, s[6:7] offset:24 glc dlc
	global_load_dwordx2 v[6:7], v8, s[6:7]
	s_waitcnt vmcnt(2)
	v_add_co_u32 v11, vcc_lo, v4, 1
	v_add_co_ci_u32_e32 v12, vcc_lo, 0, v5, vcc_lo
	v_add_co_u32 v2, vcc_lo, v11, s8
	v_add_co_ci_u32_e32 v3, vcc_lo, s9, v12, vcc_lo
	v_cmp_eq_u64_e32 vcc_lo, 0, v[2:3]
	v_cndmask_b32_e32 v3, v3, v12, vcc_lo
	v_cndmask_b32_e32 v2, v2, v11, vcc_lo
	v_and_b32_e32 v5, v3, v5
	v_and_b32_e32 v4, v2, v4
	v_mul_lo_u32 v5, v5, 24
	v_mul_hi_u32 v11, v4, 24
	v_mul_lo_u32 v4, v4, 24
	v_add_nc_u32_e32 v5, v11, v5
	s_waitcnt vmcnt(0)
	v_add_co_u32 v6, vcc_lo, v6, v4
	v_mov_b32_e32 v4, v9
	v_add_co_ci_u32_e32 v7, vcc_lo, v7, v5, vcc_lo
	v_mov_b32_e32 v5, v10
	global_store_dwordx2 v[6:7], v[9:10], off
	s_waitcnt_vscnt null, 0x0
	global_atomic_cmpswap_x2 v[4:5], v8, v[2:5], s[6:7] offset:24 glc
	s_waitcnt vmcnt(0)
	v_cmp_ne_u64_e32 vcc_lo, v[4:5], v[9:10]
	s_and_b32 exec_lo, exec_lo, vcc_lo
	s_cbranch_execz .LBB1_133
; %bb.131:
	s_mov_b32 s4, 0
.LBB1_132:                              ; =>This Inner Loop Header: Depth=1
	s_sleep 1
	global_store_dwordx2 v[6:7], v[4:5], off
	s_waitcnt_vscnt null, 0x0
	global_atomic_cmpswap_x2 v[9:10], v8, v[2:5], s[6:7] offset:24 glc
	s_waitcnt vmcnt(0)
	v_cmp_eq_u64_e32 vcc_lo, v[9:10], v[4:5]
	v_mov_b32_e32 v4, v9
	v_mov_b32_e32 v5, v10
	s_or_b32 s4, vcc_lo, s4
	s_andn2_b32 exec_lo, exec_lo, s4
	s_cbranch_execnz .LBB1_132
.LBB1_133:
	s_or_b32 exec_lo, exec_lo, s5
	s_getpc_b64 s[8:9]
	s_add_u32 s8, s8, .str.12@rel32@lo+4
	s_addc_u32 s9, s9, .str.12@rel32@hi+12
	s_cmp_lg_u64 s[8:9], 0
	s_cbranch_scc0 .LBB1_241
; %bb.134:
	s_waitcnt vmcnt(0)
	v_and_b32_e32 v6, -3, v0
	v_mov_b32_e32 v7, v1
	v_mov_b32_e32 v3, 0
	;; [unrolled: 1-line block ×4, first 2 shown]
	s_mov_b64 s[10:11], 6
	s_branch .LBB1_136
.LBB1_135:                              ;   in Loop: Header=BB1_136 Depth=1
	s_or_b32 exec_lo, exec_lo, s5
	s_sub_u32 s10, s10, s12
	s_subb_u32 s11, s11, s13
	s_add_u32 s8, s8, s12
	s_addc_u32 s9, s9, s13
	s_cmp_eq_u64 s[10:11], 0
	s_cbranch_scc1 .LBB1_211
.LBB1_136:                              ; =>This Loop Header: Depth=1
                                        ;     Child Loop BB1_145 Depth 2
                                        ;     Child Loop BB1_141 Depth 2
                                        ;     Child Loop BB1_153 Depth 2
                                        ;     Child Loop BB1_160 Depth 2
                                        ;     Child Loop BB1_167 Depth 2
                                        ;     Child Loop BB1_174 Depth 2
                                        ;     Child Loop BB1_181 Depth 2
                                        ;     Child Loop BB1_188 Depth 2
                                        ;     Child Loop BB1_196 Depth 2
                                        ;     Child Loop BB1_205 Depth 2
                                        ;     Child Loop BB1_210 Depth 2
	v_cmp_lt_u64_e64 s4, s[10:11], 56
	v_cmp_gt_u64_e64 s5, s[10:11], 7
                                        ; implicit-def: $sgpr19
	s_and_b32 s4, s4, exec_lo
	s_cselect_b32 s13, s11, 0
	s_cselect_b32 s12, s10, 56
	s_and_b32 vcc_lo, exec_lo, s5
	s_mov_b32 s4, -1
	s_cbranch_vccz .LBB1_143
; %bb.137:                              ;   in Loop: Header=BB1_136 Depth=1
	s_andn2_b32 vcc_lo, exec_lo, s4
	s_mov_b64 s[4:5], s[8:9]
	s_cbranch_vccz .LBB1_147
.LBB1_138:                              ;   in Loop: Header=BB1_136 Depth=1
	s_cmp_gt_u32 s19, 7
	s_cbranch_scc1 .LBB1_148
.LBB1_139:                              ;   in Loop: Header=BB1_136 Depth=1
	v_mov_b32_e32 v10, 0
	v_mov_b32_e32 v11, 0
	s_cmp_eq_u32 s19, 0
	s_cbranch_scc1 .LBB1_142
; %bb.140:                              ;   in Loop: Header=BB1_136 Depth=1
	s_mov_b64 s[14:15], 0
	s_mov_b64 s[16:17], 0
.LBB1_141:                              ;   Parent Loop BB1_136 Depth=1
                                        ; =>  This Inner Loop Header: Depth=2
	s_add_u32 s20, s4, s16
	s_addc_u32 s21, s5, s17
	s_add_u32 s16, s16, 1
	global_load_ubyte v2, v3, s[20:21]
	s_addc_u32 s17, s17, 0
	s_waitcnt vmcnt(0)
	v_and_b32_e32 v2, 0xffff, v2
	v_lshlrev_b64 v[12:13], s14, v[2:3]
	s_add_u32 s14, s14, 8
	s_addc_u32 s15, s15, 0
	s_cmp_lg_u32 s19, s16
	v_or_b32_e32 v10, v12, v10
	v_or_b32_e32 v11, v13, v11
	s_cbranch_scc1 .LBB1_141
.LBB1_142:                              ;   in Loop: Header=BB1_136 Depth=1
	s_mov_b32 s20, 0
	s_cbranch_execz .LBB1_149
	s_branch .LBB1_150
.LBB1_143:                              ;   in Loop: Header=BB1_136 Depth=1
	s_waitcnt vmcnt(0)
	v_mov_b32_e32 v8, 0
	v_mov_b32_e32 v9, 0
	s_cmp_eq_u64 s[10:11], 0
	s_mov_b64 s[4:5], 0
	s_cbranch_scc1 .LBB1_146
; %bb.144:                              ;   in Loop: Header=BB1_136 Depth=1
	v_mov_b32_e32 v8, 0
	v_mov_b32_e32 v9, 0
	s_lshl_b64 s[14:15], s[12:13], 3
	s_mov_b64 s[16:17], s[8:9]
.LBB1_145:                              ;   Parent Loop BB1_136 Depth=1
                                        ; =>  This Inner Loop Header: Depth=2
	global_load_ubyte v2, v3, s[16:17]
	s_waitcnt vmcnt(0)
	v_and_b32_e32 v2, 0xffff, v2
	v_lshlrev_b64 v[10:11], s4, v[2:3]
	s_add_u32 s4, s4, 8
	s_addc_u32 s5, s5, 0
	s_add_u32 s16, s16, 1
	s_addc_u32 s17, s17, 0
	s_cmp_lg_u32 s14, s4
	v_or_b32_e32 v8, v10, v8
	v_or_b32_e32 v9, v11, v9
	s_cbranch_scc1 .LBB1_145
.LBB1_146:                              ;   in Loop: Header=BB1_136 Depth=1
	s_mov_b32 s19, 0
	s_mov_b64 s[4:5], s[8:9]
	s_cbranch_execnz .LBB1_138
.LBB1_147:                              ;   in Loop: Header=BB1_136 Depth=1
	global_load_dwordx2 v[8:9], v3, s[8:9]
	s_add_i32 s19, s12, -8
	s_add_u32 s4, s8, 8
	s_addc_u32 s5, s9, 0
	s_cmp_gt_u32 s19, 7
	s_cbranch_scc0 .LBB1_139
.LBB1_148:                              ;   in Loop: Header=BB1_136 Depth=1
                                        ; implicit-def: $vgpr10_vgpr11
                                        ; implicit-def: $sgpr20
.LBB1_149:                              ;   in Loop: Header=BB1_136 Depth=1
	global_load_dwordx2 v[10:11], v3, s[4:5]
	s_add_i32 s20, s19, -8
	s_add_u32 s4, s4, 8
	s_addc_u32 s5, s5, 0
.LBB1_150:                              ;   in Loop: Header=BB1_136 Depth=1
	s_cmp_gt_u32 s20, 7
	s_cbranch_scc1 .LBB1_155
; %bb.151:                              ;   in Loop: Header=BB1_136 Depth=1
	v_mov_b32_e32 v12, 0
	v_mov_b32_e32 v13, 0
	s_cmp_eq_u32 s20, 0
	s_cbranch_scc1 .LBB1_154
; %bb.152:                              ;   in Loop: Header=BB1_136 Depth=1
	s_mov_b64 s[14:15], 0
	s_mov_b64 s[16:17], 0
.LBB1_153:                              ;   Parent Loop BB1_136 Depth=1
                                        ; =>  This Inner Loop Header: Depth=2
	s_add_u32 s22, s4, s16
	s_addc_u32 s23, s5, s17
	s_add_u32 s16, s16, 1
	global_load_ubyte v2, v3, s[22:23]
	s_addc_u32 s17, s17, 0
	s_waitcnt vmcnt(0)
	v_and_b32_e32 v2, 0xffff, v2
	v_lshlrev_b64 v[14:15], s14, v[2:3]
	s_add_u32 s14, s14, 8
	s_addc_u32 s15, s15, 0
	s_cmp_lg_u32 s20, s16
	v_or_b32_e32 v12, v14, v12
	v_or_b32_e32 v13, v15, v13
	s_cbranch_scc1 .LBB1_153
.LBB1_154:                              ;   in Loop: Header=BB1_136 Depth=1
	s_mov_b32 s19, 0
	s_cbranch_execz .LBB1_156
	s_branch .LBB1_157
.LBB1_155:                              ;   in Loop: Header=BB1_136 Depth=1
                                        ; implicit-def: $sgpr19
.LBB1_156:                              ;   in Loop: Header=BB1_136 Depth=1
	global_load_dwordx2 v[12:13], v3, s[4:5]
	s_add_i32 s19, s20, -8
	s_add_u32 s4, s4, 8
	s_addc_u32 s5, s5, 0
.LBB1_157:                              ;   in Loop: Header=BB1_136 Depth=1
	s_cmp_gt_u32 s19, 7
	s_cbranch_scc1 .LBB1_162
; %bb.158:                              ;   in Loop: Header=BB1_136 Depth=1
	v_mov_b32_e32 v14, 0
	v_mov_b32_e32 v15, 0
	s_cmp_eq_u32 s19, 0
	s_cbranch_scc1 .LBB1_161
; %bb.159:                              ;   in Loop: Header=BB1_136 Depth=1
	s_mov_b64 s[14:15], 0
	s_mov_b64 s[16:17], 0
.LBB1_160:                              ;   Parent Loop BB1_136 Depth=1
                                        ; =>  This Inner Loop Header: Depth=2
	s_add_u32 s20, s4, s16
	s_addc_u32 s21, s5, s17
	s_add_u32 s16, s16, 1
	global_load_ubyte v2, v3, s[20:21]
	s_addc_u32 s17, s17, 0
	s_waitcnt vmcnt(0)
	v_and_b32_e32 v2, 0xffff, v2
	v_lshlrev_b64 v[16:17], s14, v[2:3]
	s_add_u32 s14, s14, 8
	s_addc_u32 s15, s15, 0
	s_cmp_lg_u32 s19, s16
	v_or_b32_e32 v14, v16, v14
	v_or_b32_e32 v15, v17, v15
	s_cbranch_scc1 .LBB1_160
.LBB1_161:                              ;   in Loop: Header=BB1_136 Depth=1
	s_mov_b32 s20, 0
	s_cbranch_execz .LBB1_163
	s_branch .LBB1_164
.LBB1_162:                              ;   in Loop: Header=BB1_136 Depth=1
                                        ; implicit-def: $vgpr14_vgpr15
                                        ; implicit-def: $sgpr20
.LBB1_163:                              ;   in Loop: Header=BB1_136 Depth=1
	global_load_dwordx2 v[14:15], v3, s[4:5]
	s_add_i32 s20, s19, -8
	s_add_u32 s4, s4, 8
	s_addc_u32 s5, s5, 0
.LBB1_164:                              ;   in Loop: Header=BB1_136 Depth=1
	s_cmp_gt_u32 s20, 7
	s_cbranch_scc1 .LBB1_169
; %bb.165:                              ;   in Loop: Header=BB1_136 Depth=1
	v_mov_b32_e32 v16, 0
	v_mov_b32_e32 v17, 0
	s_cmp_eq_u32 s20, 0
	s_cbranch_scc1 .LBB1_168
; %bb.166:                              ;   in Loop: Header=BB1_136 Depth=1
	s_mov_b64 s[14:15], 0
	s_mov_b64 s[16:17], 0
.LBB1_167:                              ;   Parent Loop BB1_136 Depth=1
                                        ; =>  This Inner Loop Header: Depth=2
	s_add_u32 s22, s4, s16
	s_addc_u32 s23, s5, s17
	s_add_u32 s16, s16, 1
	global_load_ubyte v2, v3, s[22:23]
	s_addc_u32 s17, s17, 0
	s_waitcnt vmcnt(0)
	v_and_b32_e32 v2, 0xffff, v2
	v_lshlrev_b64 v[18:19], s14, v[2:3]
	s_add_u32 s14, s14, 8
	s_addc_u32 s15, s15, 0
	s_cmp_lg_u32 s20, s16
	v_or_b32_e32 v16, v18, v16
	v_or_b32_e32 v17, v19, v17
	s_cbranch_scc1 .LBB1_167
.LBB1_168:                              ;   in Loop: Header=BB1_136 Depth=1
	s_mov_b32 s19, 0
	s_cbranch_execz .LBB1_170
	s_branch .LBB1_171
.LBB1_169:                              ;   in Loop: Header=BB1_136 Depth=1
                                        ; implicit-def: $sgpr19
.LBB1_170:                              ;   in Loop: Header=BB1_136 Depth=1
	global_load_dwordx2 v[16:17], v3, s[4:5]
	s_add_i32 s19, s20, -8
	s_add_u32 s4, s4, 8
	s_addc_u32 s5, s5, 0
.LBB1_171:                              ;   in Loop: Header=BB1_136 Depth=1
	s_cmp_gt_u32 s19, 7
	s_cbranch_scc1 .LBB1_176
; %bb.172:                              ;   in Loop: Header=BB1_136 Depth=1
	v_mov_b32_e32 v18, 0
	v_mov_b32_e32 v19, 0
	s_cmp_eq_u32 s19, 0
	s_cbranch_scc1 .LBB1_175
; %bb.173:                              ;   in Loop: Header=BB1_136 Depth=1
	s_mov_b64 s[14:15], 0
	s_mov_b64 s[16:17], 0
.LBB1_174:                              ;   Parent Loop BB1_136 Depth=1
                                        ; =>  This Inner Loop Header: Depth=2
	s_add_u32 s20, s4, s16
	s_addc_u32 s21, s5, s17
	s_add_u32 s16, s16, 1
	global_load_ubyte v2, v3, s[20:21]
	s_addc_u32 s17, s17, 0
	s_waitcnt vmcnt(0)
	v_and_b32_e32 v2, 0xffff, v2
	v_lshlrev_b64 v[20:21], s14, v[2:3]
	s_add_u32 s14, s14, 8
	s_addc_u32 s15, s15, 0
	s_cmp_lg_u32 s19, s16
	v_or_b32_e32 v18, v20, v18
	v_or_b32_e32 v19, v21, v19
	s_cbranch_scc1 .LBB1_174
.LBB1_175:                              ;   in Loop: Header=BB1_136 Depth=1
	s_mov_b32 s20, 0
	s_cbranch_execz .LBB1_177
	s_branch .LBB1_178
.LBB1_176:                              ;   in Loop: Header=BB1_136 Depth=1
                                        ; implicit-def: $vgpr18_vgpr19
                                        ; implicit-def: $sgpr20
.LBB1_177:                              ;   in Loop: Header=BB1_136 Depth=1
	global_load_dwordx2 v[18:19], v3, s[4:5]
	s_add_i32 s20, s19, -8
	s_add_u32 s4, s4, 8
	s_addc_u32 s5, s5, 0
.LBB1_178:                              ;   in Loop: Header=BB1_136 Depth=1
	s_cmp_gt_u32 s20, 7
	s_cbranch_scc1 .LBB1_183
; %bb.179:                              ;   in Loop: Header=BB1_136 Depth=1
	v_mov_b32_e32 v20, 0
	v_mov_b32_e32 v21, 0
	s_cmp_eq_u32 s20, 0
	s_cbranch_scc1 .LBB1_182
; %bb.180:                              ;   in Loop: Header=BB1_136 Depth=1
	s_mov_b64 s[14:15], 0
	s_mov_b64 s[16:17], s[4:5]
.LBB1_181:                              ;   Parent Loop BB1_136 Depth=1
                                        ; =>  This Inner Loop Header: Depth=2
	global_load_ubyte v2, v3, s[16:17]
	s_add_i32 s20, s20, -1
	s_waitcnt vmcnt(0)
	v_and_b32_e32 v2, 0xffff, v2
	v_lshlrev_b64 v[22:23], s14, v[2:3]
	s_add_u32 s14, s14, 8
	s_addc_u32 s15, s15, 0
	s_add_u32 s16, s16, 1
	s_addc_u32 s17, s17, 0
	s_cmp_lg_u32 s20, 0
	v_or_b32_e32 v20, v22, v20
	v_or_b32_e32 v21, v23, v21
	s_cbranch_scc1 .LBB1_181
.LBB1_182:                              ;   in Loop: Header=BB1_136 Depth=1
	s_cbranch_execz .LBB1_184
	s_branch .LBB1_185
.LBB1_183:                              ;   in Loop: Header=BB1_136 Depth=1
.LBB1_184:                              ;   in Loop: Header=BB1_136 Depth=1
	global_load_dwordx2 v[20:21], v3, s[4:5]
.LBB1_185:                              ;   in Loop: Header=BB1_136 Depth=1
	v_readfirstlane_b32 s4, v28
	v_mov_b32_e32 v26, 0
	v_mov_b32_e32 v27, 0
	v_cmp_eq_u32_e64 s4, s4, v28
	s_and_saveexec_b32 s5, s4
	s_cbranch_execz .LBB1_191
; %bb.186:                              ;   in Loop: Header=BB1_136 Depth=1
	global_load_dwordx2 v[24:25], v3, s[6:7] offset:24 glc dlc
	s_waitcnt vmcnt(0)
	buffer_gl1_inv
	buffer_gl0_inv
	s_clause 0x1
	global_load_dwordx2 v[22:23], v3, s[6:7] offset:40
	global_load_dwordx2 v[26:27], v3, s[6:7]
	s_mov_b32 s14, exec_lo
	s_waitcnt vmcnt(1)
	v_and_b32_e32 v2, v23, v25
	v_and_b32_e32 v22, v22, v24
	v_mul_lo_u32 v2, v2, 24
	v_mul_hi_u32 v23, v22, 24
	v_mul_lo_u32 v22, v22, 24
	v_add_nc_u32_e32 v2, v23, v2
	s_waitcnt vmcnt(0)
	v_add_co_u32 v22, vcc_lo, v26, v22
	v_add_co_ci_u32_e32 v23, vcc_lo, v27, v2, vcc_lo
	global_load_dwordx2 v[22:23], v[22:23], off glc dlc
	s_waitcnt vmcnt(0)
	global_atomic_cmpswap_x2 v[26:27], v3, v[22:25], s[6:7] offset:24 glc
	s_waitcnt vmcnt(0)
	buffer_gl1_inv
	buffer_gl0_inv
	v_cmpx_ne_u64_e64 v[26:27], v[24:25]
	s_cbranch_execz .LBB1_190
; %bb.187:                              ;   in Loop: Header=BB1_136 Depth=1
	s_mov_b32 s15, 0
	.p2align	6
.LBB1_188:                              ;   Parent Loop BB1_136 Depth=1
                                        ; =>  This Inner Loop Header: Depth=2
	s_sleep 1
	s_clause 0x1
	global_load_dwordx2 v[22:23], v3, s[6:7] offset:40
	global_load_dwordx2 v[30:31], v3, s[6:7]
	v_mov_b32_e32 v24, v26
	v_mov_b32_e32 v25, v27
	s_waitcnt vmcnt(1)
	v_and_b32_e32 v2, v22, v24
	v_and_b32_e32 v22, v23, v25
	s_waitcnt vmcnt(0)
	v_mad_u64_u32 v[26:27], null, v2, 24, v[30:31]
	v_mov_b32_e32 v2, v27
	v_mad_u64_u32 v[22:23], null, v22, 24, v[2:3]
	v_mov_b32_e32 v27, v22
	global_load_dwordx2 v[22:23], v[26:27], off glc dlc
	s_waitcnt vmcnt(0)
	global_atomic_cmpswap_x2 v[26:27], v3, v[22:25], s[6:7] offset:24 glc
	s_waitcnt vmcnt(0)
	buffer_gl1_inv
	buffer_gl0_inv
	v_cmp_eq_u64_e32 vcc_lo, v[26:27], v[24:25]
	s_or_b32 s15, vcc_lo, s15
	s_andn2_b32 exec_lo, exec_lo, s15
	s_cbranch_execnz .LBB1_188
; %bb.189:                              ;   in Loop: Header=BB1_136 Depth=1
	s_or_b32 exec_lo, exec_lo, s15
.LBB1_190:                              ;   in Loop: Header=BB1_136 Depth=1
	s_or_b32 exec_lo, exec_lo, s14
.LBB1_191:                              ;   in Loop: Header=BB1_136 Depth=1
	s_or_b32 exec_lo, exec_lo, s5
	s_clause 0x1
	global_load_dwordx2 v[30:31], v3, s[6:7] offset:40
	global_load_dwordx4 v[22:25], v3, s[6:7]
	v_readfirstlane_b32 s14, v26
	v_readfirstlane_b32 s15, v27
	s_mov_b32 s5, exec_lo
	s_waitcnt vmcnt(1)
	v_readfirstlane_b32 s16, v30
	v_readfirstlane_b32 s17, v31
	s_and_b64 s[16:17], s[14:15], s[16:17]
	s_mul_i32 s19, s17, 24
	s_mul_hi_u32 s20, s16, 24
	s_mul_i32 s21, s16, 24
	s_add_i32 s20, s20, s19
	s_waitcnt vmcnt(0)
	v_add_co_u32 v26, vcc_lo, v22, s21
	v_add_co_ci_u32_e32 v27, vcc_lo, s20, v23, vcc_lo
	s_and_saveexec_b32 s19, s4
	s_cbranch_execz .LBB1_193
; %bb.192:                              ;   in Loop: Header=BB1_136 Depth=1
	v_mov_b32_e32 v2, s5
	global_store_dwordx4 v[26:27], v[2:5], off offset:8
.LBB1_193:                              ;   in Loop: Header=BB1_136 Depth=1
	s_or_b32 exec_lo, exec_lo, s19
	s_lshl_b64 s[16:17], s[16:17], 12
	v_or_b32_e32 v2, 2, v6
	v_add_co_u32 v24, vcc_lo, v24, s16
	v_add_co_ci_u32_e32 v25, vcc_lo, s17, v25, vcc_lo
	v_cmp_gt_u64_e64 vcc_lo, s[10:11], 56
	s_lshl_b32 s5, s12, 2
	v_readfirstlane_b32 s16, v24
	s_add_i32 s5, s5, 28
	v_readfirstlane_b32 s17, v25
	s_and_b32 s5, s5, 0x1e0
	v_cndmask_b32_e32 v2, v2, v6, vcc_lo
	v_and_or_b32 v6, 0xffffff1f, v2, s5
	global_store_dwordx4 v29, v[10:13], s[16:17] offset:16
	global_store_dwordx4 v29, v[6:9], s[16:17]
	global_store_dwordx4 v29, v[14:17], s[16:17] offset:32
	global_store_dwordx4 v29, v[18:21], s[16:17] offset:48
	s_and_saveexec_b32 s5, s4
	s_cbranch_execz .LBB1_201
; %bb.194:                              ;   in Loop: Header=BB1_136 Depth=1
	s_clause 0x1
	global_load_dwordx2 v[14:15], v3, s[6:7] offset:32 glc dlc
	global_load_dwordx2 v[6:7], v3, s[6:7] offset:40
	v_mov_b32_e32 v12, s14
	v_mov_b32_e32 v13, s15
	s_waitcnt vmcnt(0)
	v_readfirstlane_b32 s16, v6
	v_readfirstlane_b32 s17, v7
	s_and_b64 s[16:17], s[16:17], s[14:15]
	s_mul_i32 s17, s17, 24
	s_mul_hi_u32 s19, s16, 24
	s_mul_i32 s16, s16, 24
	s_add_i32 s19, s19, s17
	v_add_co_u32 v10, vcc_lo, v22, s16
	v_add_co_ci_u32_e32 v11, vcc_lo, s19, v23, vcc_lo
	s_mov_b32 s16, exec_lo
	global_store_dwordx2 v[10:11], v[14:15], off
	s_waitcnt_vscnt null, 0x0
	global_atomic_cmpswap_x2 v[8:9], v3, v[12:15], s[6:7] offset:32 glc
	s_waitcnt vmcnt(0)
	v_cmpx_ne_u64_e64 v[8:9], v[14:15]
	s_cbranch_execz .LBB1_197
; %bb.195:                              ;   in Loop: Header=BB1_136 Depth=1
	s_mov_b32 s17, 0
.LBB1_196:                              ;   Parent Loop BB1_136 Depth=1
                                        ; =>  This Inner Loop Header: Depth=2
	v_mov_b32_e32 v6, s14
	v_mov_b32_e32 v7, s15
	s_sleep 1
	global_store_dwordx2 v[10:11], v[8:9], off
	s_waitcnt_vscnt null, 0x0
	global_atomic_cmpswap_x2 v[6:7], v3, v[6:9], s[6:7] offset:32 glc
	s_waitcnt vmcnt(0)
	v_cmp_eq_u64_e32 vcc_lo, v[6:7], v[8:9]
	v_mov_b32_e32 v9, v7
	v_mov_b32_e32 v8, v6
	s_or_b32 s17, vcc_lo, s17
	s_andn2_b32 exec_lo, exec_lo, s17
	s_cbranch_execnz .LBB1_196
.LBB1_197:                              ;   in Loop: Header=BB1_136 Depth=1
	s_or_b32 exec_lo, exec_lo, s16
	global_load_dwordx2 v[6:7], v3, s[6:7] offset:16
	s_mov_b32 s17, exec_lo
	s_mov_b32 s16, exec_lo
	v_mbcnt_lo_u32_b32 v2, s17, 0
	v_cmpx_eq_u32_e32 0, v2
	s_cbranch_execz .LBB1_199
; %bb.198:                              ;   in Loop: Header=BB1_136 Depth=1
	s_bcnt1_i32_b32 s17, s17
	v_mov_b32_e32 v2, s17
	s_waitcnt vmcnt(0)
	global_atomic_add_x2 v[6:7], v[2:3], off offset:8
.LBB1_199:                              ;   in Loop: Header=BB1_136 Depth=1
	s_or_b32 exec_lo, exec_lo, s16
	s_waitcnt vmcnt(0)
	global_load_dwordx2 v[8:9], v[6:7], off offset:16
	s_waitcnt vmcnt(0)
	v_cmp_eq_u64_e32 vcc_lo, 0, v[8:9]
	s_cbranch_vccnz .LBB1_201
; %bb.200:                              ;   in Loop: Header=BB1_136 Depth=1
	global_load_dword v2, v[6:7], off offset:24
	s_waitcnt vmcnt(0)
	v_and_b32_e32 v6, 0x7fffff, v2
	s_waitcnt_vscnt null, 0x0
	global_store_dwordx2 v[8:9], v[2:3], off
	v_readfirstlane_b32 m0, v6
	s_sendmsg sendmsg(MSG_INTERRUPT)
.LBB1_201:                              ;   in Loop: Header=BB1_136 Depth=1
	s_or_b32 exec_lo, exec_lo, s5
	v_add_co_u32 v6, vcc_lo, v24, v29
	v_add_co_ci_u32_e32 v7, vcc_lo, 0, v25, vcc_lo
	s_branch .LBB1_205
	.p2align	6
.LBB1_202:                              ;   in Loop: Header=BB1_205 Depth=2
	s_or_b32 exec_lo, exec_lo, s5
	v_readfirstlane_b32 s5, v2
	s_cmp_eq_u32 s5, 0
	s_cbranch_scc1 .LBB1_204
; %bb.203:                              ;   in Loop: Header=BB1_205 Depth=2
	s_sleep 1
	s_cbranch_execnz .LBB1_205
	s_branch .LBB1_207
	.p2align	6
.LBB1_204:                              ;   in Loop: Header=BB1_136 Depth=1
	s_branch .LBB1_207
.LBB1_205:                              ;   Parent Loop BB1_136 Depth=1
                                        ; =>  This Inner Loop Header: Depth=2
	v_mov_b32_e32 v2, 1
	s_and_saveexec_b32 s5, s4
	s_cbranch_execz .LBB1_202
; %bb.206:                              ;   in Loop: Header=BB1_205 Depth=2
	global_load_dword v2, v[26:27], off offset:20 glc dlc
	s_waitcnt vmcnt(0)
	buffer_gl1_inv
	buffer_gl0_inv
	v_and_b32_e32 v2, 1, v2
	s_branch .LBB1_202
.LBB1_207:                              ;   in Loop: Header=BB1_136 Depth=1
	global_load_dwordx4 v[6:9], v[6:7], off
	s_and_saveexec_b32 s5, s4
	s_cbranch_execz .LBB1_135
; %bb.208:                              ;   in Loop: Header=BB1_136 Depth=1
	s_clause 0x2
	global_load_dwordx2 v[10:11], v3, s[6:7] offset:40
	global_load_dwordx2 v[14:15], v3, s[6:7] offset:24 glc dlc
	global_load_dwordx2 v[12:13], v3, s[6:7]
	s_waitcnt vmcnt(2)
	v_add_co_u32 v2, vcc_lo, v10, 1
	v_add_co_ci_u32_e32 v16, vcc_lo, 0, v11, vcc_lo
	v_add_co_u32 v8, vcc_lo, v2, s14
	v_add_co_ci_u32_e32 v9, vcc_lo, s15, v16, vcc_lo
	v_cmp_eq_u64_e32 vcc_lo, 0, v[8:9]
	v_cndmask_b32_e32 v9, v9, v16, vcc_lo
	v_cndmask_b32_e32 v8, v8, v2, vcc_lo
	v_and_b32_e32 v2, v9, v11
	v_and_b32_e32 v10, v8, v10
	v_mul_lo_u32 v2, v2, 24
	v_mul_hi_u32 v11, v10, 24
	v_mul_lo_u32 v10, v10, 24
	v_add_nc_u32_e32 v2, v11, v2
	s_waitcnt vmcnt(0)
	v_add_co_u32 v12, vcc_lo, v12, v10
	v_mov_b32_e32 v10, v14
	v_mov_b32_e32 v11, v15
	v_add_co_ci_u32_e32 v13, vcc_lo, v13, v2, vcc_lo
	global_store_dwordx2 v[12:13], v[14:15], off
	s_waitcnt_vscnt null, 0x0
	global_atomic_cmpswap_x2 v[10:11], v3, v[8:11], s[6:7] offset:24 glc
	s_waitcnt vmcnt(0)
	v_cmp_ne_u64_e32 vcc_lo, v[10:11], v[14:15]
	s_and_b32 exec_lo, exec_lo, vcc_lo
	s_cbranch_execz .LBB1_135
; %bb.209:                              ;   in Loop: Header=BB1_136 Depth=1
	s_mov_b32 s4, 0
.LBB1_210:                              ;   Parent Loop BB1_136 Depth=1
                                        ; =>  This Inner Loop Header: Depth=2
	s_sleep 1
	global_store_dwordx2 v[12:13], v[10:11], off
	s_waitcnt_vscnt null, 0x0
	global_atomic_cmpswap_x2 v[14:15], v3, v[8:11], s[6:7] offset:24 glc
	s_waitcnt vmcnt(0)
	v_cmp_eq_u64_e32 vcc_lo, v[14:15], v[10:11]
	v_mov_b32_e32 v10, v14
	v_mov_b32_e32 v11, v15
	s_or_b32 s4, vcc_lo, s4
	s_andn2_b32 exec_lo, exec_lo, s4
	s_cbranch_execnz .LBB1_210
	s_branch .LBB1_135
.LBB1_211:
.LBB1_212:
	s_or_b32 exec_lo, exec_lo, s18
	s_waitcnt vmcnt(0) lgkmcnt(0)
	s_setpc_b64 s[30:31]
.LBB1_213:
	s_cbranch_execz .LBB1_106
; %bb.214:
	v_readfirstlane_b32 s4, v28
	s_waitcnt vmcnt(0)
	v_mov_b32_e32 v8, 0
	v_mov_b32_e32 v9, 0
	v_cmp_eq_u32_e64 s4, s4, v28
	s_and_saveexec_b32 s5, s4
	s_cbranch_execz .LBB1_220
; %bb.215:
	v_mov_b32_e32 v2, 0
	s_mov_b32 s8, exec_lo
	global_load_dwordx2 v[5:6], v2, s[6:7] offset:24 glc dlc
	s_waitcnt vmcnt(0)
	buffer_gl1_inv
	buffer_gl0_inv
	s_clause 0x1
	global_load_dwordx2 v[3:4], v2, s[6:7] offset:40
	global_load_dwordx2 v[7:8], v2, s[6:7]
	s_waitcnt vmcnt(1)
	v_and_b32_e32 v4, v4, v6
	v_and_b32_e32 v3, v3, v5
	v_mul_lo_u32 v4, v4, 24
	v_mul_hi_u32 v9, v3, 24
	v_mul_lo_u32 v3, v3, 24
	v_add_nc_u32_e32 v4, v9, v4
	s_waitcnt vmcnt(0)
	v_add_co_u32 v3, vcc_lo, v7, v3
	v_add_co_ci_u32_e32 v4, vcc_lo, v8, v4, vcc_lo
	global_load_dwordx2 v[3:4], v[3:4], off glc dlc
	s_waitcnt vmcnt(0)
	global_atomic_cmpswap_x2 v[8:9], v2, v[3:6], s[6:7] offset:24 glc
	s_waitcnt vmcnt(0)
	buffer_gl1_inv
	buffer_gl0_inv
	v_cmpx_ne_u64_e64 v[8:9], v[5:6]
	s_cbranch_execz .LBB1_219
; %bb.216:
	s_mov_b32 s9, 0
	.p2align	6
.LBB1_217:                              ; =>This Inner Loop Header: Depth=1
	s_sleep 1
	s_clause 0x1
	global_load_dwordx2 v[3:4], v2, s[6:7] offset:40
	global_load_dwordx2 v[10:11], v2, s[6:7]
	v_mov_b32_e32 v5, v8
	v_mov_b32_e32 v6, v9
	s_waitcnt vmcnt(1)
	v_and_b32_e32 v3, v3, v5
	v_and_b32_e32 v4, v4, v6
	s_waitcnt vmcnt(0)
	v_mad_u64_u32 v[7:8], null, v3, 24, v[10:11]
	v_mov_b32_e32 v3, v8
	v_mad_u64_u32 v[3:4], null, v4, 24, v[3:4]
	v_mov_b32_e32 v8, v3
	global_load_dwordx2 v[3:4], v[7:8], off glc dlc
	s_waitcnt vmcnt(0)
	global_atomic_cmpswap_x2 v[8:9], v2, v[3:6], s[6:7] offset:24 glc
	s_waitcnt vmcnt(0)
	buffer_gl1_inv
	buffer_gl0_inv
	v_cmp_eq_u64_e32 vcc_lo, v[8:9], v[5:6]
	s_or_b32 s9, vcc_lo, s9
	s_andn2_b32 exec_lo, exec_lo, s9
	s_cbranch_execnz .LBB1_217
; %bb.218:
	s_or_b32 exec_lo, exec_lo, s9
.LBB1_219:
	s_or_b32 exec_lo, exec_lo, s8
.LBB1_220:
	s_or_b32 exec_lo, exec_lo, s5
	v_mov_b32_e32 v2, 0
	v_readfirstlane_b32 s8, v8
	v_readfirstlane_b32 s9, v9
	s_mov_b32 s5, exec_lo
	s_clause 0x1
	global_load_dwordx2 v[10:11], v2, s[6:7] offset:40
	global_load_dwordx4 v[4:7], v2, s[6:7]
	s_waitcnt vmcnt(1)
	v_readfirstlane_b32 s10, v10
	v_readfirstlane_b32 s11, v11
	s_and_b64 s[10:11], s[8:9], s[10:11]
	s_mul_i32 s12, s11, 24
	s_mul_hi_u32 s13, s10, 24
	s_mul_i32 s14, s10, 24
	s_add_i32 s13, s13, s12
	s_waitcnt vmcnt(0)
	v_add_co_u32 v8, vcc_lo, v4, s14
	v_add_co_ci_u32_e32 v9, vcc_lo, s13, v5, vcc_lo
	s_and_saveexec_b32 s12, s4
	s_cbranch_execz .LBB1_222
; %bb.221:
	v_mov_b32_e32 v10, s5
	v_mov_b32_e32 v11, v2
	;; [unrolled: 1-line block ×4, first 2 shown]
	global_store_dwordx4 v[8:9], v[10:13], off offset:8
.LBB1_222:
	s_or_b32 exec_lo, exec_lo, s12
	s_lshl_b64 s[10:11], s[10:11], 12
	s_mov_b32 s12, 0
	v_add_co_u32 v6, vcc_lo, v6, s10
	v_add_co_ci_u32_e32 v7, vcc_lo, s11, v7, vcc_lo
	s_mov_b32 s13, s12
	s_mov_b32 s14, s12
	;; [unrolled: 1-line block ×3, first 2 shown]
	v_and_or_b32 v0, 0xffffff1d, v0, 34
	v_mov_b32_e32 v3, v2
	v_readfirstlane_b32 s10, v6
	v_readfirstlane_b32 s11, v7
	v_mov_b32_e32 v10, s12
	v_mov_b32_e32 v11, s13
	;; [unrolled: 1-line block ×4, first 2 shown]
	global_store_dwordx4 v29, v[0:3], s[10:11]
	global_store_dwordx4 v29, v[10:13], s[10:11] offset:16
	global_store_dwordx4 v29, v[10:13], s[10:11] offset:32
	;; [unrolled: 1-line block ×3, first 2 shown]
	s_and_saveexec_b32 s5, s4
	s_cbranch_execz .LBB1_230
; %bb.223:
	v_mov_b32_e32 v6, 0
	v_mov_b32_e32 v10, s8
	;; [unrolled: 1-line block ×3, first 2 shown]
	s_clause 0x1
	global_load_dwordx2 v[12:13], v6, s[6:7] offset:32 glc dlc
	global_load_dwordx2 v[0:1], v6, s[6:7] offset:40
	s_waitcnt vmcnt(0)
	v_readfirstlane_b32 s10, v0
	v_readfirstlane_b32 s11, v1
	s_and_b64 s[10:11], s[10:11], s[8:9]
	s_mul_i32 s11, s11, 24
	s_mul_hi_u32 s12, s10, 24
	s_mul_i32 s10, s10, 24
	s_add_i32 s12, s12, s11
	v_add_co_u32 v4, vcc_lo, v4, s10
	v_add_co_ci_u32_e32 v5, vcc_lo, s12, v5, vcc_lo
	s_mov_b32 s10, exec_lo
	global_store_dwordx2 v[4:5], v[12:13], off
	s_waitcnt_vscnt null, 0x0
	global_atomic_cmpswap_x2 v[2:3], v6, v[10:13], s[6:7] offset:32 glc
	s_waitcnt vmcnt(0)
	v_cmpx_ne_u64_e64 v[2:3], v[12:13]
	s_cbranch_execz .LBB1_226
; %bb.224:
	s_mov_b32 s11, 0
.LBB1_225:                              ; =>This Inner Loop Header: Depth=1
	v_mov_b32_e32 v0, s8
	v_mov_b32_e32 v1, s9
	s_sleep 1
	global_store_dwordx2 v[4:5], v[2:3], off
	s_waitcnt_vscnt null, 0x0
	global_atomic_cmpswap_x2 v[0:1], v6, v[0:3], s[6:7] offset:32 glc
	s_waitcnt vmcnt(0)
	v_cmp_eq_u64_e32 vcc_lo, v[0:1], v[2:3]
	v_mov_b32_e32 v3, v1
	v_mov_b32_e32 v2, v0
	s_or_b32 s11, vcc_lo, s11
	s_andn2_b32 exec_lo, exec_lo, s11
	s_cbranch_execnz .LBB1_225
.LBB1_226:
	s_or_b32 exec_lo, exec_lo, s10
	v_mov_b32_e32 v3, 0
	s_mov_b32 s11, exec_lo
	s_mov_b32 s10, exec_lo
	v_mbcnt_lo_u32_b32 v2, s11, 0
	global_load_dwordx2 v[0:1], v3, s[6:7] offset:16
	v_cmpx_eq_u32_e32 0, v2
	s_cbranch_execz .LBB1_228
; %bb.227:
	s_bcnt1_i32_b32 s11, s11
	v_mov_b32_e32 v2, s11
	s_waitcnt vmcnt(0)
	global_atomic_add_x2 v[0:1], v[2:3], off offset:8
.LBB1_228:
	s_or_b32 exec_lo, exec_lo, s10
	s_waitcnt vmcnt(0)
	global_load_dwordx2 v[2:3], v[0:1], off offset:16
	s_waitcnt vmcnt(0)
	v_cmp_eq_u64_e32 vcc_lo, 0, v[2:3]
	s_cbranch_vccnz .LBB1_230
; %bb.229:
	global_load_dword v0, v[0:1], off offset:24
	v_mov_b32_e32 v1, 0
	s_waitcnt vmcnt(0)
	v_and_b32_e32 v4, 0x7fffff, v0
	s_waitcnt_vscnt null, 0x0
	global_store_dwordx2 v[2:3], v[0:1], off
	v_readfirstlane_b32 m0, v4
	s_sendmsg sendmsg(MSG_INTERRUPT)
.LBB1_230:
	s_or_b32 exec_lo, exec_lo, s5
	s_branch .LBB1_234
	.p2align	6
.LBB1_231:                              ;   in Loop: Header=BB1_234 Depth=1
	s_or_b32 exec_lo, exec_lo, s5
	v_readfirstlane_b32 s5, v0
	s_cmp_eq_u32 s5, 0
	s_cbranch_scc1 .LBB1_233
; %bb.232:                              ;   in Loop: Header=BB1_234 Depth=1
	s_sleep 1
	s_cbranch_execnz .LBB1_234
	s_branch .LBB1_236
	.p2align	6
.LBB1_233:
	s_branch .LBB1_236
.LBB1_234:                              ; =>This Inner Loop Header: Depth=1
	v_mov_b32_e32 v0, 1
	s_and_saveexec_b32 s5, s4
	s_cbranch_execz .LBB1_231
; %bb.235:                              ;   in Loop: Header=BB1_234 Depth=1
	global_load_dword v0, v[8:9], off offset:20 glc dlc
	s_waitcnt vmcnt(0)
	buffer_gl1_inv
	buffer_gl0_inv
	v_and_b32_e32 v0, 1, v0
	s_branch .LBB1_231
.LBB1_236:
	s_and_saveexec_b32 s5, s4
	s_cbranch_execz .LBB1_240
; %bb.237:
	v_mov_b32_e32 v6, 0
	s_clause 0x2
	global_load_dwordx2 v[2:3], v6, s[6:7] offset:40
	global_load_dwordx2 v[7:8], v6, s[6:7] offset:24 glc dlc
	global_load_dwordx2 v[4:5], v6, s[6:7]
	s_waitcnt vmcnt(2)
	v_add_co_u32 v9, vcc_lo, v2, 1
	v_add_co_ci_u32_e32 v10, vcc_lo, 0, v3, vcc_lo
	v_add_co_u32 v0, vcc_lo, v9, s8
	v_add_co_ci_u32_e32 v1, vcc_lo, s9, v10, vcc_lo
	v_cmp_eq_u64_e32 vcc_lo, 0, v[0:1]
	v_cndmask_b32_e32 v1, v1, v10, vcc_lo
	v_cndmask_b32_e32 v0, v0, v9, vcc_lo
	v_and_b32_e32 v3, v1, v3
	v_and_b32_e32 v2, v0, v2
	v_mul_lo_u32 v3, v3, 24
	v_mul_hi_u32 v9, v2, 24
	v_mul_lo_u32 v2, v2, 24
	v_add_nc_u32_e32 v3, v9, v3
	s_waitcnt vmcnt(0)
	v_add_co_u32 v4, vcc_lo, v4, v2
	v_mov_b32_e32 v2, v7
	v_add_co_ci_u32_e32 v5, vcc_lo, v5, v3, vcc_lo
	v_mov_b32_e32 v3, v8
	global_store_dwordx2 v[4:5], v[7:8], off
	s_waitcnt_vscnt null, 0x0
	global_atomic_cmpswap_x2 v[2:3], v6, v[0:3], s[6:7] offset:24 glc
	s_waitcnt vmcnt(0)
	v_cmp_ne_u64_e32 vcc_lo, v[2:3], v[7:8]
	s_and_b32 exec_lo, exec_lo, vcc_lo
	s_cbranch_execz .LBB1_240
; %bb.238:
	s_mov_b32 s4, 0
.LBB1_239:                              ; =>This Inner Loop Header: Depth=1
	s_sleep 1
	global_store_dwordx2 v[4:5], v[2:3], off
	s_waitcnt_vscnt null, 0x0
	global_atomic_cmpswap_x2 v[7:8], v6, v[0:3], s[6:7] offset:24 glc
	s_waitcnt vmcnt(0)
	v_cmp_eq_u64_e32 vcc_lo, v[7:8], v[2:3]
	v_mov_b32_e32 v2, v7
	v_mov_b32_e32 v3, v8
	s_or_b32 s4, vcc_lo, s4
	s_andn2_b32 exec_lo, exec_lo, s4
	s_cbranch_execnz .LBB1_239
.LBB1_240:
	s_or_b32 exec_lo, exec_lo, s5
                                        ; implicit-def: $vgpr28
	s_andn2_saveexec_b32 s18, s18
	s_cbranch_execnz .LBB1_107
	s_branch .LBB1_212
.LBB1_241:
	s_cbranch_execz .LBB1_212
; %bb.242:
	v_readfirstlane_b32 s4, v28
	s_waitcnt vmcnt(0)
	v_mov_b32_e32 v8, 0
	v_mov_b32_e32 v9, 0
	v_cmp_eq_u32_e64 s4, s4, v28
	s_and_saveexec_b32 s5, s4
	s_cbranch_execz .LBB1_248
; %bb.243:
	v_mov_b32_e32 v2, 0
	s_mov_b32 s8, exec_lo
	global_load_dwordx2 v[5:6], v2, s[6:7] offset:24 glc dlc
	s_waitcnt vmcnt(0)
	buffer_gl1_inv
	buffer_gl0_inv
	s_clause 0x1
	global_load_dwordx2 v[3:4], v2, s[6:7] offset:40
	global_load_dwordx2 v[7:8], v2, s[6:7]
	s_waitcnt vmcnt(1)
	v_and_b32_e32 v4, v4, v6
	v_and_b32_e32 v3, v3, v5
	v_mul_lo_u32 v4, v4, 24
	v_mul_hi_u32 v9, v3, 24
	v_mul_lo_u32 v3, v3, 24
	v_add_nc_u32_e32 v4, v9, v4
	s_waitcnt vmcnt(0)
	v_add_co_u32 v3, vcc_lo, v7, v3
	v_add_co_ci_u32_e32 v4, vcc_lo, v8, v4, vcc_lo
	global_load_dwordx2 v[3:4], v[3:4], off glc dlc
	s_waitcnt vmcnt(0)
	global_atomic_cmpswap_x2 v[8:9], v2, v[3:6], s[6:7] offset:24 glc
	s_waitcnt vmcnt(0)
	buffer_gl1_inv
	buffer_gl0_inv
	v_cmpx_ne_u64_e64 v[8:9], v[5:6]
	s_cbranch_execz .LBB1_247
; %bb.244:
	s_mov_b32 s9, 0
	.p2align	6
.LBB1_245:                              ; =>This Inner Loop Header: Depth=1
	s_sleep 1
	s_clause 0x1
	global_load_dwordx2 v[3:4], v2, s[6:7] offset:40
	global_load_dwordx2 v[10:11], v2, s[6:7]
	v_mov_b32_e32 v5, v8
	v_mov_b32_e32 v6, v9
	s_waitcnt vmcnt(1)
	v_and_b32_e32 v3, v3, v5
	v_and_b32_e32 v4, v4, v6
	s_waitcnt vmcnt(0)
	v_mad_u64_u32 v[7:8], null, v3, 24, v[10:11]
	v_mov_b32_e32 v3, v8
	v_mad_u64_u32 v[3:4], null, v4, 24, v[3:4]
	v_mov_b32_e32 v8, v3
	global_load_dwordx2 v[3:4], v[7:8], off glc dlc
	s_waitcnt vmcnt(0)
	global_atomic_cmpswap_x2 v[8:9], v2, v[3:6], s[6:7] offset:24 glc
	s_waitcnt vmcnt(0)
	buffer_gl1_inv
	buffer_gl0_inv
	v_cmp_eq_u64_e32 vcc_lo, v[8:9], v[5:6]
	s_or_b32 s9, vcc_lo, s9
	s_andn2_b32 exec_lo, exec_lo, s9
	s_cbranch_execnz .LBB1_245
; %bb.246:
	s_or_b32 exec_lo, exec_lo, s9
.LBB1_247:
	s_or_b32 exec_lo, exec_lo, s8
.LBB1_248:
	s_or_b32 exec_lo, exec_lo, s5
	v_mov_b32_e32 v2, 0
	v_readfirstlane_b32 s8, v8
	v_readfirstlane_b32 s9, v9
	s_mov_b32 s5, exec_lo
	s_clause 0x1
	global_load_dwordx2 v[10:11], v2, s[6:7] offset:40
	global_load_dwordx4 v[4:7], v2, s[6:7]
	s_waitcnt vmcnt(1)
	v_readfirstlane_b32 s10, v10
	v_readfirstlane_b32 s11, v11
	s_and_b64 s[10:11], s[8:9], s[10:11]
	s_mul_i32 s12, s11, 24
	s_mul_hi_u32 s13, s10, 24
	s_mul_i32 s14, s10, 24
	s_add_i32 s13, s13, s12
	s_waitcnt vmcnt(0)
	v_add_co_u32 v8, vcc_lo, v4, s14
	v_add_co_ci_u32_e32 v9, vcc_lo, s13, v5, vcc_lo
	s_and_saveexec_b32 s12, s4
	s_cbranch_execz .LBB1_250
; %bb.249:
	v_mov_b32_e32 v10, s5
	v_mov_b32_e32 v11, v2
	;; [unrolled: 1-line block ×4, first 2 shown]
	global_store_dwordx4 v[8:9], v[10:13], off offset:8
.LBB1_250:
	s_or_b32 exec_lo, exec_lo, s12
	s_lshl_b64 s[10:11], s[10:11], 12
	s_mov_b32 s12, 0
	v_add_co_u32 v6, vcc_lo, v6, s10
	v_add_co_ci_u32_e32 v7, vcc_lo, s11, v7, vcc_lo
	s_mov_b32 s13, s12
	s_mov_b32 s14, s12
	;; [unrolled: 1-line block ×3, first 2 shown]
	v_and_or_b32 v0, 0xffffff1d, v0, 34
	v_mov_b32_e32 v3, v2
	v_readfirstlane_b32 s10, v6
	v_readfirstlane_b32 s11, v7
	v_mov_b32_e32 v10, s12
	v_mov_b32_e32 v11, s13
	;; [unrolled: 1-line block ×4, first 2 shown]
	global_store_dwordx4 v29, v[0:3], s[10:11]
	global_store_dwordx4 v29, v[10:13], s[10:11] offset:16
	global_store_dwordx4 v29, v[10:13], s[10:11] offset:32
	;; [unrolled: 1-line block ×3, first 2 shown]
	s_and_saveexec_b32 s5, s4
	s_cbranch_execz .LBB1_258
; %bb.251:
	v_mov_b32_e32 v6, 0
	v_mov_b32_e32 v10, s8
	;; [unrolled: 1-line block ×3, first 2 shown]
	s_clause 0x1
	global_load_dwordx2 v[12:13], v6, s[6:7] offset:32 glc dlc
	global_load_dwordx2 v[0:1], v6, s[6:7] offset:40
	s_waitcnt vmcnt(0)
	v_readfirstlane_b32 s10, v0
	v_readfirstlane_b32 s11, v1
	s_and_b64 s[10:11], s[10:11], s[8:9]
	s_mul_i32 s11, s11, 24
	s_mul_hi_u32 s12, s10, 24
	s_mul_i32 s10, s10, 24
	s_add_i32 s12, s12, s11
	v_add_co_u32 v4, vcc_lo, v4, s10
	v_add_co_ci_u32_e32 v5, vcc_lo, s12, v5, vcc_lo
	s_mov_b32 s10, exec_lo
	global_store_dwordx2 v[4:5], v[12:13], off
	s_waitcnt_vscnt null, 0x0
	global_atomic_cmpswap_x2 v[2:3], v6, v[10:13], s[6:7] offset:32 glc
	s_waitcnt vmcnt(0)
	v_cmpx_ne_u64_e64 v[2:3], v[12:13]
	s_cbranch_execz .LBB1_254
; %bb.252:
	s_mov_b32 s11, 0
.LBB1_253:                              ; =>This Inner Loop Header: Depth=1
	v_mov_b32_e32 v0, s8
	v_mov_b32_e32 v1, s9
	s_sleep 1
	global_store_dwordx2 v[4:5], v[2:3], off
	s_waitcnt_vscnt null, 0x0
	global_atomic_cmpswap_x2 v[0:1], v6, v[0:3], s[6:7] offset:32 glc
	s_waitcnt vmcnt(0)
	v_cmp_eq_u64_e32 vcc_lo, v[0:1], v[2:3]
	v_mov_b32_e32 v3, v1
	v_mov_b32_e32 v2, v0
	s_or_b32 s11, vcc_lo, s11
	s_andn2_b32 exec_lo, exec_lo, s11
	s_cbranch_execnz .LBB1_253
.LBB1_254:
	s_or_b32 exec_lo, exec_lo, s10
	v_mov_b32_e32 v3, 0
	s_mov_b32 s11, exec_lo
	s_mov_b32 s10, exec_lo
	v_mbcnt_lo_u32_b32 v2, s11, 0
	global_load_dwordx2 v[0:1], v3, s[6:7] offset:16
	v_cmpx_eq_u32_e32 0, v2
	s_cbranch_execz .LBB1_256
; %bb.255:
	s_bcnt1_i32_b32 s11, s11
	v_mov_b32_e32 v2, s11
	s_waitcnt vmcnt(0)
	global_atomic_add_x2 v[0:1], v[2:3], off offset:8
.LBB1_256:
	s_or_b32 exec_lo, exec_lo, s10
	s_waitcnt vmcnt(0)
	global_load_dwordx2 v[2:3], v[0:1], off offset:16
	s_waitcnt vmcnt(0)
	v_cmp_eq_u64_e32 vcc_lo, 0, v[2:3]
	s_cbranch_vccnz .LBB1_258
; %bb.257:
	global_load_dword v0, v[0:1], off offset:24
	v_mov_b32_e32 v1, 0
	s_waitcnt vmcnt(0)
	v_and_b32_e32 v4, 0x7fffff, v0
	s_waitcnt_vscnt null, 0x0
	global_store_dwordx2 v[2:3], v[0:1], off
	v_readfirstlane_b32 m0, v4
	s_sendmsg sendmsg(MSG_INTERRUPT)
.LBB1_258:
	s_or_b32 exec_lo, exec_lo, s5
	s_branch .LBB1_262
	.p2align	6
.LBB1_259:                              ;   in Loop: Header=BB1_262 Depth=1
	s_or_b32 exec_lo, exec_lo, s5
	v_readfirstlane_b32 s5, v0
	s_cmp_eq_u32 s5, 0
	s_cbranch_scc1 .LBB1_261
; %bb.260:                              ;   in Loop: Header=BB1_262 Depth=1
	s_sleep 1
	s_cbranch_execnz .LBB1_262
	s_branch .LBB1_264
	.p2align	6
.LBB1_261:
	s_branch .LBB1_264
.LBB1_262:                              ; =>This Inner Loop Header: Depth=1
	v_mov_b32_e32 v0, 1
	s_and_saveexec_b32 s5, s4
	s_cbranch_execz .LBB1_259
; %bb.263:                              ;   in Loop: Header=BB1_262 Depth=1
	global_load_dword v0, v[8:9], off offset:20 glc dlc
	s_waitcnt vmcnt(0)
	buffer_gl1_inv
	buffer_gl0_inv
	v_and_b32_e32 v0, 1, v0
	s_branch .LBB1_259
.LBB1_264:
	s_and_saveexec_b32 s5, s4
	s_cbranch_execz .LBB1_268
; %bb.265:
	v_mov_b32_e32 v6, 0
	s_clause 0x2
	global_load_dwordx2 v[2:3], v6, s[6:7] offset:40
	global_load_dwordx2 v[7:8], v6, s[6:7] offset:24 glc dlc
	global_load_dwordx2 v[4:5], v6, s[6:7]
	s_waitcnt vmcnt(2)
	v_add_co_u32 v9, vcc_lo, v2, 1
	v_add_co_ci_u32_e32 v10, vcc_lo, 0, v3, vcc_lo
	v_add_co_u32 v0, vcc_lo, v9, s8
	v_add_co_ci_u32_e32 v1, vcc_lo, s9, v10, vcc_lo
	v_cmp_eq_u64_e32 vcc_lo, 0, v[0:1]
	v_cndmask_b32_e32 v1, v1, v10, vcc_lo
	v_cndmask_b32_e32 v0, v0, v9, vcc_lo
	v_and_b32_e32 v3, v1, v3
	v_and_b32_e32 v2, v0, v2
	v_mul_lo_u32 v3, v3, 24
	v_mul_hi_u32 v9, v2, 24
	v_mul_lo_u32 v2, v2, 24
	v_add_nc_u32_e32 v3, v9, v3
	s_waitcnt vmcnt(0)
	v_add_co_u32 v4, vcc_lo, v4, v2
	v_mov_b32_e32 v2, v7
	v_add_co_ci_u32_e32 v5, vcc_lo, v5, v3, vcc_lo
	v_mov_b32_e32 v3, v8
	global_store_dwordx2 v[4:5], v[7:8], off
	s_waitcnt_vscnt null, 0x0
	global_atomic_cmpswap_x2 v[2:3], v6, v[0:3], s[6:7] offset:24 glc
	s_waitcnt vmcnt(0)
	v_cmp_ne_u64_e32 vcc_lo, v[2:3], v[7:8]
	s_and_b32 exec_lo, exec_lo, vcc_lo
	s_cbranch_execz .LBB1_268
; %bb.266:
	s_mov_b32 s4, 0
.LBB1_267:                              ; =>This Inner Loop Header: Depth=1
	s_sleep 1
	global_store_dwordx2 v[4:5], v[2:3], off
	s_waitcnt_vscnt null, 0x0
	global_atomic_cmpswap_x2 v[7:8], v6, v[0:3], s[6:7] offset:24 glc
	s_waitcnt vmcnt(0)
	v_cmp_eq_u64_e32 vcc_lo, v[7:8], v[2:3]
	v_mov_b32_e32 v2, v7
	v_mov_b32_e32 v3, v8
	s_or_b32 s4, vcc_lo, s4
	s_andn2_b32 exec_lo, exec_lo, s4
	s_cbranch_execnz .LBB1_267
.LBB1_268:
	s_or_b32 exec_lo, exec_lo, s5
	s_or_b32 exec_lo, exec_lo, s18
	s_waitcnt lgkmcnt(0)
	s_setpc_b64 s[30:31]
.Lfunc_end1:
	.size	_ZN8migraphx4test12print_streamIKNS_13basic_printerIZNS_4coutEvEUlT_E_EEPiEEvRS3_RKT0_, .Lfunc_end1-_ZN8migraphx4test12print_streamIKNS_13basic_printerIZNS_4coutEvEUlT_E_EEPiEEvRS3_RKT0_
                                        ; -- End function
	.section	.AMDGPU.csdata,"",@progbits
; Function info:
; codeLenInByte = 9452
; NumSgprs: 34
; NumVgprs: 32
; ScratchSize: 0
; MemoryBound: 0
	.text
	.p2align	2                               ; -- Begin function _ZN8migraphx4test4failEv
	.type	_ZN8migraphx4test4failEv,@function
_ZN8migraphx4test4failEv:               ; @_ZN8migraphx4test4failEv
; %bb.0:
	s_waitcnt vmcnt(0) expcnt(0) lgkmcnt(0)
	v_mov_b32_e32 v0, 0
	s_clause 0x1
	global_load_dword v1, v0, s[8:9] offset:18
	global_load_ushort v2, v0, s[8:9] offset:22
	s_clause 0x1
	s_load_dwordx2 s[4:5], s[8:9], 0x0
	s_load_dword s6, s[8:9], 0x8
	s_waitcnt vmcnt(1)
	v_cmp_ne_u16_e32 vcc_lo, 0, v1
	v_cmp_ne_u16_sdwa s7, v1, v0 src0_sel:WORD_1 src1_sel:DWORD
	s_cmp_lg_u32 vcc_lo, 0
	s_waitcnt vmcnt(0)
	v_cmp_ne_u16_e32 vcc_lo, 0, v2
	s_waitcnt lgkmcnt(0)
	s_addc_u32 s10, s4, 0
	s_cmp_lg_u32 s7, 0
	s_addc_u32 s7, s5, 0
	s_cmp_lg_u32 vcc_lo, 0
	s_mul_i32 s7, s7, s10
	s_addc_u32 s10, s6, 0
	s_mul_i32 s7, s7, s10
	s_cmp_lg_u32 s7, 1
	s_cbranch_scc1 .LBB2_3
; %bb.1:
	s_cmp_lt_u32 s14, s6
	s_cselect_b32 s6, 16, 22
	s_add_u32 s6, s8, s6
	s_addc_u32 s7, s9, 0
	s_cmp_lt_u32 s13, s5
	s_cselect_b32 s5, 14, 20
	s_add_u32 s10, s8, s5
	s_addc_u32 s11, s9, 0
	s_clause 0x1
	global_load_ushort v1, v0, s[6:7]
	global_load_ushort v2, v0, s[10:11]
	s_cmp_lt_u32 s12, s4
	s_cselect_b32 s4, 12, 18
	s_add_u32 s4, s8, s4
	s_addc_u32 s5, s9, 0
	global_load_ushort v0, v0, s[4:5]
	s_waitcnt vmcnt(1)
	v_mul_lo_u32 v1, v2, v1
	s_waitcnt vmcnt(0)
	v_mul_lo_u32 v0, v1, v0
	v_cmp_lt_u32_e32 vcc_lo, 32, v0
	s_cbranch_vccnz .LBB2_3
; %bb.2:
	s_endpgm
.LBB2_3:
	s_trap 2
.Lfunc_end2:
	.size	_ZN8migraphx4test4failEv, .Lfunc_end2-_ZN8migraphx4test4failEv
                                        ; -- End function
	.section	.AMDGPU.csdata,"",@progbits
; Function info:
; codeLenInByte = 232
; NumSgprs: 17
; NumVgprs: 3
; ScratchSize: 0
; MemoryBound: 0
	.text
	.p2align	2                               ; -- Begin function _ZL21upper_bound_all_equalRN8migraphx4test12test_managerE
	.type	_ZL21upper_bound_all_equalRN8migraphx4test12test_managerE,@function
_ZL21upper_bound_all_equalRN8migraphx4test12test_managerE: ; @_ZL21upper_bound_all_equalRN8migraphx4test12test_managerE
; %bb.0:
	s_waitcnt vmcnt(0) expcnt(0) lgkmcnt(0)
	s_mov_b32 s4, s33
	s_mov_b32 s33, s32
	s_or_saveexec_b32 s5, -1
	buffer_store_dword v40, off, s[0:3], s33 offset:12 ; 4-byte Folded Spill
	s_mov_b32 exec_lo, s5
	v_writelane_b32 v40, s4, 2
	v_writelane_b32 v40, s30, 0
	s_addk_i32 s32, 0x400
	v_writelane_b32 v40, s31, 1
	v_mov_b32_e32 v37, v1
	v_mov_b32_e32 v36, v0
	;; [unrolled: 1-line block ×5, first 2 shown]
	v_lshrrev_b32_e64 v38, 5, s33
	s_mov_b32 s5, 0
	buffer_store_dword v2, off, s[0:3], s33
	buffer_store_dword v2, off, s[0:3], s33 offset:4
	buffer_store_dword v2, off, s[0:3], s33 offset:8
	.p2align	6
.LBB3_1:                                ; =>This Inner Loop Header: Depth=1
	v_alignbit_b32 v2, v1, v0, 1
	v_lshl_add_u32 v4, v2, 2, v38
	v_lshrrev_b64 v[2:3], 1, v[0:1]
	buffer_load_dword v5, v4, s[0:3], 0 offen
	v_not_b32_e32 v6, v2
	v_not_b32_e32 v7, v3
	v_add_co_u32 v0, vcc_lo, v0, v6
	v_add_co_ci_u32_e32 v1, vcc_lo, v1, v7, vcc_lo
	s_waitcnt vmcnt(0)
	v_cmp_lt_i32_e32 vcc_lo, 2, v5
	v_cndmask_b32_e32 v1, v1, v3, vcc_lo
	v_cndmask_b32_e32 v0, v0, v2, vcc_lo
	v_add_nc_u32_e32 v2, 4, v4
	v_cmp_gt_i64_e64 s4, 1, v[0:1]
	v_cndmask_b32_e32 v38, v2, v38, vcc_lo
	s_or_b32 s5, s4, s5
	s_andn2_b32 exec_lo, exec_lo, s5
	s_cbranch_execnz .LBB3_1
; %bb.2:
	s_or_b32 exec_lo, exec_lo, s5
	v_lshrrev_b32_e64 v0, 5, s33
	s_mov_b32 s4, exec_lo
	v_add_nc_u32_e32 v39, 12, v0
	v_cmpx_ne_u32_e64 v39, v38
	s_xor_b32 s28, exec_lo, s4
	s_cbranch_execz .LBB3_1681
; %bb.3:
	v_and_b32_e32 v0, 0x3ff, v31
	s_mov_b32 s29, exec_lo
	v_cmpx_eq_u32_e32 0, v0
	s_cbranch_execz .LBB3_1680
; %bb.4:
	s_load_dwordx2 s[26:27], s[8:9], 0x50
	v_mbcnt_lo_u32_b32 v49, -1, 0
	v_mov_b32_e32 v6, 0
	v_mov_b32_e32 v7, 0
	v_readfirstlane_b32 s4, v49
	v_cmp_eq_u32_e64 s4, s4, v49
	s_and_saveexec_b32 s5, s4
	s_cbranch_execz .LBB3_10
; %bb.5:
	v_mov_b32_e32 v0, 0
	s_mov_b32 s6, exec_lo
	s_waitcnt lgkmcnt(0)
	global_load_dwordx2 v[3:4], v0, s[26:27] offset:24 glc dlc
	s_waitcnt vmcnt(0)
	buffer_gl1_inv
	buffer_gl0_inv
	s_clause 0x1
	global_load_dwordx2 v[1:2], v0, s[26:27] offset:40
	global_load_dwordx2 v[5:6], v0, s[26:27]
	s_waitcnt vmcnt(1)
	v_and_b32_e32 v2, v2, v4
	v_and_b32_e32 v1, v1, v3
	v_mul_lo_u32 v2, v2, 24
	v_mul_hi_u32 v7, v1, 24
	v_mul_lo_u32 v1, v1, 24
	v_add_nc_u32_e32 v2, v7, v2
	s_waitcnt vmcnt(0)
	v_add_co_u32 v1, vcc_lo, v5, v1
	v_add_co_ci_u32_e32 v2, vcc_lo, v6, v2, vcc_lo
	global_load_dwordx2 v[1:2], v[1:2], off glc dlc
	s_waitcnt vmcnt(0)
	global_atomic_cmpswap_x2 v[6:7], v0, v[1:4], s[26:27] offset:24 glc
	s_waitcnt vmcnt(0)
	buffer_gl1_inv
	buffer_gl0_inv
	v_cmpx_ne_u64_e64 v[6:7], v[3:4]
	s_cbranch_execz .LBB3_9
; %bb.6:
	s_mov_b32 s7, 0
	.p2align	6
.LBB3_7:                                ; =>This Inner Loop Header: Depth=1
	s_sleep 1
	s_clause 0x1
	global_load_dwordx2 v[1:2], v0, s[26:27] offset:40
	global_load_dwordx2 v[8:9], v0, s[26:27]
	v_mov_b32_e32 v3, v6
	v_mov_b32_e32 v4, v7
	s_waitcnt vmcnt(1)
	v_and_b32_e32 v1, v1, v3
	v_and_b32_e32 v2, v2, v4
	s_waitcnt vmcnt(0)
	v_mad_u64_u32 v[5:6], null, v1, 24, v[8:9]
	v_mov_b32_e32 v1, v6
	v_mad_u64_u32 v[1:2], null, v2, 24, v[1:2]
	v_mov_b32_e32 v6, v1
	global_load_dwordx2 v[1:2], v[5:6], off glc dlc
	s_waitcnt vmcnt(0)
	global_atomic_cmpswap_x2 v[6:7], v0, v[1:4], s[26:27] offset:24 glc
	s_waitcnt vmcnt(0)
	buffer_gl1_inv
	buffer_gl0_inv
	v_cmp_eq_u64_e32 vcc_lo, v[6:7], v[3:4]
	s_or_b32 s7, vcc_lo, s7
	s_andn2_b32 exec_lo, exec_lo, s7
	s_cbranch_execnz .LBB3_7
; %bb.8:
	s_or_b32 exec_lo, exec_lo, s7
.LBB3_9:
	s_or_b32 exec_lo, exec_lo, s6
.LBB3_10:
	s_or_b32 exec_lo, exec_lo, s5
	v_mov_b32_e32 v5, 0
	v_readfirstlane_b32 s6, v6
	v_readfirstlane_b32 s7, v7
	s_mov_b32 s5, exec_lo
	s_waitcnt lgkmcnt(0)
	s_clause 0x1
	global_load_dwordx2 v[8:9], v5, s[26:27] offset:40
	global_load_dwordx4 v[0:3], v5, s[26:27]
	s_waitcnt vmcnt(1)
	v_readfirstlane_b32 s10, v8
	v_readfirstlane_b32 s11, v9
	s_and_b64 s[10:11], s[6:7], s[10:11]
	s_mul_i32 s15, s11, 24
	s_mul_hi_u32 s16, s10, 24
	s_mul_i32 s17, s10, 24
	s_add_i32 s16, s16, s15
	s_waitcnt vmcnt(0)
	v_add_co_u32 v8, vcc_lo, v0, s17
	v_add_co_ci_u32_e32 v9, vcc_lo, s16, v1, vcc_lo
	s_and_saveexec_b32 s15, s4
	s_cbranch_execz .LBB3_12
; %bb.11:
	v_mov_b32_e32 v4, s5
	v_mov_b32_e32 v6, 2
	;; [unrolled: 1-line block ×3, first 2 shown]
	global_store_dwordx4 v[8:9], v[4:7], off offset:8
.LBB3_12:
	s_or_b32 exec_lo, exec_lo, s15
	s_lshl_b64 s[10:11], s[10:11], 12
	v_lshlrev_b32_e32 v48, 6, v49
	v_add_co_u32 v2, vcc_lo, v2, s10
	v_add_co_ci_u32_e32 v3, vcc_lo, s11, v3, vcc_lo
	s_mov_b32 s16, 0
	v_add_co_u32 v10, vcc_lo, v2, v48
	s_mov_b32 s17, s16
	s_mov_b32 s18, s16
	;; [unrolled: 1-line block ×3, first 2 shown]
	v_mov_b32_e32 v4, 33
	v_mov_b32_e32 v6, v5
	;; [unrolled: 1-line block ×3, first 2 shown]
	v_readfirstlane_b32 s10, v2
	v_readfirstlane_b32 s11, v3
	v_mov_b32_e32 v12, s16
	v_add_co_ci_u32_e32 v11, vcc_lo, 0, v3, vcc_lo
	v_mov_b32_e32 v13, s17
	v_mov_b32_e32 v14, s18
	;; [unrolled: 1-line block ×3, first 2 shown]
	global_store_dwordx4 v48, v[4:7], s[10:11]
	global_store_dwordx4 v48, v[12:15], s[10:11] offset:16
	global_store_dwordx4 v48, v[12:15], s[10:11] offset:32
	;; [unrolled: 1-line block ×3, first 2 shown]
	s_and_saveexec_b32 s5, s4
	s_cbranch_execz .LBB3_20
; %bb.13:
	v_mov_b32_e32 v6, 0
	v_mov_b32_e32 v12, s6
	;; [unrolled: 1-line block ×3, first 2 shown]
	s_mov_b32 s10, exec_lo
	s_clause 0x1
	global_load_dwordx2 v[14:15], v6, s[26:27] offset:32 glc dlc
	global_load_dwordx2 v[2:3], v6, s[26:27] offset:40
	s_waitcnt vmcnt(0)
	v_and_b32_e32 v3, s7, v3
	v_and_b32_e32 v2, s6, v2
	v_mul_lo_u32 v3, v3, 24
	v_mul_hi_u32 v4, v2, 24
	v_mul_lo_u32 v2, v2, 24
	v_add_nc_u32_e32 v3, v4, v3
	v_add_co_u32 v4, vcc_lo, v0, v2
	v_add_co_ci_u32_e32 v5, vcc_lo, v1, v3, vcc_lo
	global_store_dwordx2 v[4:5], v[14:15], off
	s_waitcnt_vscnt null, 0x0
	global_atomic_cmpswap_x2 v[2:3], v6, v[12:15], s[26:27] offset:32 glc
	s_waitcnt vmcnt(0)
	v_cmpx_ne_u64_e64 v[2:3], v[14:15]
	s_cbranch_execz .LBB3_16
; %bb.14:
	s_mov_b32 s11, 0
.LBB3_15:                               ; =>This Inner Loop Header: Depth=1
	v_mov_b32_e32 v0, s6
	v_mov_b32_e32 v1, s7
	s_sleep 1
	global_store_dwordx2 v[4:5], v[2:3], off
	s_waitcnt_vscnt null, 0x0
	global_atomic_cmpswap_x2 v[0:1], v6, v[0:3], s[26:27] offset:32 glc
	s_waitcnt vmcnt(0)
	v_cmp_eq_u64_e32 vcc_lo, v[0:1], v[2:3]
	v_mov_b32_e32 v3, v1
	v_mov_b32_e32 v2, v0
	s_or_b32 s11, vcc_lo, s11
	s_andn2_b32 exec_lo, exec_lo, s11
	s_cbranch_execnz .LBB3_15
.LBB3_16:
	s_or_b32 exec_lo, exec_lo, s10
	v_mov_b32_e32 v3, 0
	s_mov_b32 s11, exec_lo
	s_mov_b32 s10, exec_lo
	v_mbcnt_lo_u32_b32 v2, s11, 0
	global_load_dwordx2 v[0:1], v3, s[26:27] offset:16
	v_cmpx_eq_u32_e32 0, v2
	s_cbranch_execz .LBB3_18
; %bb.17:
	s_bcnt1_i32_b32 s11, s11
	v_mov_b32_e32 v2, s11
	s_waitcnt vmcnt(0)
	global_atomic_add_x2 v[0:1], v[2:3], off offset:8
.LBB3_18:
	s_or_b32 exec_lo, exec_lo, s10
	s_waitcnt vmcnt(0)
	global_load_dwordx2 v[2:3], v[0:1], off offset:16
	s_waitcnt vmcnt(0)
	v_cmp_eq_u64_e32 vcc_lo, 0, v[2:3]
	s_cbranch_vccnz .LBB3_20
; %bb.19:
	global_load_dword v0, v[0:1], off offset:24
	v_mov_b32_e32 v1, 0
	s_waitcnt vmcnt(0)
	v_and_b32_e32 v4, 0x7fffff, v0
	s_waitcnt_vscnt null, 0x0
	global_store_dwordx2 v[2:3], v[0:1], off
	v_readfirstlane_b32 m0, v4
	s_sendmsg sendmsg(MSG_INTERRUPT)
.LBB3_20:
	s_or_b32 exec_lo, exec_lo, s5
	s_branch .LBB3_24
	.p2align	6
.LBB3_21:                               ;   in Loop: Header=BB3_24 Depth=1
	s_or_b32 exec_lo, exec_lo, s5
	v_readfirstlane_b32 s5, v0
	s_cmp_eq_u32 s5, 0
	s_cbranch_scc1 .LBB3_23
; %bb.22:                               ;   in Loop: Header=BB3_24 Depth=1
	s_sleep 1
	s_cbranch_execnz .LBB3_24
	s_branch .LBB3_26
	.p2align	6
.LBB3_23:
	s_branch .LBB3_26
.LBB3_24:                               ; =>This Inner Loop Header: Depth=1
	v_mov_b32_e32 v0, 1
	s_and_saveexec_b32 s5, s4
	s_cbranch_execz .LBB3_21
; %bb.25:                               ;   in Loop: Header=BB3_24 Depth=1
	global_load_dword v0, v[8:9], off offset:20 glc dlc
	s_waitcnt vmcnt(0)
	buffer_gl1_inv
	buffer_gl0_inv
	v_and_b32_e32 v0, 1, v0
	s_branch .LBB3_21
.LBB3_26:
	global_load_dwordx2 v[4:5], v[10:11], off
	s_and_saveexec_b32 s5, s4
	s_cbranch_execz .LBB3_30
; %bb.27:
	v_mov_b32_e32 v8, 0
	s_clause 0x2
	global_load_dwordx2 v[2:3], v8, s[26:27] offset:40
	global_load_dwordx2 v[9:10], v8, s[26:27] offset:24 glc dlc
	global_load_dwordx2 v[6:7], v8, s[26:27]
	s_waitcnt vmcnt(2)
	v_add_co_u32 v11, vcc_lo, v2, 1
	v_add_co_ci_u32_e32 v12, vcc_lo, 0, v3, vcc_lo
	v_add_co_u32 v0, vcc_lo, v11, s6
	v_add_co_ci_u32_e32 v1, vcc_lo, s7, v12, vcc_lo
	v_cmp_eq_u64_e32 vcc_lo, 0, v[0:1]
	v_cndmask_b32_e32 v1, v1, v12, vcc_lo
	v_cndmask_b32_e32 v0, v0, v11, vcc_lo
	v_and_b32_e32 v3, v1, v3
	v_and_b32_e32 v2, v0, v2
	v_mul_lo_u32 v3, v3, 24
	v_mul_hi_u32 v11, v2, 24
	v_mul_lo_u32 v2, v2, 24
	v_add_nc_u32_e32 v3, v11, v3
	s_waitcnt vmcnt(0)
	v_add_co_u32 v6, vcc_lo, v6, v2
	v_mov_b32_e32 v2, v9
	v_add_co_ci_u32_e32 v7, vcc_lo, v7, v3, vcc_lo
	v_mov_b32_e32 v3, v10
	global_store_dwordx2 v[6:7], v[9:10], off
	s_waitcnt_vscnt null, 0x0
	global_atomic_cmpswap_x2 v[2:3], v8, v[0:3], s[26:27] offset:24 glc
	s_waitcnt vmcnt(0)
	v_cmp_ne_u64_e32 vcc_lo, v[2:3], v[9:10]
	s_and_b32 exec_lo, exec_lo, vcc_lo
	s_cbranch_execz .LBB3_30
; %bb.28:
	s_mov_b32 s4, 0
.LBB3_29:                               ; =>This Inner Loop Header: Depth=1
	s_sleep 1
	global_store_dwordx2 v[6:7], v[2:3], off
	s_waitcnt_vscnt null, 0x0
	global_atomic_cmpswap_x2 v[9:10], v8, v[0:3], s[26:27] offset:24 glc
	s_waitcnt vmcnt(0)
	v_cmp_eq_u64_e32 vcc_lo, v[9:10], v[2:3]
	v_mov_b32_e32 v2, v9
	v_mov_b32_e32 v3, v10
	s_or_b32 s4, vcc_lo, s4
	s_andn2_b32 exec_lo, exec_lo, s4
	s_cbranch_execnz .LBB3_29
.LBB3_30:
	s_or_b32 exec_lo, exec_lo, s5
	s_getpc_b64 s[6:7]
	s_add_u32 s6, s6, .str.5@rel32@lo+4
	s_addc_u32 s7, s7, .str.5@rel32@hi+12
	s_cmp_lg_u64 s[6:7], 0
	s_cselect_b32 s15, -1, 0
	s_and_b32 vcc_lo, exec_lo, s15
	s_cbranch_vccz .LBB3_109
; %bb.31:
	s_waitcnt vmcnt(0)
	v_and_b32_e32 v28, 2, v4
	v_mov_b32_e32 v7, 0
	v_and_b32_e32 v0, -3, v4
	v_mov_b32_e32 v1, v5
	v_mov_b32_e32 v8, 2
	;; [unrolled: 1-line block ×3, first 2 shown]
	s_mov_b64 s[10:11], 3
	s_branch .LBB3_33
.LBB3_32:                               ;   in Loop: Header=BB3_33 Depth=1
	s_or_b32 exec_lo, exec_lo, s5
	s_sub_u32 s10, s10, s16
	s_subb_u32 s11, s11, s17
	s_add_u32 s6, s6, s16
	s_addc_u32 s7, s7, s17
	s_cmp_lg_u64 s[10:11], 0
	s_cbranch_scc0 .LBB3_108
.LBB3_33:                               ; =>This Loop Header: Depth=1
                                        ;     Child Loop BB3_42 Depth 2
                                        ;     Child Loop BB3_38 Depth 2
	;; [unrolled: 1-line block ×11, first 2 shown]
	v_cmp_lt_u64_e64 s4, s[10:11], 56
	v_cmp_gt_u64_e64 s5, s[10:11], 7
                                        ; implicit-def: $vgpr2_vgpr3
                                        ; implicit-def: $sgpr22
	s_and_b32 s4, s4, exec_lo
	s_cselect_b32 s17, s11, 0
	s_cselect_b32 s16, s10, 56
	s_and_b32 vcc_lo, exec_lo, s5
	s_mov_b32 s4, -1
	s_cbranch_vccz .LBB3_40
; %bb.34:                               ;   in Loop: Header=BB3_33 Depth=1
	s_andn2_b32 vcc_lo, exec_lo, s4
	s_mov_b64 s[4:5], s[6:7]
	s_cbranch_vccz .LBB3_44
.LBB3_35:                               ;   in Loop: Header=BB3_33 Depth=1
	s_cmp_gt_u32 s22, 7
	s_cbranch_scc1 .LBB3_45
.LBB3_36:                               ;   in Loop: Header=BB3_33 Depth=1
	v_mov_b32_e32 v10, 0
	v_mov_b32_e32 v11, 0
	s_cmp_eq_u32 s22, 0
	s_cbranch_scc1 .LBB3_39
; %bb.37:                               ;   in Loop: Header=BB3_33 Depth=1
	s_mov_b64 s[18:19], 0
	s_mov_b64 s[20:21], 0
.LBB3_38:                               ;   Parent Loop BB3_33 Depth=1
                                        ; =>  This Inner Loop Header: Depth=2
	s_add_u32 s24, s4, s20
	s_addc_u32 s25, s5, s21
	s_add_u32 s20, s20, 1
	global_load_ubyte v6, v7, s[24:25]
	s_addc_u32 s21, s21, 0
	s_waitcnt vmcnt(0)
	v_and_b32_e32 v6, 0xffff, v6
	v_lshlrev_b64 v[12:13], s18, v[6:7]
	s_add_u32 s18, s18, 8
	s_addc_u32 s19, s19, 0
	s_cmp_lg_u32 s22, s20
	v_or_b32_e32 v10, v12, v10
	v_or_b32_e32 v11, v13, v11
	s_cbranch_scc1 .LBB3_38
.LBB3_39:                               ;   in Loop: Header=BB3_33 Depth=1
	s_mov_b32 s23, 0
	s_cbranch_execz .LBB3_46
	s_branch .LBB3_47
.LBB3_40:                               ;   in Loop: Header=BB3_33 Depth=1
	s_waitcnt vmcnt(0)
	v_mov_b32_e32 v2, 0
	v_mov_b32_e32 v3, 0
	s_cmp_eq_u64 s[10:11], 0
	s_mov_b64 s[4:5], 0
	s_cbranch_scc1 .LBB3_43
; %bb.41:                               ;   in Loop: Header=BB3_33 Depth=1
	v_mov_b32_e32 v2, 0
	v_mov_b32_e32 v3, 0
	s_lshl_b64 s[18:19], s[16:17], 3
	s_mov_b64 s[20:21], s[6:7]
.LBB3_42:                               ;   Parent Loop BB3_33 Depth=1
                                        ; =>  This Inner Loop Header: Depth=2
	global_load_ubyte v6, v7, s[20:21]
	s_waitcnt vmcnt(0)
	v_and_b32_e32 v6, 0xffff, v6
	v_lshlrev_b64 v[10:11], s4, v[6:7]
	s_add_u32 s4, s4, 8
	s_addc_u32 s5, s5, 0
	s_add_u32 s20, s20, 1
	s_addc_u32 s21, s21, 0
	s_cmp_lg_u32 s18, s4
	v_or_b32_e32 v2, v10, v2
	v_or_b32_e32 v3, v11, v3
	s_cbranch_scc1 .LBB3_42
.LBB3_43:                               ;   in Loop: Header=BB3_33 Depth=1
	s_mov_b32 s22, 0
	s_mov_b64 s[4:5], s[6:7]
	s_cbranch_execnz .LBB3_35
.LBB3_44:                               ;   in Loop: Header=BB3_33 Depth=1
	global_load_dwordx2 v[2:3], v7, s[6:7]
	s_add_i32 s22, s16, -8
	s_add_u32 s4, s6, 8
	s_addc_u32 s5, s7, 0
	s_cmp_gt_u32 s22, 7
	s_cbranch_scc0 .LBB3_36
.LBB3_45:                               ;   in Loop: Header=BB3_33 Depth=1
                                        ; implicit-def: $vgpr10_vgpr11
                                        ; implicit-def: $sgpr23
.LBB3_46:                               ;   in Loop: Header=BB3_33 Depth=1
	global_load_dwordx2 v[10:11], v7, s[4:5]
	s_add_i32 s23, s22, -8
	s_add_u32 s4, s4, 8
	s_addc_u32 s5, s5, 0
.LBB3_47:                               ;   in Loop: Header=BB3_33 Depth=1
	s_cmp_gt_u32 s23, 7
	s_cbranch_scc1 .LBB3_52
; %bb.48:                               ;   in Loop: Header=BB3_33 Depth=1
	v_mov_b32_e32 v12, 0
	v_mov_b32_e32 v13, 0
	s_cmp_eq_u32 s23, 0
	s_cbranch_scc1 .LBB3_51
; %bb.49:                               ;   in Loop: Header=BB3_33 Depth=1
	s_mov_b64 s[18:19], 0
	s_mov_b64 s[20:21], 0
.LBB3_50:                               ;   Parent Loop BB3_33 Depth=1
                                        ; =>  This Inner Loop Header: Depth=2
	s_add_u32 s24, s4, s20
	s_addc_u32 s25, s5, s21
	s_add_u32 s20, s20, 1
	global_load_ubyte v6, v7, s[24:25]
	s_addc_u32 s21, s21, 0
	s_waitcnt vmcnt(0)
	v_and_b32_e32 v6, 0xffff, v6
	v_lshlrev_b64 v[14:15], s18, v[6:7]
	s_add_u32 s18, s18, 8
	s_addc_u32 s19, s19, 0
	s_cmp_lg_u32 s23, s20
	v_or_b32_e32 v12, v14, v12
	v_or_b32_e32 v13, v15, v13
	s_cbranch_scc1 .LBB3_50
.LBB3_51:                               ;   in Loop: Header=BB3_33 Depth=1
	s_mov_b32 s22, 0
	s_cbranch_execz .LBB3_53
	s_branch .LBB3_54
.LBB3_52:                               ;   in Loop: Header=BB3_33 Depth=1
                                        ; implicit-def: $sgpr22
.LBB3_53:                               ;   in Loop: Header=BB3_33 Depth=1
	global_load_dwordx2 v[12:13], v7, s[4:5]
	s_add_i32 s22, s23, -8
	s_add_u32 s4, s4, 8
	s_addc_u32 s5, s5, 0
.LBB3_54:                               ;   in Loop: Header=BB3_33 Depth=1
	s_cmp_gt_u32 s22, 7
	s_cbranch_scc1 .LBB3_59
; %bb.55:                               ;   in Loop: Header=BB3_33 Depth=1
	v_mov_b32_e32 v14, 0
	v_mov_b32_e32 v15, 0
	s_cmp_eq_u32 s22, 0
	s_cbranch_scc1 .LBB3_58
; %bb.56:                               ;   in Loop: Header=BB3_33 Depth=1
	s_mov_b64 s[18:19], 0
	s_mov_b64 s[20:21], 0
.LBB3_57:                               ;   Parent Loop BB3_33 Depth=1
                                        ; =>  This Inner Loop Header: Depth=2
	s_add_u32 s24, s4, s20
	s_addc_u32 s25, s5, s21
	s_add_u32 s20, s20, 1
	global_load_ubyte v6, v7, s[24:25]
	s_addc_u32 s21, s21, 0
	s_waitcnt vmcnt(0)
	v_and_b32_e32 v6, 0xffff, v6
	v_lshlrev_b64 v[16:17], s18, v[6:7]
	s_add_u32 s18, s18, 8
	s_addc_u32 s19, s19, 0
	s_cmp_lg_u32 s22, s20
	v_or_b32_e32 v14, v16, v14
	v_or_b32_e32 v15, v17, v15
	s_cbranch_scc1 .LBB3_57
.LBB3_58:                               ;   in Loop: Header=BB3_33 Depth=1
	s_mov_b32 s23, 0
	s_cbranch_execz .LBB3_60
	s_branch .LBB3_61
.LBB3_59:                               ;   in Loop: Header=BB3_33 Depth=1
                                        ; implicit-def: $vgpr14_vgpr15
                                        ; implicit-def: $sgpr23
.LBB3_60:                               ;   in Loop: Header=BB3_33 Depth=1
	global_load_dwordx2 v[14:15], v7, s[4:5]
	s_add_i32 s23, s22, -8
	s_add_u32 s4, s4, 8
	s_addc_u32 s5, s5, 0
.LBB3_61:                               ;   in Loop: Header=BB3_33 Depth=1
	s_cmp_gt_u32 s23, 7
	s_cbranch_scc1 .LBB3_66
; %bb.62:                               ;   in Loop: Header=BB3_33 Depth=1
	v_mov_b32_e32 v16, 0
	v_mov_b32_e32 v17, 0
	s_cmp_eq_u32 s23, 0
	s_cbranch_scc1 .LBB3_65
; %bb.63:                               ;   in Loop: Header=BB3_33 Depth=1
	s_mov_b64 s[18:19], 0
	s_mov_b64 s[20:21], 0
.LBB3_64:                               ;   Parent Loop BB3_33 Depth=1
                                        ; =>  This Inner Loop Header: Depth=2
	s_add_u32 s24, s4, s20
	s_addc_u32 s25, s5, s21
	s_add_u32 s20, s20, 1
	global_load_ubyte v6, v7, s[24:25]
	s_addc_u32 s21, s21, 0
	s_waitcnt vmcnt(0)
	v_and_b32_e32 v6, 0xffff, v6
	v_lshlrev_b64 v[18:19], s18, v[6:7]
	s_add_u32 s18, s18, 8
	s_addc_u32 s19, s19, 0
	s_cmp_lg_u32 s23, s20
	v_or_b32_e32 v16, v18, v16
	v_or_b32_e32 v17, v19, v17
	s_cbranch_scc1 .LBB3_64
.LBB3_65:                               ;   in Loop: Header=BB3_33 Depth=1
	s_mov_b32 s22, 0
	s_cbranch_execz .LBB3_67
	s_branch .LBB3_68
.LBB3_66:                               ;   in Loop: Header=BB3_33 Depth=1
                                        ; implicit-def: $sgpr22
.LBB3_67:                               ;   in Loop: Header=BB3_33 Depth=1
	global_load_dwordx2 v[16:17], v7, s[4:5]
	s_add_i32 s22, s23, -8
	s_add_u32 s4, s4, 8
	s_addc_u32 s5, s5, 0
.LBB3_68:                               ;   in Loop: Header=BB3_33 Depth=1
	s_cmp_gt_u32 s22, 7
	s_cbranch_scc1 .LBB3_73
; %bb.69:                               ;   in Loop: Header=BB3_33 Depth=1
	v_mov_b32_e32 v18, 0
	v_mov_b32_e32 v19, 0
	s_cmp_eq_u32 s22, 0
	s_cbranch_scc1 .LBB3_72
; %bb.70:                               ;   in Loop: Header=BB3_33 Depth=1
	s_mov_b64 s[18:19], 0
	s_mov_b64 s[20:21], 0
.LBB3_71:                               ;   Parent Loop BB3_33 Depth=1
                                        ; =>  This Inner Loop Header: Depth=2
	s_add_u32 s24, s4, s20
	s_addc_u32 s25, s5, s21
	s_add_u32 s20, s20, 1
	global_load_ubyte v6, v7, s[24:25]
	s_addc_u32 s21, s21, 0
	s_waitcnt vmcnt(0)
	v_and_b32_e32 v6, 0xffff, v6
	v_lshlrev_b64 v[20:21], s18, v[6:7]
	s_add_u32 s18, s18, 8
	s_addc_u32 s19, s19, 0
	s_cmp_lg_u32 s22, s20
	v_or_b32_e32 v18, v20, v18
	v_or_b32_e32 v19, v21, v19
	s_cbranch_scc1 .LBB3_71
.LBB3_72:                               ;   in Loop: Header=BB3_33 Depth=1
	s_mov_b32 s23, 0
	s_cbranch_execz .LBB3_74
	s_branch .LBB3_75
.LBB3_73:                               ;   in Loop: Header=BB3_33 Depth=1
                                        ; implicit-def: $vgpr18_vgpr19
                                        ; implicit-def: $sgpr23
.LBB3_74:                               ;   in Loop: Header=BB3_33 Depth=1
	global_load_dwordx2 v[18:19], v7, s[4:5]
	s_add_i32 s23, s22, -8
	s_add_u32 s4, s4, 8
	s_addc_u32 s5, s5, 0
.LBB3_75:                               ;   in Loop: Header=BB3_33 Depth=1
	s_cmp_gt_u32 s23, 7
	s_cbranch_scc1 .LBB3_80
; %bb.76:                               ;   in Loop: Header=BB3_33 Depth=1
	v_mov_b32_e32 v20, 0
	v_mov_b32_e32 v21, 0
	s_cmp_eq_u32 s23, 0
	s_cbranch_scc1 .LBB3_79
; %bb.77:                               ;   in Loop: Header=BB3_33 Depth=1
	s_mov_b64 s[18:19], 0
	s_mov_b64 s[20:21], s[4:5]
.LBB3_78:                               ;   Parent Loop BB3_33 Depth=1
                                        ; =>  This Inner Loop Header: Depth=2
	global_load_ubyte v6, v7, s[20:21]
	s_add_i32 s23, s23, -1
	s_waitcnt vmcnt(0)
	v_and_b32_e32 v6, 0xffff, v6
	v_lshlrev_b64 v[22:23], s18, v[6:7]
	s_add_u32 s18, s18, 8
	s_addc_u32 s19, s19, 0
	s_add_u32 s20, s20, 1
	s_addc_u32 s21, s21, 0
	s_cmp_lg_u32 s23, 0
	v_or_b32_e32 v20, v22, v20
	v_or_b32_e32 v21, v23, v21
	s_cbranch_scc1 .LBB3_78
.LBB3_79:                               ;   in Loop: Header=BB3_33 Depth=1
	s_cbranch_execz .LBB3_81
	s_branch .LBB3_82
.LBB3_80:                               ;   in Loop: Header=BB3_33 Depth=1
.LBB3_81:                               ;   in Loop: Header=BB3_33 Depth=1
	global_load_dwordx2 v[20:21], v7, s[4:5]
.LBB3_82:                               ;   in Loop: Header=BB3_33 Depth=1
	v_readfirstlane_b32 s4, v49
	v_mov_b32_e32 v26, 0
	v_mov_b32_e32 v27, 0
	v_cmp_eq_u32_e64 s4, s4, v49
	s_and_saveexec_b32 s5, s4
	s_cbranch_execz .LBB3_88
; %bb.83:                               ;   in Loop: Header=BB3_33 Depth=1
	global_load_dwordx2 v[24:25], v7, s[26:27] offset:24 glc dlc
	s_waitcnt vmcnt(0)
	buffer_gl1_inv
	buffer_gl0_inv
	s_clause 0x1
	global_load_dwordx2 v[22:23], v7, s[26:27] offset:40
	global_load_dwordx2 v[26:27], v7, s[26:27]
	s_mov_b32 s18, exec_lo
	s_waitcnt vmcnt(1)
	v_and_b32_e32 v6, v23, v25
	v_and_b32_e32 v22, v22, v24
	v_mul_lo_u32 v6, v6, 24
	v_mul_hi_u32 v23, v22, 24
	v_mul_lo_u32 v22, v22, 24
	v_add_nc_u32_e32 v6, v23, v6
	s_waitcnt vmcnt(0)
	v_add_co_u32 v22, vcc_lo, v26, v22
	v_add_co_ci_u32_e32 v23, vcc_lo, v27, v6, vcc_lo
	global_load_dwordx2 v[22:23], v[22:23], off glc dlc
	s_waitcnt vmcnt(0)
	global_atomic_cmpswap_x2 v[26:27], v7, v[22:25], s[26:27] offset:24 glc
	s_waitcnt vmcnt(0)
	buffer_gl1_inv
	buffer_gl0_inv
	v_cmpx_ne_u64_e64 v[26:27], v[24:25]
	s_cbranch_execz .LBB3_87
; %bb.84:                               ;   in Loop: Header=BB3_33 Depth=1
	s_mov_b32 s19, 0
	.p2align	6
.LBB3_85:                               ;   Parent Loop BB3_33 Depth=1
                                        ; =>  This Inner Loop Header: Depth=2
	s_sleep 1
	s_clause 0x1
	global_load_dwordx2 v[22:23], v7, s[26:27] offset:40
	global_load_dwordx2 v[29:30], v7, s[26:27]
	v_mov_b32_e32 v24, v26
	v_mov_b32_e32 v25, v27
	s_waitcnt vmcnt(1)
	v_and_b32_e32 v6, v22, v24
	v_and_b32_e32 v22, v23, v25
	s_waitcnt vmcnt(0)
	v_mad_u64_u32 v[26:27], null, v6, 24, v[29:30]
	v_mov_b32_e32 v6, v27
	v_mad_u64_u32 v[22:23], null, v22, 24, v[6:7]
	v_mov_b32_e32 v27, v22
	global_load_dwordx2 v[22:23], v[26:27], off glc dlc
	s_waitcnt vmcnt(0)
	global_atomic_cmpswap_x2 v[26:27], v7, v[22:25], s[26:27] offset:24 glc
	s_waitcnt vmcnt(0)
	buffer_gl1_inv
	buffer_gl0_inv
	v_cmp_eq_u64_e32 vcc_lo, v[26:27], v[24:25]
	s_or_b32 s19, vcc_lo, s19
	s_andn2_b32 exec_lo, exec_lo, s19
	s_cbranch_execnz .LBB3_85
; %bb.86:                               ;   in Loop: Header=BB3_33 Depth=1
	s_or_b32 exec_lo, exec_lo, s19
.LBB3_87:                               ;   in Loop: Header=BB3_33 Depth=1
	s_or_b32 exec_lo, exec_lo, s18
.LBB3_88:                               ;   in Loop: Header=BB3_33 Depth=1
	s_or_b32 exec_lo, exec_lo, s5
	s_clause 0x1
	global_load_dwordx2 v[29:30], v7, s[26:27] offset:40
	global_load_dwordx4 v[22:25], v7, s[26:27]
	v_readfirstlane_b32 s18, v26
	v_readfirstlane_b32 s19, v27
	s_mov_b32 s5, exec_lo
	s_waitcnt vmcnt(1)
	v_readfirstlane_b32 s20, v29
	v_readfirstlane_b32 s21, v30
	s_and_b64 s[20:21], s[18:19], s[20:21]
	s_mul_i32 s22, s21, 24
	s_mul_hi_u32 s23, s20, 24
	s_mul_i32 s24, s20, 24
	s_add_i32 s23, s23, s22
	s_waitcnt vmcnt(0)
	v_add_co_u32 v26, vcc_lo, v22, s24
	v_add_co_ci_u32_e32 v27, vcc_lo, s23, v23, vcc_lo
	s_and_saveexec_b32 s22, s4
	s_cbranch_execz .LBB3_90
; %bb.89:                               ;   in Loop: Header=BB3_33 Depth=1
	v_mov_b32_e32 v6, s5
	global_store_dwordx4 v[26:27], v[6:9], off offset:8
.LBB3_90:                               ;   in Loop: Header=BB3_33 Depth=1
	s_or_b32 exec_lo, exec_lo, s22
	s_lshl_b64 s[20:21], s[20:21], 12
	v_cmp_gt_u64_e64 vcc_lo, s[10:11], 56
	v_or_b32_e32 v29, v0, v28
	v_add_co_u32 v24, s5, v24, s20
	v_add_co_ci_u32_e64 v25, s5, s21, v25, s5
	s_lshl_b32 s5, s16, 2
	v_or_b32_e32 v6, 0, v1
	v_cndmask_b32_e32 v0, v29, v0, vcc_lo
	s_add_i32 s5, s5, 28
	v_readfirstlane_b32 s20, v24
	s_and_b32 s5, s5, 0x1e0
	v_cndmask_b32_e32 v1, v6, v1, vcc_lo
	v_readfirstlane_b32 s21, v25
	v_and_or_b32 v0, 0xffffff1f, v0, s5
	global_store_dwordx4 v48, v[0:3], s[20:21]
	global_store_dwordx4 v48, v[10:13], s[20:21] offset:16
	global_store_dwordx4 v48, v[14:17], s[20:21] offset:32
	;; [unrolled: 1-line block ×3, first 2 shown]
	s_and_saveexec_b32 s5, s4
	s_cbranch_execz .LBB3_98
; %bb.91:                               ;   in Loop: Header=BB3_33 Depth=1
	s_clause 0x1
	global_load_dwordx2 v[14:15], v7, s[26:27] offset:32 glc dlc
	global_load_dwordx2 v[0:1], v7, s[26:27] offset:40
	v_mov_b32_e32 v12, s18
	v_mov_b32_e32 v13, s19
	s_waitcnt vmcnt(0)
	v_readfirstlane_b32 s20, v0
	v_readfirstlane_b32 s21, v1
	s_and_b64 s[20:21], s[20:21], s[18:19]
	s_mul_i32 s21, s21, 24
	s_mul_hi_u32 s22, s20, 24
	s_mul_i32 s20, s20, 24
	s_add_i32 s22, s22, s21
	v_add_co_u32 v10, vcc_lo, v22, s20
	v_add_co_ci_u32_e32 v11, vcc_lo, s22, v23, vcc_lo
	s_mov_b32 s20, exec_lo
	global_store_dwordx2 v[10:11], v[14:15], off
	s_waitcnt_vscnt null, 0x0
	global_atomic_cmpswap_x2 v[2:3], v7, v[12:15], s[26:27] offset:32 glc
	s_waitcnt vmcnt(0)
	v_cmpx_ne_u64_e64 v[2:3], v[14:15]
	s_cbranch_execz .LBB3_94
; %bb.92:                               ;   in Loop: Header=BB3_33 Depth=1
	s_mov_b32 s21, 0
.LBB3_93:                               ;   Parent Loop BB3_33 Depth=1
                                        ; =>  This Inner Loop Header: Depth=2
	v_mov_b32_e32 v0, s18
	v_mov_b32_e32 v1, s19
	s_sleep 1
	global_store_dwordx2 v[10:11], v[2:3], off
	s_waitcnt_vscnt null, 0x0
	global_atomic_cmpswap_x2 v[0:1], v7, v[0:3], s[26:27] offset:32 glc
	s_waitcnt vmcnt(0)
	v_cmp_eq_u64_e32 vcc_lo, v[0:1], v[2:3]
	v_mov_b32_e32 v3, v1
	v_mov_b32_e32 v2, v0
	s_or_b32 s21, vcc_lo, s21
	s_andn2_b32 exec_lo, exec_lo, s21
	s_cbranch_execnz .LBB3_93
.LBB3_94:                               ;   in Loop: Header=BB3_33 Depth=1
	s_or_b32 exec_lo, exec_lo, s20
	global_load_dwordx2 v[0:1], v7, s[26:27] offset:16
	s_mov_b32 s21, exec_lo
	s_mov_b32 s20, exec_lo
	v_mbcnt_lo_u32_b32 v2, s21, 0
	v_cmpx_eq_u32_e32 0, v2
	s_cbranch_execz .LBB3_96
; %bb.95:                               ;   in Loop: Header=BB3_33 Depth=1
	s_bcnt1_i32_b32 s21, s21
	v_mov_b32_e32 v6, s21
	s_waitcnt vmcnt(0)
	global_atomic_add_x2 v[0:1], v[6:7], off offset:8
.LBB3_96:                               ;   in Loop: Header=BB3_33 Depth=1
	s_or_b32 exec_lo, exec_lo, s20
	s_waitcnt vmcnt(0)
	global_load_dwordx2 v[2:3], v[0:1], off offset:16
	s_waitcnt vmcnt(0)
	v_cmp_eq_u64_e32 vcc_lo, 0, v[2:3]
	s_cbranch_vccnz .LBB3_98
; %bb.97:                               ;   in Loop: Header=BB3_33 Depth=1
	global_load_dword v6, v[0:1], off offset:24
	s_waitcnt vmcnt(0)
	v_and_b32_e32 v0, 0x7fffff, v6
	s_waitcnt_vscnt null, 0x0
	global_store_dwordx2 v[2:3], v[6:7], off
	v_readfirstlane_b32 m0, v0
	s_sendmsg sendmsg(MSG_INTERRUPT)
.LBB3_98:                               ;   in Loop: Header=BB3_33 Depth=1
	s_or_b32 exec_lo, exec_lo, s5
	v_add_co_u32 v0, vcc_lo, v24, v48
	v_add_co_ci_u32_e32 v1, vcc_lo, 0, v25, vcc_lo
	s_branch .LBB3_102
	.p2align	6
.LBB3_99:                               ;   in Loop: Header=BB3_102 Depth=2
	s_or_b32 exec_lo, exec_lo, s5
	v_readfirstlane_b32 s5, v2
	s_cmp_eq_u32 s5, 0
	s_cbranch_scc1 .LBB3_101
; %bb.100:                              ;   in Loop: Header=BB3_102 Depth=2
	s_sleep 1
	s_cbranch_execnz .LBB3_102
	s_branch .LBB3_104
	.p2align	6
.LBB3_101:                              ;   in Loop: Header=BB3_33 Depth=1
	s_branch .LBB3_104
.LBB3_102:                              ;   Parent Loop BB3_33 Depth=1
                                        ; =>  This Inner Loop Header: Depth=2
	v_mov_b32_e32 v2, 1
	s_and_saveexec_b32 s5, s4
	s_cbranch_execz .LBB3_99
; %bb.103:                              ;   in Loop: Header=BB3_102 Depth=2
	global_load_dword v2, v[26:27], off offset:20 glc dlc
	s_waitcnt vmcnt(0)
	buffer_gl1_inv
	buffer_gl0_inv
	v_and_b32_e32 v2, 1, v2
	s_branch .LBB3_99
.LBB3_104:                              ;   in Loop: Header=BB3_33 Depth=1
	global_load_dwordx4 v[0:3], v[0:1], off
	s_and_saveexec_b32 s5, s4
	s_cbranch_execz .LBB3_32
; %bb.105:                              ;   in Loop: Header=BB3_33 Depth=1
	s_clause 0x2
	global_load_dwordx2 v[2:3], v7, s[26:27] offset:40
	global_load_dwordx2 v[14:15], v7, s[26:27] offset:24 glc dlc
	global_load_dwordx2 v[12:13], v7, s[26:27]
	s_waitcnt vmcnt(2)
	v_add_co_u32 v6, vcc_lo, v2, 1
	v_add_co_ci_u32_e32 v16, vcc_lo, 0, v3, vcc_lo
	v_add_co_u32 v10, vcc_lo, v6, s18
	v_add_co_ci_u32_e32 v11, vcc_lo, s19, v16, vcc_lo
	v_cmp_eq_u64_e32 vcc_lo, 0, v[10:11]
	v_cndmask_b32_e32 v11, v11, v16, vcc_lo
	v_cndmask_b32_e32 v10, v10, v6, vcc_lo
	v_and_b32_e32 v3, v11, v3
	v_and_b32_e32 v2, v10, v2
	v_mul_lo_u32 v3, v3, 24
	v_mul_hi_u32 v6, v2, 24
	v_mul_lo_u32 v2, v2, 24
	v_add_nc_u32_e32 v3, v6, v3
	s_waitcnt vmcnt(0)
	v_add_co_u32 v2, vcc_lo, v12, v2
	v_mov_b32_e32 v12, v14
	v_add_co_ci_u32_e32 v3, vcc_lo, v13, v3, vcc_lo
	v_mov_b32_e32 v13, v15
	global_store_dwordx2 v[2:3], v[14:15], off
	s_waitcnt_vscnt null, 0x0
	global_atomic_cmpswap_x2 v[12:13], v7, v[10:13], s[26:27] offset:24 glc
	s_waitcnt vmcnt(0)
	v_cmp_ne_u64_e32 vcc_lo, v[12:13], v[14:15]
	s_and_b32 exec_lo, exec_lo, vcc_lo
	s_cbranch_execz .LBB3_32
; %bb.106:                              ;   in Loop: Header=BB3_33 Depth=1
	s_mov_b32 s4, 0
.LBB3_107:                              ;   Parent Loop BB3_33 Depth=1
                                        ; =>  This Inner Loop Header: Depth=2
	s_sleep 1
	global_store_dwordx2 v[2:3], v[12:13], off
	s_waitcnt_vscnt null, 0x0
	global_atomic_cmpswap_x2 v[14:15], v7, v[10:13], s[26:27] offset:24 glc
	s_waitcnt vmcnt(0)
	v_cmp_eq_u64_e32 vcc_lo, v[14:15], v[12:13]
	v_mov_b32_e32 v12, v14
	v_mov_b32_e32 v13, v15
	s_or_b32 s4, vcc_lo, s4
	s_andn2_b32 exec_lo, exec_lo, s4
	s_cbranch_execnz .LBB3_107
	s_branch .LBB3_32
.LBB3_108:
	s_branch .LBB3_137
.LBB3_109:
                                        ; implicit-def: $vgpr0_vgpr1
	s_cbranch_execz .LBB3_137
; %bb.110:
	v_readfirstlane_b32 s4, v49
	v_mov_b32_e32 v7, 0
	v_mov_b32_e32 v8, 0
	v_cmp_eq_u32_e64 s4, s4, v49
	s_and_saveexec_b32 s5, s4
	s_cbranch_execz .LBB3_116
; %bb.111:
	s_waitcnt vmcnt(0)
	v_mov_b32_e32 v0, 0
	s_mov_b32 s6, exec_lo
	global_load_dwordx2 v[9:10], v0, s[26:27] offset:24 glc dlc
	s_waitcnt vmcnt(0)
	buffer_gl1_inv
	buffer_gl0_inv
	s_clause 0x1
	global_load_dwordx2 v[1:2], v0, s[26:27] offset:40
	global_load_dwordx2 v[6:7], v0, s[26:27]
	s_waitcnt vmcnt(1)
	v_and_b32_e32 v2, v2, v10
	v_and_b32_e32 v1, v1, v9
	v_mul_lo_u32 v2, v2, 24
	v_mul_hi_u32 v3, v1, 24
	v_mul_lo_u32 v1, v1, 24
	v_add_nc_u32_e32 v2, v3, v2
	s_waitcnt vmcnt(0)
	v_add_co_u32 v1, vcc_lo, v6, v1
	v_add_co_ci_u32_e32 v2, vcc_lo, v7, v2, vcc_lo
	global_load_dwordx2 v[7:8], v[1:2], off glc dlc
	s_waitcnt vmcnt(0)
	global_atomic_cmpswap_x2 v[7:8], v0, v[7:10], s[26:27] offset:24 glc
	s_waitcnt vmcnt(0)
	buffer_gl1_inv
	buffer_gl0_inv
	v_cmpx_ne_u64_e64 v[7:8], v[9:10]
	s_cbranch_execz .LBB3_115
; %bb.112:
	s_mov_b32 s7, 0
	.p2align	6
.LBB3_113:                              ; =>This Inner Loop Header: Depth=1
	s_sleep 1
	s_clause 0x1
	global_load_dwordx2 v[1:2], v0, s[26:27] offset:40
	global_load_dwordx2 v[11:12], v0, s[26:27]
	v_mov_b32_e32 v10, v8
	v_mov_b32_e32 v9, v7
	s_waitcnt vmcnt(1)
	v_and_b32_e32 v1, v1, v9
	v_and_b32_e32 v2, v2, v10
	s_waitcnt vmcnt(0)
	v_mad_u64_u32 v[6:7], null, v1, 24, v[11:12]
	v_mov_b32_e32 v1, v7
	v_mad_u64_u32 v[1:2], null, v2, 24, v[1:2]
	v_mov_b32_e32 v7, v1
	global_load_dwordx2 v[7:8], v[6:7], off glc dlc
	s_waitcnt vmcnt(0)
	global_atomic_cmpswap_x2 v[7:8], v0, v[7:10], s[26:27] offset:24 glc
	s_waitcnt vmcnt(0)
	buffer_gl1_inv
	buffer_gl0_inv
	v_cmp_eq_u64_e32 vcc_lo, v[7:8], v[9:10]
	s_or_b32 s7, vcc_lo, s7
	s_andn2_b32 exec_lo, exec_lo, s7
	s_cbranch_execnz .LBB3_113
; %bb.114:
	s_or_b32 exec_lo, exec_lo, s7
.LBB3_115:
	s_or_b32 exec_lo, exec_lo, s6
.LBB3_116:
	s_or_b32 exec_lo, exec_lo, s5
	v_mov_b32_e32 v6, 0
	v_readfirstlane_b32 s6, v7
	v_readfirstlane_b32 s7, v8
	s_mov_b32 s5, exec_lo
	s_clause 0x1
	global_load_dwordx2 v[9:10], v6, s[26:27] offset:40
	global_load_dwordx4 v[0:3], v6, s[26:27]
	s_waitcnt vmcnt(1)
	v_readfirstlane_b32 s10, v9
	v_readfirstlane_b32 s11, v10
	s_and_b64 s[10:11], s[6:7], s[10:11]
	s_mul_i32 s16, s11, 24
	s_mul_hi_u32 s17, s10, 24
	s_mul_i32 s18, s10, 24
	s_add_i32 s17, s17, s16
	s_waitcnt vmcnt(0)
	v_add_co_u32 v8, vcc_lo, v0, s18
	v_add_co_ci_u32_e32 v9, vcc_lo, s17, v1, vcc_lo
	s_and_saveexec_b32 s16, s4
	s_cbranch_execz .LBB3_118
; %bb.117:
	v_mov_b32_e32 v10, s5
	v_mov_b32_e32 v11, v6
	;; [unrolled: 1-line block ×4, first 2 shown]
	global_store_dwordx4 v[8:9], v[10:13], off offset:8
.LBB3_118:
	s_or_b32 exec_lo, exec_lo, s16
	s_lshl_b64 s[10:11], s[10:11], 12
	s_mov_b32 s16, 0
	v_add_co_u32 v2, vcc_lo, v2, s10
	v_add_co_ci_u32_e32 v3, vcc_lo, s11, v3, vcc_lo
	s_mov_b32 s17, s16
	v_add_co_u32 v10, vcc_lo, v2, v48
	s_mov_b32 s18, s16
	s_mov_b32 s19, s16
	v_and_or_b32 v4, 0xffffff1f, v4, 32
	v_mov_b32_e32 v7, v6
	v_readfirstlane_b32 s10, v2
	v_readfirstlane_b32 s11, v3
	v_mov_b32_e32 v12, s16
	v_add_co_ci_u32_e32 v11, vcc_lo, 0, v3, vcc_lo
	v_mov_b32_e32 v13, s17
	v_mov_b32_e32 v14, s18
	;; [unrolled: 1-line block ×3, first 2 shown]
	global_store_dwordx4 v48, v[4:7], s[10:11]
	global_store_dwordx4 v48, v[12:15], s[10:11] offset:16
	global_store_dwordx4 v48, v[12:15], s[10:11] offset:32
	;; [unrolled: 1-line block ×3, first 2 shown]
	s_and_saveexec_b32 s5, s4
	s_cbranch_execz .LBB3_126
; %bb.119:
	v_mov_b32_e32 v6, 0
	v_mov_b32_e32 v12, s6
	;; [unrolled: 1-line block ×3, first 2 shown]
	s_clause 0x1
	global_load_dwordx2 v[14:15], v6, s[26:27] offset:32 glc dlc
	global_load_dwordx2 v[2:3], v6, s[26:27] offset:40
	s_waitcnt vmcnt(0)
	v_readfirstlane_b32 s10, v2
	v_readfirstlane_b32 s11, v3
	s_and_b64 s[10:11], s[10:11], s[6:7]
	s_mul_i32 s11, s11, 24
	s_mul_hi_u32 s16, s10, 24
	s_mul_i32 s10, s10, 24
	s_add_i32 s16, s16, s11
	v_add_co_u32 v4, vcc_lo, v0, s10
	v_add_co_ci_u32_e32 v5, vcc_lo, s16, v1, vcc_lo
	s_mov_b32 s10, exec_lo
	global_store_dwordx2 v[4:5], v[14:15], off
	s_waitcnt_vscnt null, 0x0
	global_atomic_cmpswap_x2 v[2:3], v6, v[12:15], s[26:27] offset:32 glc
	s_waitcnt vmcnt(0)
	v_cmpx_ne_u64_e64 v[2:3], v[14:15]
	s_cbranch_execz .LBB3_122
; %bb.120:
	s_mov_b32 s11, 0
.LBB3_121:                              ; =>This Inner Loop Header: Depth=1
	v_mov_b32_e32 v0, s6
	v_mov_b32_e32 v1, s7
	s_sleep 1
	global_store_dwordx2 v[4:5], v[2:3], off
	s_waitcnt_vscnt null, 0x0
	global_atomic_cmpswap_x2 v[0:1], v6, v[0:3], s[26:27] offset:32 glc
	s_waitcnt vmcnt(0)
	v_cmp_eq_u64_e32 vcc_lo, v[0:1], v[2:3]
	v_mov_b32_e32 v3, v1
	v_mov_b32_e32 v2, v0
	s_or_b32 s11, vcc_lo, s11
	s_andn2_b32 exec_lo, exec_lo, s11
	s_cbranch_execnz .LBB3_121
.LBB3_122:
	s_or_b32 exec_lo, exec_lo, s10
	v_mov_b32_e32 v3, 0
	s_mov_b32 s11, exec_lo
	s_mov_b32 s10, exec_lo
	v_mbcnt_lo_u32_b32 v2, s11, 0
	global_load_dwordx2 v[0:1], v3, s[26:27] offset:16
	v_cmpx_eq_u32_e32 0, v2
	s_cbranch_execz .LBB3_124
; %bb.123:
	s_bcnt1_i32_b32 s11, s11
	v_mov_b32_e32 v2, s11
	s_waitcnt vmcnt(0)
	global_atomic_add_x2 v[0:1], v[2:3], off offset:8
.LBB3_124:
	s_or_b32 exec_lo, exec_lo, s10
	s_waitcnt vmcnt(0)
	global_load_dwordx2 v[2:3], v[0:1], off offset:16
	s_waitcnt vmcnt(0)
	v_cmp_eq_u64_e32 vcc_lo, 0, v[2:3]
	s_cbranch_vccnz .LBB3_126
; %bb.125:
	global_load_dword v0, v[0:1], off offset:24
	v_mov_b32_e32 v1, 0
	s_waitcnt vmcnt(0)
	v_and_b32_e32 v4, 0x7fffff, v0
	s_waitcnt_vscnt null, 0x0
	global_store_dwordx2 v[2:3], v[0:1], off
	v_readfirstlane_b32 m0, v4
	s_sendmsg sendmsg(MSG_INTERRUPT)
.LBB3_126:
	s_or_b32 exec_lo, exec_lo, s5
	s_branch .LBB3_130
	.p2align	6
.LBB3_127:                              ;   in Loop: Header=BB3_130 Depth=1
	s_or_b32 exec_lo, exec_lo, s5
	v_readfirstlane_b32 s5, v0
	s_cmp_eq_u32 s5, 0
	s_cbranch_scc1 .LBB3_129
; %bb.128:                              ;   in Loop: Header=BB3_130 Depth=1
	s_sleep 1
	s_cbranch_execnz .LBB3_130
	s_branch .LBB3_132
	.p2align	6
.LBB3_129:
	s_branch .LBB3_132
.LBB3_130:                              ; =>This Inner Loop Header: Depth=1
	v_mov_b32_e32 v0, 1
	s_and_saveexec_b32 s5, s4
	s_cbranch_execz .LBB3_127
; %bb.131:                              ;   in Loop: Header=BB3_130 Depth=1
	global_load_dword v0, v[8:9], off offset:20 glc dlc
	s_waitcnt vmcnt(0)
	buffer_gl1_inv
	buffer_gl0_inv
	v_and_b32_e32 v0, 1, v0
	s_branch .LBB3_127
.LBB3_132:
	global_load_dwordx2 v[0:1], v[10:11], off
	s_and_saveexec_b32 s5, s4
	s_cbranch_execz .LBB3_136
; %bb.133:
	v_mov_b32_e32 v8, 0
	s_clause 0x2
	global_load_dwordx2 v[4:5], v8, s[26:27] offset:40
	global_load_dwordx2 v[9:10], v8, s[26:27] offset:24 glc dlc
	global_load_dwordx2 v[6:7], v8, s[26:27]
	s_waitcnt vmcnt(2)
	v_add_co_u32 v11, vcc_lo, v4, 1
	v_add_co_ci_u32_e32 v12, vcc_lo, 0, v5, vcc_lo
	v_add_co_u32 v2, vcc_lo, v11, s6
	v_add_co_ci_u32_e32 v3, vcc_lo, s7, v12, vcc_lo
	v_cmp_eq_u64_e32 vcc_lo, 0, v[2:3]
	v_cndmask_b32_e32 v3, v3, v12, vcc_lo
	v_cndmask_b32_e32 v2, v2, v11, vcc_lo
	v_and_b32_e32 v5, v3, v5
	v_and_b32_e32 v4, v2, v4
	v_mul_lo_u32 v5, v5, 24
	v_mul_hi_u32 v11, v4, 24
	v_mul_lo_u32 v4, v4, 24
	v_add_nc_u32_e32 v5, v11, v5
	s_waitcnt vmcnt(0)
	v_add_co_u32 v6, vcc_lo, v6, v4
	v_mov_b32_e32 v4, v9
	v_add_co_ci_u32_e32 v7, vcc_lo, v7, v5, vcc_lo
	v_mov_b32_e32 v5, v10
	global_store_dwordx2 v[6:7], v[9:10], off
	s_waitcnt_vscnt null, 0x0
	global_atomic_cmpswap_x2 v[4:5], v8, v[2:5], s[26:27] offset:24 glc
	s_waitcnt vmcnt(0)
	v_cmp_ne_u64_e32 vcc_lo, v[4:5], v[9:10]
	s_and_b32 exec_lo, exec_lo, vcc_lo
	s_cbranch_execz .LBB3_136
; %bb.134:
	s_mov_b32 s4, 0
.LBB3_135:                              ; =>This Inner Loop Header: Depth=1
	s_sleep 1
	global_store_dwordx2 v[6:7], v[4:5], off
	s_waitcnt_vscnt null, 0x0
	global_atomic_cmpswap_x2 v[9:10], v8, v[2:5], s[26:27] offset:24 glc
	s_waitcnt vmcnt(0)
	v_cmp_eq_u64_e32 vcc_lo, v[9:10], v[4:5]
	v_mov_b32_e32 v4, v9
	v_mov_b32_e32 v5, v10
	s_or_b32 s4, vcc_lo, s4
	s_andn2_b32 exec_lo, exec_lo, s4
	s_cbranch_execnz .LBB3_135
.LBB3_136:
	s_or_b32 exec_lo, exec_lo, s5
.LBB3_137:
	s_getpc_b64 s[6:7]
	s_add_u32 s6, s6, __PRETTY_FUNCTION__._ZL21upper_bound_all_equalRN8migraphx4test12test_managerE@rel32@lo+4
	s_addc_u32 s7, s7, __PRETTY_FUNCTION__._ZL21upper_bound_all_equalRN8migraphx4test12test_managerE@rel32@hi+12
	s_cmp_lg_u64 s[6:7], 0
	s_cbranch_scc0 .LBB3_216
; %bb.138:
	s_waitcnt vmcnt(0)
	v_and_b32_e32 v6, -3, v0
	v_mov_b32_e32 v7, v1
	v_mov_b32_e32 v3, 0
	;; [unrolled: 1-line block ×4, first 2 shown]
	s_mov_b64 s[10:11], 59
	s_branch .LBB3_140
.LBB3_139:                              ;   in Loop: Header=BB3_140 Depth=1
	s_or_b32 exec_lo, exec_lo, s5
	s_sub_u32 s10, s10, s16
	s_subb_u32 s11, s11, s17
	s_add_u32 s6, s6, s16
	s_addc_u32 s7, s7, s17
	s_cmp_lg_u64 s[10:11], 0
	s_cbranch_scc0 .LBB3_215
.LBB3_140:                              ; =>This Loop Header: Depth=1
                                        ;     Child Loop BB3_149 Depth 2
                                        ;     Child Loop BB3_145 Depth 2
	;; [unrolled: 1-line block ×11, first 2 shown]
	v_cmp_lt_u64_e64 s4, s[10:11], 56
	v_cmp_gt_u64_e64 s5, s[10:11], 7
                                        ; implicit-def: $sgpr22
	s_and_b32 s4, s4, exec_lo
	s_cselect_b32 s17, s11, 0
	s_cselect_b32 s16, s10, 56
	s_and_b32 vcc_lo, exec_lo, s5
	s_mov_b32 s4, -1
	s_cbranch_vccz .LBB3_147
; %bb.141:                              ;   in Loop: Header=BB3_140 Depth=1
	s_andn2_b32 vcc_lo, exec_lo, s4
	s_mov_b64 s[4:5], s[6:7]
	s_cbranch_vccz .LBB3_151
.LBB3_142:                              ;   in Loop: Header=BB3_140 Depth=1
	s_cmp_gt_u32 s22, 7
	s_cbranch_scc1 .LBB3_152
.LBB3_143:                              ;   in Loop: Header=BB3_140 Depth=1
	v_mov_b32_e32 v10, 0
	v_mov_b32_e32 v11, 0
	s_cmp_eq_u32 s22, 0
	s_cbranch_scc1 .LBB3_146
; %bb.144:                              ;   in Loop: Header=BB3_140 Depth=1
	s_mov_b64 s[18:19], 0
	s_mov_b64 s[20:21], 0
.LBB3_145:                              ;   Parent Loop BB3_140 Depth=1
                                        ; =>  This Inner Loop Header: Depth=2
	s_add_u32 s24, s4, s20
	s_addc_u32 s25, s5, s21
	s_add_u32 s20, s20, 1
	global_load_ubyte v2, v3, s[24:25]
	s_addc_u32 s21, s21, 0
	s_waitcnt vmcnt(0)
	v_and_b32_e32 v2, 0xffff, v2
	v_lshlrev_b64 v[12:13], s18, v[2:3]
	s_add_u32 s18, s18, 8
	s_addc_u32 s19, s19, 0
	s_cmp_lg_u32 s22, s20
	v_or_b32_e32 v10, v12, v10
	v_or_b32_e32 v11, v13, v11
	s_cbranch_scc1 .LBB3_145
.LBB3_146:                              ;   in Loop: Header=BB3_140 Depth=1
	s_mov_b32 s23, 0
	s_cbranch_execz .LBB3_153
	s_branch .LBB3_154
.LBB3_147:                              ;   in Loop: Header=BB3_140 Depth=1
	s_waitcnt vmcnt(0)
	v_mov_b32_e32 v8, 0
	v_mov_b32_e32 v9, 0
	s_cmp_eq_u64 s[10:11], 0
	s_mov_b64 s[4:5], 0
	s_cbranch_scc1 .LBB3_150
; %bb.148:                              ;   in Loop: Header=BB3_140 Depth=1
	v_mov_b32_e32 v8, 0
	v_mov_b32_e32 v9, 0
	s_lshl_b64 s[18:19], s[16:17], 3
	s_mov_b64 s[20:21], s[6:7]
.LBB3_149:                              ;   Parent Loop BB3_140 Depth=1
                                        ; =>  This Inner Loop Header: Depth=2
	global_load_ubyte v2, v3, s[20:21]
	s_waitcnt vmcnt(0)
	v_and_b32_e32 v2, 0xffff, v2
	v_lshlrev_b64 v[10:11], s4, v[2:3]
	s_add_u32 s4, s4, 8
	s_addc_u32 s5, s5, 0
	s_add_u32 s20, s20, 1
	s_addc_u32 s21, s21, 0
	s_cmp_lg_u32 s18, s4
	v_or_b32_e32 v8, v10, v8
	v_or_b32_e32 v9, v11, v9
	s_cbranch_scc1 .LBB3_149
.LBB3_150:                              ;   in Loop: Header=BB3_140 Depth=1
	s_mov_b32 s22, 0
	s_mov_b64 s[4:5], s[6:7]
	s_cbranch_execnz .LBB3_142
.LBB3_151:                              ;   in Loop: Header=BB3_140 Depth=1
	global_load_dwordx2 v[8:9], v3, s[6:7]
	s_add_i32 s22, s16, -8
	s_add_u32 s4, s6, 8
	s_addc_u32 s5, s7, 0
	s_cmp_gt_u32 s22, 7
	s_cbranch_scc0 .LBB3_143
.LBB3_152:                              ;   in Loop: Header=BB3_140 Depth=1
                                        ; implicit-def: $vgpr10_vgpr11
                                        ; implicit-def: $sgpr23
.LBB3_153:                              ;   in Loop: Header=BB3_140 Depth=1
	global_load_dwordx2 v[10:11], v3, s[4:5]
	s_add_i32 s23, s22, -8
	s_add_u32 s4, s4, 8
	s_addc_u32 s5, s5, 0
.LBB3_154:                              ;   in Loop: Header=BB3_140 Depth=1
	s_cmp_gt_u32 s23, 7
	s_cbranch_scc1 .LBB3_159
; %bb.155:                              ;   in Loop: Header=BB3_140 Depth=1
	v_mov_b32_e32 v12, 0
	v_mov_b32_e32 v13, 0
	s_cmp_eq_u32 s23, 0
	s_cbranch_scc1 .LBB3_158
; %bb.156:                              ;   in Loop: Header=BB3_140 Depth=1
	s_mov_b64 s[18:19], 0
	s_mov_b64 s[20:21], 0
.LBB3_157:                              ;   Parent Loop BB3_140 Depth=1
                                        ; =>  This Inner Loop Header: Depth=2
	s_add_u32 s24, s4, s20
	s_addc_u32 s25, s5, s21
	s_add_u32 s20, s20, 1
	global_load_ubyte v2, v3, s[24:25]
	s_addc_u32 s21, s21, 0
	s_waitcnt vmcnt(0)
	v_and_b32_e32 v2, 0xffff, v2
	v_lshlrev_b64 v[14:15], s18, v[2:3]
	s_add_u32 s18, s18, 8
	s_addc_u32 s19, s19, 0
	s_cmp_lg_u32 s23, s20
	v_or_b32_e32 v12, v14, v12
	v_or_b32_e32 v13, v15, v13
	s_cbranch_scc1 .LBB3_157
.LBB3_158:                              ;   in Loop: Header=BB3_140 Depth=1
	s_mov_b32 s22, 0
	s_cbranch_execz .LBB3_160
	s_branch .LBB3_161
.LBB3_159:                              ;   in Loop: Header=BB3_140 Depth=1
                                        ; implicit-def: $sgpr22
.LBB3_160:                              ;   in Loop: Header=BB3_140 Depth=1
	global_load_dwordx2 v[12:13], v3, s[4:5]
	s_add_i32 s22, s23, -8
	s_add_u32 s4, s4, 8
	s_addc_u32 s5, s5, 0
.LBB3_161:                              ;   in Loop: Header=BB3_140 Depth=1
	s_cmp_gt_u32 s22, 7
	s_cbranch_scc1 .LBB3_166
; %bb.162:                              ;   in Loop: Header=BB3_140 Depth=1
	v_mov_b32_e32 v14, 0
	v_mov_b32_e32 v15, 0
	s_cmp_eq_u32 s22, 0
	s_cbranch_scc1 .LBB3_165
; %bb.163:                              ;   in Loop: Header=BB3_140 Depth=1
	s_mov_b64 s[18:19], 0
	s_mov_b64 s[20:21], 0
.LBB3_164:                              ;   Parent Loop BB3_140 Depth=1
                                        ; =>  This Inner Loop Header: Depth=2
	s_add_u32 s24, s4, s20
	s_addc_u32 s25, s5, s21
	s_add_u32 s20, s20, 1
	global_load_ubyte v2, v3, s[24:25]
	s_addc_u32 s21, s21, 0
	s_waitcnt vmcnt(0)
	v_and_b32_e32 v2, 0xffff, v2
	v_lshlrev_b64 v[16:17], s18, v[2:3]
	s_add_u32 s18, s18, 8
	s_addc_u32 s19, s19, 0
	s_cmp_lg_u32 s22, s20
	v_or_b32_e32 v14, v16, v14
	v_or_b32_e32 v15, v17, v15
	s_cbranch_scc1 .LBB3_164
.LBB3_165:                              ;   in Loop: Header=BB3_140 Depth=1
	s_mov_b32 s23, 0
	s_cbranch_execz .LBB3_167
	s_branch .LBB3_168
.LBB3_166:                              ;   in Loop: Header=BB3_140 Depth=1
                                        ; implicit-def: $vgpr14_vgpr15
                                        ; implicit-def: $sgpr23
.LBB3_167:                              ;   in Loop: Header=BB3_140 Depth=1
	global_load_dwordx2 v[14:15], v3, s[4:5]
	s_add_i32 s23, s22, -8
	s_add_u32 s4, s4, 8
	s_addc_u32 s5, s5, 0
.LBB3_168:                              ;   in Loop: Header=BB3_140 Depth=1
	s_cmp_gt_u32 s23, 7
	s_cbranch_scc1 .LBB3_173
; %bb.169:                              ;   in Loop: Header=BB3_140 Depth=1
	v_mov_b32_e32 v16, 0
	v_mov_b32_e32 v17, 0
	s_cmp_eq_u32 s23, 0
	s_cbranch_scc1 .LBB3_172
; %bb.170:                              ;   in Loop: Header=BB3_140 Depth=1
	s_mov_b64 s[18:19], 0
	s_mov_b64 s[20:21], 0
.LBB3_171:                              ;   Parent Loop BB3_140 Depth=1
                                        ; =>  This Inner Loop Header: Depth=2
	s_add_u32 s24, s4, s20
	s_addc_u32 s25, s5, s21
	s_add_u32 s20, s20, 1
	global_load_ubyte v2, v3, s[24:25]
	s_addc_u32 s21, s21, 0
	s_waitcnt vmcnt(0)
	v_and_b32_e32 v2, 0xffff, v2
	v_lshlrev_b64 v[18:19], s18, v[2:3]
	s_add_u32 s18, s18, 8
	s_addc_u32 s19, s19, 0
	s_cmp_lg_u32 s23, s20
	v_or_b32_e32 v16, v18, v16
	v_or_b32_e32 v17, v19, v17
	s_cbranch_scc1 .LBB3_171
.LBB3_172:                              ;   in Loop: Header=BB3_140 Depth=1
	s_mov_b32 s22, 0
	s_cbranch_execz .LBB3_174
	s_branch .LBB3_175
.LBB3_173:                              ;   in Loop: Header=BB3_140 Depth=1
                                        ; implicit-def: $sgpr22
.LBB3_174:                              ;   in Loop: Header=BB3_140 Depth=1
	global_load_dwordx2 v[16:17], v3, s[4:5]
	s_add_i32 s22, s23, -8
	s_add_u32 s4, s4, 8
	s_addc_u32 s5, s5, 0
.LBB3_175:                              ;   in Loop: Header=BB3_140 Depth=1
	s_cmp_gt_u32 s22, 7
	s_cbranch_scc1 .LBB3_180
; %bb.176:                              ;   in Loop: Header=BB3_140 Depth=1
	v_mov_b32_e32 v18, 0
	v_mov_b32_e32 v19, 0
	s_cmp_eq_u32 s22, 0
	s_cbranch_scc1 .LBB3_179
; %bb.177:                              ;   in Loop: Header=BB3_140 Depth=1
	s_mov_b64 s[18:19], 0
	s_mov_b64 s[20:21], 0
.LBB3_178:                              ;   Parent Loop BB3_140 Depth=1
                                        ; =>  This Inner Loop Header: Depth=2
	s_add_u32 s24, s4, s20
	s_addc_u32 s25, s5, s21
	s_add_u32 s20, s20, 1
	global_load_ubyte v2, v3, s[24:25]
	s_addc_u32 s21, s21, 0
	s_waitcnt vmcnt(0)
	v_and_b32_e32 v2, 0xffff, v2
	v_lshlrev_b64 v[20:21], s18, v[2:3]
	s_add_u32 s18, s18, 8
	s_addc_u32 s19, s19, 0
	s_cmp_lg_u32 s22, s20
	v_or_b32_e32 v18, v20, v18
	v_or_b32_e32 v19, v21, v19
	s_cbranch_scc1 .LBB3_178
.LBB3_179:                              ;   in Loop: Header=BB3_140 Depth=1
	s_mov_b32 s23, 0
	s_cbranch_execz .LBB3_181
	s_branch .LBB3_182
.LBB3_180:                              ;   in Loop: Header=BB3_140 Depth=1
                                        ; implicit-def: $vgpr18_vgpr19
                                        ; implicit-def: $sgpr23
.LBB3_181:                              ;   in Loop: Header=BB3_140 Depth=1
	global_load_dwordx2 v[18:19], v3, s[4:5]
	s_add_i32 s23, s22, -8
	s_add_u32 s4, s4, 8
	s_addc_u32 s5, s5, 0
.LBB3_182:                              ;   in Loop: Header=BB3_140 Depth=1
	s_cmp_gt_u32 s23, 7
	s_cbranch_scc1 .LBB3_187
; %bb.183:                              ;   in Loop: Header=BB3_140 Depth=1
	v_mov_b32_e32 v20, 0
	v_mov_b32_e32 v21, 0
	s_cmp_eq_u32 s23, 0
	s_cbranch_scc1 .LBB3_186
; %bb.184:                              ;   in Loop: Header=BB3_140 Depth=1
	s_mov_b64 s[18:19], 0
	s_mov_b64 s[20:21], s[4:5]
.LBB3_185:                              ;   Parent Loop BB3_140 Depth=1
                                        ; =>  This Inner Loop Header: Depth=2
	global_load_ubyte v2, v3, s[20:21]
	s_add_i32 s23, s23, -1
	s_waitcnt vmcnt(0)
	v_and_b32_e32 v2, 0xffff, v2
	v_lshlrev_b64 v[22:23], s18, v[2:3]
	s_add_u32 s18, s18, 8
	s_addc_u32 s19, s19, 0
	s_add_u32 s20, s20, 1
	s_addc_u32 s21, s21, 0
	s_cmp_lg_u32 s23, 0
	v_or_b32_e32 v20, v22, v20
	v_or_b32_e32 v21, v23, v21
	s_cbranch_scc1 .LBB3_185
.LBB3_186:                              ;   in Loop: Header=BB3_140 Depth=1
	s_cbranch_execz .LBB3_188
	s_branch .LBB3_189
.LBB3_187:                              ;   in Loop: Header=BB3_140 Depth=1
.LBB3_188:                              ;   in Loop: Header=BB3_140 Depth=1
	global_load_dwordx2 v[20:21], v3, s[4:5]
.LBB3_189:                              ;   in Loop: Header=BB3_140 Depth=1
	v_readfirstlane_b32 s4, v49
	v_mov_b32_e32 v26, 0
	v_mov_b32_e32 v27, 0
	v_cmp_eq_u32_e64 s4, s4, v49
	s_and_saveexec_b32 s5, s4
	s_cbranch_execz .LBB3_195
; %bb.190:                              ;   in Loop: Header=BB3_140 Depth=1
	global_load_dwordx2 v[24:25], v3, s[26:27] offset:24 glc dlc
	s_waitcnt vmcnt(0)
	buffer_gl1_inv
	buffer_gl0_inv
	s_clause 0x1
	global_load_dwordx2 v[22:23], v3, s[26:27] offset:40
	global_load_dwordx2 v[26:27], v3, s[26:27]
	s_mov_b32 s18, exec_lo
	s_waitcnt vmcnt(1)
	v_and_b32_e32 v2, v23, v25
	v_and_b32_e32 v22, v22, v24
	v_mul_lo_u32 v2, v2, 24
	v_mul_hi_u32 v23, v22, 24
	v_mul_lo_u32 v22, v22, 24
	v_add_nc_u32_e32 v2, v23, v2
	s_waitcnt vmcnt(0)
	v_add_co_u32 v22, vcc_lo, v26, v22
	v_add_co_ci_u32_e32 v23, vcc_lo, v27, v2, vcc_lo
	global_load_dwordx2 v[22:23], v[22:23], off glc dlc
	s_waitcnt vmcnt(0)
	global_atomic_cmpswap_x2 v[26:27], v3, v[22:25], s[26:27] offset:24 glc
	s_waitcnt vmcnt(0)
	buffer_gl1_inv
	buffer_gl0_inv
	v_cmpx_ne_u64_e64 v[26:27], v[24:25]
	s_cbranch_execz .LBB3_194
; %bb.191:                              ;   in Loop: Header=BB3_140 Depth=1
	s_mov_b32 s19, 0
	.p2align	6
.LBB3_192:                              ;   Parent Loop BB3_140 Depth=1
                                        ; =>  This Inner Loop Header: Depth=2
	s_sleep 1
	s_clause 0x1
	global_load_dwordx2 v[22:23], v3, s[26:27] offset:40
	global_load_dwordx2 v[28:29], v3, s[26:27]
	v_mov_b32_e32 v24, v26
	v_mov_b32_e32 v25, v27
	s_waitcnt vmcnt(1)
	v_and_b32_e32 v2, v22, v24
	v_and_b32_e32 v22, v23, v25
	s_waitcnt vmcnt(0)
	v_mad_u64_u32 v[26:27], null, v2, 24, v[28:29]
	v_mov_b32_e32 v2, v27
	v_mad_u64_u32 v[22:23], null, v22, 24, v[2:3]
	v_mov_b32_e32 v27, v22
	global_load_dwordx2 v[22:23], v[26:27], off glc dlc
	s_waitcnt vmcnt(0)
	global_atomic_cmpswap_x2 v[26:27], v3, v[22:25], s[26:27] offset:24 glc
	s_waitcnt vmcnt(0)
	buffer_gl1_inv
	buffer_gl0_inv
	v_cmp_eq_u64_e32 vcc_lo, v[26:27], v[24:25]
	s_or_b32 s19, vcc_lo, s19
	s_andn2_b32 exec_lo, exec_lo, s19
	s_cbranch_execnz .LBB3_192
; %bb.193:                              ;   in Loop: Header=BB3_140 Depth=1
	s_or_b32 exec_lo, exec_lo, s19
.LBB3_194:                              ;   in Loop: Header=BB3_140 Depth=1
	s_or_b32 exec_lo, exec_lo, s18
.LBB3_195:                              ;   in Loop: Header=BB3_140 Depth=1
	s_or_b32 exec_lo, exec_lo, s5
	s_clause 0x1
	global_load_dwordx2 v[28:29], v3, s[26:27] offset:40
	global_load_dwordx4 v[22:25], v3, s[26:27]
	v_readfirstlane_b32 s18, v26
	v_readfirstlane_b32 s19, v27
	s_mov_b32 s5, exec_lo
	s_waitcnt vmcnt(1)
	v_readfirstlane_b32 s20, v28
	v_readfirstlane_b32 s21, v29
	s_and_b64 s[20:21], s[18:19], s[20:21]
	s_mul_i32 s22, s21, 24
	s_mul_hi_u32 s23, s20, 24
	s_mul_i32 s24, s20, 24
	s_add_i32 s23, s23, s22
	s_waitcnt vmcnt(0)
	v_add_co_u32 v26, vcc_lo, v22, s24
	v_add_co_ci_u32_e32 v27, vcc_lo, s23, v23, vcc_lo
	s_and_saveexec_b32 s22, s4
	s_cbranch_execz .LBB3_197
; %bb.196:                              ;   in Loop: Header=BB3_140 Depth=1
	v_mov_b32_e32 v2, s5
	global_store_dwordx4 v[26:27], v[2:5], off offset:8
.LBB3_197:                              ;   in Loop: Header=BB3_140 Depth=1
	s_or_b32 exec_lo, exec_lo, s22
	s_lshl_b64 s[20:21], s[20:21], 12
	v_or_b32_e32 v2, 2, v6
	v_add_co_u32 v24, vcc_lo, v24, s20
	v_add_co_ci_u32_e32 v25, vcc_lo, s21, v25, vcc_lo
	v_cmp_gt_u64_e64 vcc_lo, s[10:11], 56
	s_lshl_b32 s5, s16, 2
	v_readfirstlane_b32 s20, v24
	s_add_i32 s5, s5, 28
	v_readfirstlane_b32 s21, v25
	s_and_b32 s5, s5, 0x1e0
	v_cndmask_b32_e32 v2, v2, v6, vcc_lo
	v_and_or_b32 v6, 0xffffff1f, v2, s5
	global_store_dwordx4 v48, v[10:13], s[20:21] offset:16
	global_store_dwordx4 v48, v[6:9], s[20:21]
	global_store_dwordx4 v48, v[14:17], s[20:21] offset:32
	global_store_dwordx4 v48, v[18:21], s[20:21] offset:48
	s_and_saveexec_b32 s5, s4
	s_cbranch_execz .LBB3_205
; %bb.198:                              ;   in Loop: Header=BB3_140 Depth=1
	s_clause 0x1
	global_load_dwordx2 v[14:15], v3, s[26:27] offset:32 glc dlc
	global_load_dwordx2 v[6:7], v3, s[26:27] offset:40
	v_mov_b32_e32 v12, s18
	v_mov_b32_e32 v13, s19
	s_waitcnt vmcnt(0)
	v_readfirstlane_b32 s20, v6
	v_readfirstlane_b32 s21, v7
	s_and_b64 s[20:21], s[20:21], s[18:19]
	s_mul_i32 s21, s21, 24
	s_mul_hi_u32 s22, s20, 24
	s_mul_i32 s20, s20, 24
	s_add_i32 s22, s22, s21
	v_add_co_u32 v10, vcc_lo, v22, s20
	v_add_co_ci_u32_e32 v11, vcc_lo, s22, v23, vcc_lo
	s_mov_b32 s20, exec_lo
	global_store_dwordx2 v[10:11], v[14:15], off
	s_waitcnt_vscnt null, 0x0
	global_atomic_cmpswap_x2 v[8:9], v3, v[12:15], s[26:27] offset:32 glc
	s_waitcnt vmcnt(0)
	v_cmpx_ne_u64_e64 v[8:9], v[14:15]
	s_cbranch_execz .LBB3_201
; %bb.199:                              ;   in Loop: Header=BB3_140 Depth=1
	s_mov_b32 s21, 0
.LBB3_200:                              ;   Parent Loop BB3_140 Depth=1
                                        ; =>  This Inner Loop Header: Depth=2
	v_mov_b32_e32 v6, s18
	v_mov_b32_e32 v7, s19
	s_sleep 1
	global_store_dwordx2 v[10:11], v[8:9], off
	s_waitcnt_vscnt null, 0x0
	global_atomic_cmpswap_x2 v[6:7], v3, v[6:9], s[26:27] offset:32 glc
	s_waitcnt vmcnt(0)
	v_cmp_eq_u64_e32 vcc_lo, v[6:7], v[8:9]
	v_mov_b32_e32 v9, v7
	v_mov_b32_e32 v8, v6
	s_or_b32 s21, vcc_lo, s21
	s_andn2_b32 exec_lo, exec_lo, s21
	s_cbranch_execnz .LBB3_200
.LBB3_201:                              ;   in Loop: Header=BB3_140 Depth=1
	s_or_b32 exec_lo, exec_lo, s20
	global_load_dwordx2 v[6:7], v3, s[26:27] offset:16
	s_mov_b32 s21, exec_lo
	s_mov_b32 s20, exec_lo
	v_mbcnt_lo_u32_b32 v2, s21, 0
	v_cmpx_eq_u32_e32 0, v2
	s_cbranch_execz .LBB3_203
; %bb.202:                              ;   in Loop: Header=BB3_140 Depth=1
	s_bcnt1_i32_b32 s21, s21
	v_mov_b32_e32 v2, s21
	s_waitcnt vmcnt(0)
	global_atomic_add_x2 v[6:7], v[2:3], off offset:8
.LBB3_203:                              ;   in Loop: Header=BB3_140 Depth=1
	s_or_b32 exec_lo, exec_lo, s20
	s_waitcnt vmcnt(0)
	global_load_dwordx2 v[8:9], v[6:7], off offset:16
	s_waitcnt vmcnt(0)
	v_cmp_eq_u64_e32 vcc_lo, 0, v[8:9]
	s_cbranch_vccnz .LBB3_205
; %bb.204:                              ;   in Loop: Header=BB3_140 Depth=1
	global_load_dword v2, v[6:7], off offset:24
	s_waitcnt vmcnt(0)
	v_and_b32_e32 v6, 0x7fffff, v2
	s_waitcnt_vscnt null, 0x0
	global_store_dwordx2 v[8:9], v[2:3], off
	v_readfirstlane_b32 m0, v6
	s_sendmsg sendmsg(MSG_INTERRUPT)
.LBB3_205:                              ;   in Loop: Header=BB3_140 Depth=1
	s_or_b32 exec_lo, exec_lo, s5
	v_add_co_u32 v6, vcc_lo, v24, v48
	v_add_co_ci_u32_e32 v7, vcc_lo, 0, v25, vcc_lo
	s_branch .LBB3_209
	.p2align	6
.LBB3_206:                              ;   in Loop: Header=BB3_209 Depth=2
	s_or_b32 exec_lo, exec_lo, s5
	v_readfirstlane_b32 s5, v2
	s_cmp_eq_u32 s5, 0
	s_cbranch_scc1 .LBB3_208
; %bb.207:                              ;   in Loop: Header=BB3_209 Depth=2
	s_sleep 1
	s_cbranch_execnz .LBB3_209
	s_branch .LBB3_211
	.p2align	6
.LBB3_208:                              ;   in Loop: Header=BB3_140 Depth=1
	s_branch .LBB3_211
.LBB3_209:                              ;   Parent Loop BB3_140 Depth=1
                                        ; =>  This Inner Loop Header: Depth=2
	v_mov_b32_e32 v2, 1
	s_and_saveexec_b32 s5, s4
	s_cbranch_execz .LBB3_206
; %bb.210:                              ;   in Loop: Header=BB3_209 Depth=2
	global_load_dword v2, v[26:27], off offset:20 glc dlc
	s_waitcnt vmcnt(0)
	buffer_gl1_inv
	buffer_gl0_inv
	v_and_b32_e32 v2, 1, v2
	s_branch .LBB3_206
.LBB3_211:                              ;   in Loop: Header=BB3_140 Depth=1
	global_load_dwordx4 v[6:9], v[6:7], off
	s_and_saveexec_b32 s5, s4
	s_cbranch_execz .LBB3_139
; %bb.212:                              ;   in Loop: Header=BB3_140 Depth=1
	s_clause 0x2
	global_load_dwordx2 v[10:11], v3, s[26:27] offset:40
	global_load_dwordx2 v[14:15], v3, s[26:27] offset:24 glc dlc
	global_load_dwordx2 v[12:13], v3, s[26:27]
	s_waitcnt vmcnt(2)
	v_add_co_u32 v2, vcc_lo, v10, 1
	v_add_co_ci_u32_e32 v16, vcc_lo, 0, v11, vcc_lo
	v_add_co_u32 v8, vcc_lo, v2, s18
	v_add_co_ci_u32_e32 v9, vcc_lo, s19, v16, vcc_lo
	v_cmp_eq_u64_e32 vcc_lo, 0, v[8:9]
	v_cndmask_b32_e32 v9, v9, v16, vcc_lo
	v_cndmask_b32_e32 v8, v8, v2, vcc_lo
	v_and_b32_e32 v2, v9, v11
	v_and_b32_e32 v10, v8, v10
	v_mul_lo_u32 v2, v2, 24
	v_mul_hi_u32 v11, v10, 24
	v_mul_lo_u32 v10, v10, 24
	v_add_nc_u32_e32 v2, v11, v2
	s_waitcnt vmcnt(0)
	v_add_co_u32 v12, vcc_lo, v12, v10
	v_mov_b32_e32 v10, v14
	v_mov_b32_e32 v11, v15
	v_add_co_ci_u32_e32 v13, vcc_lo, v13, v2, vcc_lo
	global_store_dwordx2 v[12:13], v[14:15], off
	s_waitcnt_vscnt null, 0x0
	global_atomic_cmpswap_x2 v[10:11], v3, v[8:11], s[26:27] offset:24 glc
	s_waitcnt vmcnt(0)
	v_cmp_ne_u64_e32 vcc_lo, v[10:11], v[14:15]
	s_and_b32 exec_lo, exec_lo, vcc_lo
	s_cbranch_execz .LBB3_139
; %bb.213:                              ;   in Loop: Header=BB3_140 Depth=1
	s_mov_b32 s4, 0
.LBB3_214:                              ;   Parent Loop BB3_140 Depth=1
                                        ; =>  This Inner Loop Header: Depth=2
	s_sleep 1
	global_store_dwordx2 v[12:13], v[10:11], off
	s_waitcnt_vscnt null, 0x0
	global_atomic_cmpswap_x2 v[14:15], v3, v[8:11], s[26:27] offset:24 glc
	s_waitcnt vmcnt(0)
	v_cmp_eq_u64_e32 vcc_lo, v[14:15], v[10:11]
	v_mov_b32_e32 v10, v14
	v_mov_b32_e32 v11, v15
	s_or_b32 s4, vcc_lo, s4
	s_andn2_b32 exec_lo, exec_lo, s4
	s_cbranch_execnz .LBB3_214
	s_branch .LBB3_139
.LBB3_215:
	s_branch .LBB3_244
.LBB3_216:
	s_cbranch_execz .LBB3_244
; %bb.217:
	v_readfirstlane_b32 s4, v49
	s_waitcnt vmcnt(0)
	v_mov_b32_e32 v8, 0
	v_mov_b32_e32 v9, 0
	v_cmp_eq_u32_e64 s4, s4, v49
	s_and_saveexec_b32 s5, s4
	s_cbranch_execz .LBB3_223
; %bb.218:
	v_mov_b32_e32 v2, 0
	s_mov_b32 s6, exec_lo
	global_load_dwordx2 v[5:6], v2, s[26:27] offset:24 glc dlc
	s_waitcnt vmcnt(0)
	buffer_gl1_inv
	buffer_gl0_inv
	s_clause 0x1
	global_load_dwordx2 v[3:4], v2, s[26:27] offset:40
	global_load_dwordx2 v[7:8], v2, s[26:27]
	s_waitcnt vmcnt(1)
	v_and_b32_e32 v4, v4, v6
	v_and_b32_e32 v3, v3, v5
	v_mul_lo_u32 v4, v4, 24
	v_mul_hi_u32 v9, v3, 24
	v_mul_lo_u32 v3, v3, 24
	v_add_nc_u32_e32 v4, v9, v4
	s_waitcnt vmcnt(0)
	v_add_co_u32 v3, vcc_lo, v7, v3
	v_add_co_ci_u32_e32 v4, vcc_lo, v8, v4, vcc_lo
	global_load_dwordx2 v[3:4], v[3:4], off glc dlc
	s_waitcnt vmcnt(0)
	global_atomic_cmpswap_x2 v[8:9], v2, v[3:6], s[26:27] offset:24 glc
	s_waitcnt vmcnt(0)
	buffer_gl1_inv
	buffer_gl0_inv
	v_cmpx_ne_u64_e64 v[8:9], v[5:6]
	s_cbranch_execz .LBB3_222
; %bb.219:
	s_mov_b32 s7, 0
	.p2align	6
.LBB3_220:                              ; =>This Inner Loop Header: Depth=1
	s_sleep 1
	s_clause 0x1
	global_load_dwordx2 v[3:4], v2, s[26:27] offset:40
	global_load_dwordx2 v[10:11], v2, s[26:27]
	v_mov_b32_e32 v5, v8
	v_mov_b32_e32 v6, v9
	s_waitcnt vmcnt(1)
	v_and_b32_e32 v3, v3, v5
	v_and_b32_e32 v4, v4, v6
	s_waitcnt vmcnt(0)
	v_mad_u64_u32 v[7:8], null, v3, 24, v[10:11]
	v_mov_b32_e32 v3, v8
	v_mad_u64_u32 v[3:4], null, v4, 24, v[3:4]
	v_mov_b32_e32 v8, v3
	global_load_dwordx2 v[3:4], v[7:8], off glc dlc
	s_waitcnt vmcnt(0)
	global_atomic_cmpswap_x2 v[8:9], v2, v[3:6], s[26:27] offset:24 glc
	s_waitcnt vmcnt(0)
	buffer_gl1_inv
	buffer_gl0_inv
	v_cmp_eq_u64_e32 vcc_lo, v[8:9], v[5:6]
	s_or_b32 s7, vcc_lo, s7
	s_andn2_b32 exec_lo, exec_lo, s7
	s_cbranch_execnz .LBB3_220
; %bb.221:
	s_or_b32 exec_lo, exec_lo, s7
.LBB3_222:
	s_or_b32 exec_lo, exec_lo, s6
.LBB3_223:
	s_or_b32 exec_lo, exec_lo, s5
	v_mov_b32_e32 v2, 0
	v_readfirstlane_b32 s6, v8
	v_readfirstlane_b32 s7, v9
	s_mov_b32 s5, exec_lo
	s_clause 0x1
	global_load_dwordx2 v[10:11], v2, s[26:27] offset:40
	global_load_dwordx4 v[4:7], v2, s[26:27]
	s_waitcnt vmcnt(1)
	v_readfirstlane_b32 s10, v10
	v_readfirstlane_b32 s11, v11
	s_and_b64 s[10:11], s[6:7], s[10:11]
	s_mul_i32 s16, s11, 24
	s_mul_hi_u32 s17, s10, 24
	s_mul_i32 s18, s10, 24
	s_add_i32 s17, s17, s16
	s_waitcnt vmcnt(0)
	v_add_co_u32 v8, vcc_lo, v4, s18
	v_add_co_ci_u32_e32 v9, vcc_lo, s17, v5, vcc_lo
	s_and_saveexec_b32 s16, s4
	s_cbranch_execz .LBB3_225
; %bb.224:
	v_mov_b32_e32 v10, s5
	v_mov_b32_e32 v11, v2
	;; [unrolled: 1-line block ×4, first 2 shown]
	global_store_dwordx4 v[8:9], v[10:13], off offset:8
.LBB3_225:
	s_or_b32 exec_lo, exec_lo, s16
	s_lshl_b64 s[10:11], s[10:11], 12
	s_mov_b32 s16, 0
	v_add_co_u32 v6, vcc_lo, v6, s10
	v_add_co_ci_u32_e32 v7, vcc_lo, s11, v7, vcc_lo
	s_mov_b32 s17, s16
	s_mov_b32 s18, s16
	;; [unrolled: 1-line block ×3, first 2 shown]
	v_and_or_b32 v0, 0xffffff1d, v0, 34
	v_mov_b32_e32 v3, v2
	v_readfirstlane_b32 s10, v6
	v_readfirstlane_b32 s11, v7
	v_mov_b32_e32 v10, s16
	v_mov_b32_e32 v11, s17
	v_mov_b32_e32 v12, s18
	v_mov_b32_e32 v13, s19
	global_store_dwordx4 v48, v[0:3], s[10:11]
	global_store_dwordx4 v48, v[10:13], s[10:11] offset:16
	global_store_dwordx4 v48, v[10:13], s[10:11] offset:32
	;; [unrolled: 1-line block ×3, first 2 shown]
	s_and_saveexec_b32 s5, s4
	s_cbranch_execz .LBB3_233
; %bb.226:
	v_mov_b32_e32 v6, 0
	v_mov_b32_e32 v10, s6
	;; [unrolled: 1-line block ×3, first 2 shown]
	s_clause 0x1
	global_load_dwordx2 v[12:13], v6, s[26:27] offset:32 glc dlc
	global_load_dwordx2 v[0:1], v6, s[26:27] offset:40
	s_waitcnt vmcnt(0)
	v_readfirstlane_b32 s10, v0
	v_readfirstlane_b32 s11, v1
	s_and_b64 s[10:11], s[10:11], s[6:7]
	s_mul_i32 s11, s11, 24
	s_mul_hi_u32 s16, s10, 24
	s_mul_i32 s10, s10, 24
	s_add_i32 s16, s16, s11
	v_add_co_u32 v4, vcc_lo, v4, s10
	v_add_co_ci_u32_e32 v5, vcc_lo, s16, v5, vcc_lo
	s_mov_b32 s10, exec_lo
	global_store_dwordx2 v[4:5], v[12:13], off
	s_waitcnt_vscnt null, 0x0
	global_atomic_cmpswap_x2 v[2:3], v6, v[10:13], s[26:27] offset:32 glc
	s_waitcnt vmcnt(0)
	v_cmpx_ne_u64_e64 v[2:3], v[12:13]
	s_cbranch_execz .LBB3_229
; %bb.227:
	s_mov_b32 s11, 0
.LBB3_228:                              ; =>This Inner Loop Header: Depth=1
	v_mov_b32_e32 v0, s6
	v_mov_b32_e32 v1, s7
	s_sleep 1
	global_store_dwordx2 v[4:5], v[2:3], off
	s_waitcnt_vscnt null, 0x0
	global_atomic_cmpswap_x2 v[0:1], v6, v[0:3], s[26:27] offset:32 glc
	s_waitcnt vmcnt(0)
	v_cmp_eq_u64_e32 vcc_lo, v[0:1], v[2:3]
	v_mov_b32_e32 v3, v1
	v_mov_b32_e32 v2, v0
	s_or_b32 s11, vcc_lo, s11
	s_andn2_b32 exec_lo, exec_lo, s11
	s_cbranch_execnz .LBB3_228
.LBB3_229:
	s_or_b32 exec_lo, exec_lo, s10
	v_mov_b32_e32 v3, 0
	s_mov_b32 s11, exec_lo
	s_mov_b32 s10, exec_lo
	v_mbcnt_lo_u32_b32 v2, s11, 0
	global_load_dwordx2 v[0:1], v3, s[26:27] offset:16
	v_cmpx_eq_u32_e32 0, v2
	s_cbranch_execz .LBB3_231
; %bb.230:
	s_bcnt1_i32_b32 s11, s11
	v_mov_b32_e32 v2, s11
	s_waitcnt vmcnt(0)
	global_atomic_add_x2 v[0:1], v[2:3], off offset:8
.LBB3_231:
	s_or_b32 exec_lo, exec_lo, s10
	s_waitcnt vmcnt(0)
	global_load_dwordx2 v[2:3], v[0:1], off offset:16
	s_waitcnt vmcnt(0)
	v_cmp_eq_u64_e32 vcc_lo, 0, v[2:3]
	s_cbranch_vccnz .LBB3_233
; %bb.232:
	global_load_dword v0, v[0:1], off offset:24
	v_mov_b32_e32 v1, 0
	s_waitcnt vmcnt(0)
	v_and_b32_e32 v4, 0x7fffff, v0
	s_waitcnt_vscnt null, 0x0
	global_store_dwordx2 v[2:3], v[0:1], off
	v_readfirstlane_b32 m0, v4
	s_sendmsg sendmsg(MSG_INTERRUPT)
.LBB3_233:
	s_or_b32 exec_lo, exec_lo, s5
	s_branch .LBB3_237
	.p2align	6
.LBB3_234:                              ;   in Loop: Header=BB3_237 Depth=1
	s_or_b32 exec_lo, exec_lo, s5
	v_readfirstlane_b32 s5, v0
	s_cmp_eq_u32 s5, 0
	s_cbranch_scc1 .LBB3_236
; %bb.235:                              ;   in Loop: Header=BB3_237 Depth=1
	s_sleep 1
	s_cbranch_execnz .LBB3_237
	s_branch .LBB3_239
	.p2align	6
.LBB3_236:
	s_branch .LBB3_239
.LBB3_237:                              ; =>This Inner Loop Header: Depth=1
	v_mov_b32_e32 v0, 1
	s_and_saveexec_b32 s5, s4
	s_cbranch_execz .LBB3_234
; %bb.238:                              ;   in Loop: Header=BB3_237 Depth=1
	global_load_dword v0, v[8:9], off offset:20 glc dlc
	s_waitcnt vmcnt(0)
	buffer_gl1_inv
	buffer_gl0_inv
	v_and_b32_e32 v0, 1, v0
	s_branch .LBB3_234
.LBB3_239:
	s_and_saveexec_b32 s5, s4
	s_cbranch_execz .LBB3_243
; %bb.240:
	v_mov_b32_e32 v6, 0
	s_clause 0x2
	global_load_dwordx2 v[2:3], v6, s[26:27] offset:40
	global_load_dwordx2 v[7:8], v6, s[26:27] offset:24 glc dlc
	global_load_dwordx2 v[4:5], v6, s[26:27]
	s_waitcnt vmcnt(2)
	v_add_co_u32 v9, vcc_lo, v2, 1
	v_add_co_ci_u32_e32 v10, vcc_lo, 0, v3, vcc_lo
	v_add_co_u32 v0, vcc_lo, v9, s6
	v_add_co_ci_u32_e32 v1, vcc_lo, s7, v10, vcc_lo
	v_cmp_eq_u64_e32 vcc_lo, 0, v[0:1]
	v_cndmask_b32_e32 v1, v1, v10, vcc_lo
	v_cndmask_b32_e32 v0, v0, v9, vcc_lo
	v_and_b32_e32 v3, v1, v3
	v_and_b32_e32 v2, v0, v2
	v_mul_lo_u32 v3, v3, 24
	v_mul_hi_u32 v9, v2, 24
	v_mul_lo_u32 v2, v2, 24
	v_add_nc_u32_e32 v3, v9, v3
	s_waitcnt vmcnt(0)
	v_add_co_u32 v4, vcc_lo, v4, v2
	v_mov_b32_e32 v2, v7
	v_add_co_ci_u32_e32 v5, vcc_lo, v5, v3, vcc_lo
	v_mov_b32_e32 v3, v8
	global_store_dwordx2 v[4:5], v[7:8], off
	s_waitcnt_vscnt null, 0x0
	global_atomic_cmpswap_x2 v[2:3], v6, v[0:3], s[26:27] offset:24 glc
	s_waitcnt vmcnt(0)
	v_cmp_ne_u64_e32 vcc_lo, v[2:3], v[7:8]
	s_and_b32 exec_lo, exec_lo, vcc_lo
	s_cbranch_execz .LBB3_243
; %bb.241:
	s_mov_b32 s4, 0
.LBB3_242:                              ; =>This Inner Loop Header: Depth=1
	s_sleep 1
	global_store_dwordx2 v[4:5], v[2:3], off
	s_waitcnt_vscnt null, 0x0
	global_atomic_cmpswap_x2 v[7:8], v6, v[0:3], s[26:27] offset:24 glc
	s_waitcnt vmcnt(0)
	v_cmp_eq_u64_e32 vcc_lo, v[7:8], v[2:3]
	v_mov_b32_e32 v2, v7
	v_mov_b32_e32 v3, v8
	s_or_b32 s4, vcc_lo, s4
	s_andn2_b32 exec_lo, exec_lo, s4
	s_cbranch_execnz .LBB3_242
.LBB3_243:
	s_or_b32 exec_lo, exec_lo, s5
.LBB3_244:
	v_readfirstlane_b32 s4, v49
	s_waitcnt vmcnt(0)
	v_mov_b32_e32 v6, 0
	v_mov_b32_e32 v7, 0
	v_cmp_eq_u32_e64 s4, s4, v49
	s_and_saveexec_b32 s5, s4
	s_cbranch_execz .LBB3_250
; %bb.245:
	v_mov_b32_e32 v0, 0
	s_mov_b32 s6, exec_lo
	global_load_dwordx2 v[3:4], v0, s[26:27] offset:24 glc dlc
	s_waitcnt vmcnt(0)
	buffer_gl1_inv
	buffer_gl0_inv
	s_clause 0x1
	global_load_dwordx2 v[1:2], v0, s[26:27] offset:40
	global_load_dwordx2 v[5:6], v0, s[26:27]
	s_waitcnt vmcnt(1)
	v_and_b32_e32 v2, v2, v4
	v_and_b32_e32 v1, v1, v3
	v_mul_lo_u32 v2, v2, 24
	v_mul_hi_u32 v7, v1, 24
	v_mul_lo_u32 v1, v1, 24
	v_add_nc_u32_e32 v2, v7, v2
	s_waitcnt vmcnt(0)
	v_add_co_u32 v1, vcc_lo, v5, v1
	v_add_co_ci_u32_e32 v2, vcc_lo, v6, v2, vcc_lo
	global_load_dwordx2 v[1:2], v[1:2], off glc dlc
	s_waitcnt vmcnt(0)
	global_atomic_cmpswap_x2 v[6:7], v0, v[1:4], s[26:27] offset:24 glc
	s_waitcnt vmcnt(0)
	buffer_gl1_inv
	buffer_gl0_inv
	v_cmpx_ne_u64_e64 v[6:7], v[3:4]
	s_cbranch_execz .LBB3_249
; %bb.246:
	s_mov_b32 s7, 0
	.p2align	6
.LBB3_247:                              ; =>This Inner Loop Header: Depth=1
	s_sleep 1
	s_clause 0x1
	global_load_dwordx2 v[1:2], v0, s[26:27] offset:40
	global_load_dwordx2 v[8:9], v0, s[26:27]
	v_mov_b32_e32 v3, v6
	v_mov_b32_e32 v4, v7
	s_waitcnt vmcnt(1)
	v_and_b32_e32 v1, v1, v3
	v_and_b32_e32 v2, v2, v4
	s_waitcnt vmcnt(0)
	v_mad_u64_u32 v[5:6], null, v1, 24, v[8:9]
	v_mov_b32_e32 v1, v6
	v_mad_u64_u32 v[1:2], null, v2, 24, v[1:2]
	v_mov_b32_e32 v6, v1
	global_load_dwordx2 v[1:2], v[5:6], off glc dlc
	s_waitcnt vmcnt(0)
	global_atomic_cmpswap_x2 v[6:7], v0, v[1:4], s[26:27] offset:24 glc
	s_waitcnt vmcnt(0)
	buffer_gl1_inv
	buffer_gl0_inv
	v_cmp_eq_u64_e32 vcc_lo, v[6:7], v[3:4]
	s_or_b32 s7, vcc_lo, s7
	s_andn2_b32 exec_lo, exec_lo, s7
	s_cbranch_execnz .LBB3_247
; %bb.248:
	s_or_b32 exec_lo, exec_lo, s7
.LBB3_249:
	s_or_b32 exec_lo, exec_lo, s6
.LBB3_250:
	s_or_b32 exec_lo, exec_lo, s5
	v_mov_b32_e32 v5, 0
	v_readfirstlane_b32 s6, v6
	v_readfirstlane_b32 s7, v7
	s_mov_b32 s5, exec_lo
	s_clause 0x1
	global_load_dwordx2 v[8:9], v5, s[26:27] offset:40
	global_load_dwordx4 v[0:3], v5, s[26:27]
	s_waitcnt vmcnt(1)
	v_readfirstlane_b32 s10, v8
	v_readfirstlane_b32 s11, v9
	s_and_b64 s[10:11], s[6:7], s[10:11]
	s_mul_i32 s16, s11, 24
	s_mul_hi_u32 s17, s10, 24
	s_mul_i32 s18, s10, 24
	s_add_i32 s17, s17, s16
	s_waitcnt vmcnt(0)
	v_add_co_u32 v8, vcc_lo, v0, s18
	v_add_co_ci_u32_e32 v9, vcc_lo, s17, v1, vcc_lo
	s_and_saveexec_b32 s16, s4
	s_cbranch_execz .LBB3_252
; %bb.251:
	v_mov_b32_e32 v4, s5
	v_mov_b32_e32 v6, 2
	;; [unrolled: 1-line block ×3, first 2 shown]
	global_store_dwordx4 v[8:9], v[4:7], off offset:8
.LBB3_252:
	s_or_b32 exec_lo, exec_lo, s16
	s_lshl_b64 s[10:11], s[10:11], 12
	s_mov_b32 s16, 0
	v_add_co_u32 v2, vcc_lo, v2, s10
	v_add_co_ci_u32_e32 v3, vcc_lo, s11, v3, vcc_lo
	s_mov_b32 s17, s16
	v_add_co_u32 v10, vcc_lo, v2, v48
	s_mov_b32 s18, s16
	s_mov_b32 s19, s16
	v_mov_b32_e32 v4, 33
	v_mov_b32_e32 v6, v5
	v_mov_b32_e32 v7, v5
	v_readfirstlane_b32 s10, v2
	v_readfirstlane_b32 s11, v3
	v_mov_b32_e32 v12, s16
	v_add_co_ci_u32_e32 v11, vcc_lo, 0, v3, vcc_lo
	v_mov_b32_e32 v13, s17
	v_mov_b32_e32 v14, s18
	v_mov_b32_e32 v15, s19
	global_store_dwordx4 v48, v[4:7], s[10:11]
	global_store_dwordx4 v48, v[12:15], s[10:11] offset:16
	global_store_dwordx4 v48, v[12:15], s[10:11] offset:32
	;; [unrolled: 1-line block ×3, first 2 shown]
	s_and_saveexec_b32 s5, s4
	s_cbranch_execz .LBB3_260
; %bb.253:
	v_mov_b32_e32 v6, 0
	v_mov_b32_e32 v12, s6
	;; [unrolled: 1-line block ×3, first 2 shown]
	s_clause 0x1
	global_load_dwordx2 v[14:15], v6, s[26:27] offset:32 glc dlc
	global_load_dwordx2 v[2:3], v6, s[26:27] offset:40
	s_waitcnt vmcnt(0)
	v_readfirstlane_b32 s10, v2
	v_readfirstlane_b32 s11, v3
	s_and_b64 s[10:11], s[10:11], s[6:7]
	s_mul_i32 s11, s11, 24
	s_mul_hi_u32 s16, s10, 24
	s_mul_i32 s10, s10, 24
	s_add_i32 s16, s16, s11
	v_add_co_u32 v4, vcc_lo, v0, s10
	v_add_co_ci_u32_e32 v5, vcc_lo, s16, v1, vcc_lo
	s_mov_b32 s10, exec_lo
	global_store_dwordx2 v[4:5], v[14:15], off
	s_waitcnt_vscnt null, 0x0
	global_atomic_cmpswap_x2 v[2:3], v6, v[12:15], s[26:27] offset:32 glc
	s_waitcnt vmcnt(0)
	v_cmpx_ne_u64_e64 v[2:3], v[14:15]
	s_cbranch_execz .LBB3_256
; %bb.254:
	s_mov_b32 s11, 0
.LBB3_255:                              ; =>This Inner Loop Header: Depth=1
	v_mov_b32_e32 v0, s6
	v_mov_b32_e32 v1, s7
	s_sleep 1
	global_store_dwordx2 v[4:5], v[2:3], off
	s_waitcnt_vscnt null, 0x0
	global_atomic_cmpswap_x2 v[0:1], v6, v[0:3], s[26:27] offset:32 glc
	s_waitcnt vmcnt(0)
	v_cmp_eq_u64_e32 vcc_lo, v[0:1], v[2:3]
	v_mov_b32_e32 v3, v1
	v_mov_b32_e32 v2, v0
	s_or_b32 s11, vcc_lo, s11
	s_andn2_b32 exec_lo, exec_lo, s11
	s_cbranch_execnz .LBB3_255
.LBB3_256:
	s_or_b32 exec_lo, exec_lo, s10
	v_mov_b32_e32 v3, 0
	s_mov_b32 s11, exec_lo
	s_mov_b32 s10, exec_lo
	v_mbcnt_lo_u32_b32 v2, s11, 0
	global_load_dwordx2 v[0:1], v3, s[26:27] offset:16
	v_cmpx_eq_u32_e32 0, v2
	s_cbranch_execz .LBB3_258
; %bb.257:
	s_bcnt1_i32_b32 s11, s11
	v_mov_b32_e32 v2, s11
	s_waitcnt vmcnt(0)
	global_atomic_add_x2 v[0:1], v[2:3], off offset:8
.LBB3_258:
	s_or_b32 exec_lo, exec_lo, s10
	s_waitcnt vmcnt(0)
	global_load_dwordx2 v[2:3], v[0:1], off offset:16
	s_waitcnt vmcnt(0)
	v_cmp_eq_u64_e32 vcc_lo, 0, v[2:3]
	s_cbranch_vccnz .LBB3_260
; %bb.259:
	global_load_dword v0, v[0:1], off offset:24
	v_mov_b32_e32 v1, 0
	s_waitcnt vmcnt(0)
	v_and_b32_e32 v4, 0x7fffff, v0
	s_waitcnt_vscnt null, 0x0
	global_store_dwordx2 v[2:3], v[0:1], off
	v_readfirstlane_b32 m0, v4
	s_sendmsg sendmsg(MSG_INTERRUPT)
.LBB3_260:
	s_or_b32 exec_lo, exec_lo, s5
	s_branch .LBB3_264
	.p2align	6
.LBB3_261:                              ;   in Loop: Header=BB3_264 Depth=1
	s_or_b32 exec_lo, exec_lo, s5
	v_readfirstlane_b32 s5, v0
	s_cmp_eq_u32 s5, 0
	s_cbranch_scc1 .LBB3_263
; %bb.262:                              ;   in Loop: Header=BB3_264 Depth=1
	s_sleep 1
	s_cbranch_execnz .LBB3_264
	s_branch .LBB3_266
	.p2align	6
.LBB3_263:
	s_branch .LBB3_266
.LBB3_264:                              ; =>This Inner Loop Header: Depth=1
	v_mov_b32_e32 v0, 1
	s_and_saveexec_b32 s5, s4
	s_cbranch_execz .LBB3_261
; %bb.265:                              ;   in Loop: Header=BB3_264 Depth=1
	global_load_dword v0, v[8:9], off offset:20 glc dlc
	s_waitcnt vmcnt(0)
	buffer_gl1_inv
	buffer_gl0_inv
	v_and_b32_e32 v0, 1, v0
	s_branch .LBB3_261
.LBB3_266:
	global_load_dwordx2 v[0:1], v[10:11], off
	s_and_saveexec_b32 s5, s4
	s_cbranch_execz .LBB3_270
; %bb.267:
	v_mov_b32_e32 v8, 0
	s_clause 0x2
	global_load_dwordx2 v[4:5], v8, s[26:27] offset:40
	global_load_dwordx2 v[9:10], v8, s[26:27] offset:24 glc dlc
	global_load_dwordx2 v[6:7], v8, s[26:27]
	s_waitcnt vmcnt(2)
	v_add_co_u32 v11, vcc_lo, v4, 1
	v_add_co_ci_u32_e32 v12, vcc_lo, 0, v5, vcc_lo
	v_add_co_u32 v2, vcc_lo, v11, s6
	v_add_co_ci_u32_e32 v3, vcc_lo, s7, v12, vcc_lo
	v_cmp_eq_u64_e32 vcc_lo, 0, v[2:3]
	v_cndmask_b32_e32 v3, v3, v12, vcc_lo
	v_cndmask_b32_e32 v2, v2, v11, vcc_lo
	v_and_b32_e32 v5, v3, v5
	v_and_b32_e32 v4, v2, v4
	v_mul_lo_u32 v5, v5, 24
	v_mul_hi_u32 v11, v4, 24
	v_mul_lo_u32 v4, v4, 24
	v_add_nc_u32_e32 v5, v11, v5
	s_waitcnt vmcnt(0)
	v_add_co_u32 v6, vcc_lo, v6, v4
	v_mov_b32_e32 v4, v9
	v_add_co_ci_u32_e32 v7, vcc_lo, v7, v5, vcc_lo
	v_mov_b32_e32 v5, v10
	global_store_dwordx2 v[6:7], v[9:10], off
	s_waitcnt_vscnt null, 0x0
	global_atomic_cmpswap_x2 v[4:5], v8, v[2:5], s[26:27] offset:24 glc
	s_waitcnt vmcnt(0)
	v_cmp_ne_u64_e32 vcc_lo, v[4:5], v[9:10]
	s_and_b32 exec_lo, exec_lo, vcc_lo
	s_cbranch_execz .LBB3_270
; %bb.268:
	s_mov_b32 s4, 0
.LBB3_269:                              ; =>This Inner Loop Header: Depth=1
	s_sleep 1
	global_store_dwordx2 v[6:7], v[4:5], off
	s_waitcnt_vscnt null, 0x0
	global_atomic_cmpswap_x2 v[9:10], v8, v[2:5], s[26:27] offset:24 glc
	s_waitcnt vmcnt(0)
	v_cmp_eq_u64_e32 vcc_lo, v[9:10], v[4:5]
	v_mov_b32_e32 v4, v9
	v_mov_b32_e32 v5, v10
	s_or_b32 s4, vcc_lo, s4
	s_andn2_b32 exec_lo, exec_lo, s4
	s_cbranch_execnz .LBB3_269
.LBB3_270:
	s_or_b32 exec_lo, exec_lo, s5
	s_getpc_b64 s[6:7]
	s_add_u32 s6, s6, .str.6@rel32@lo+4
	s_addc_u32 s7, s7, .str.6@rel32@hi+12
	s_cmp_lg_u64 s[6:7], 0
	s_cselect_b32 s34, -1, 0
	s_and_b32 vcc_lo, exec_lo, s34
	s_cbranch_vccz .LBB3_349
; %bb.271:
	s_waitcnt vmcnt(0)
	v_and_b32_e32 v31, 2, v0
	v_mov_b32_e32 v6, 0
	v_and_b32_e32 v2, -3, v0
	v_mov_b32_e32 v3, v1
	v_mov_b32_e32 v7, 2
	;; [unrolled: 1-line block ×3, first 2 shown]
	s_mov_b64 s[10:11], 3
	s_branch .LBB3_273
.LBB3_272:                              ;   in Loop: Header=BB3_273 Depth=1
	s_or_b32 exec_lo, exec_lo, s5
	s_sub_u32 s10, s10, s16
	s_subb_u32 s11, s11, s17
	s_add_u32 s6, s6, s16
	s_addc_u32 s7, s7, s17
	s_cmp_lg_u64 s[10:11], 0
	s_cbranch_scc0 .LBB3_348
.LBB3_273:                              ; =>This Loop Header: Depth=1
                                        ;     Child Loop BB3_282 Depth 2
                                        ;     Child Loop BB3_278 Depth 2
	;; [unrolled: 1-line block ×11, first 2 shown]
	v_cmp_lt_u64_e64 s4, s[10:11], 56
	v_cmp_gt_u64_e64 s5, s[10:11], 7
                                        ; implicit-def: $vgpr11_vgpr12
                                        ; implicit-def: $sgpr22
	s_and_b32 s4, s4, exec_lo
	s_cselect_b32 s17, s11, 0
	s_cselect_b32 s16, s10, 56
	s_and_b32 vcc_lo, exec_lo, s5
	s_mov_b32 s4, -1
	s_cbranch_vccz .LBB3_280
; %bb.274:                              ;   in Loop: Header=BB3_273 Depth=1
	s_andn2_b32 vcc_lo, exec_lo, s4
	s_mov_b64 s[4:5], s[6:7]
	s_cbranch_vccz .LBB3_284
.LBB3_275:                              ;   in Loop: Header=BB3_273 Depth=1
	s_cmp_gt_u32 s22, 7
	s_cbranch_scc1 .LBB3_285
.LBB3_276:                              ;   in Loop: Header=BB3_273 Depth=1
	v_mov_b32_e32 v13, 0
	v_mov_b32_e32 v14, 0
	s_cmp_eq_u32 s22, 0
	s_cbranch_scc1 .LBB3_279
; %bb.277:                              ;   in Loop: Header=BB3_273 Depth=1
	s_mov_b64 s[18:19], 0
	s_mov_b64 s[20:21], 0
.LBB3_278:                              ;   Parent Loop BB3_273 Depth=1
                                        ; =>  This Inner Loop Header: Depth=2
	s_add_u32 s24, s4, s20
	s_addc_u32 s25, s5, s21
	s_add_u32 s20, s20, 1
	global_load_ubyte v4, v6, s[24:25]
	s_addc_u32 s21, s21, 0
	s_waitcnt vmcnt(0)
	v_and_b32_e32 v5, 0xffff, v4
	v_lshlrev_b64 v[4:5], s18, v[5:6]
	s_add_u32 s18, s18, 8
	s_addc_u32 s19, s19, 0
	s_cmp_lg_u32 s22, s20
	v_or_b32_e32 v13, v4, v13
	v_or_b32_e32 v14, v5, v14
	s_cbranch_scc1 .LBB3_278
.LBB3_279:                              ;   in Loop: Header=BB3_273 Depth=1
	s_mov_b32 s23, 0
	s_cbranch_execz .LBB3_286
	s_branch .LBB3_287
.LBB3_280:                              ;   in Loop: Header=BB3_273 Depth=1
	v_mov_b32_e32 v11, 0
	v_mov_b32_e32 v12, 0
	s_cmp_eq_u64 s[10:11], 0
	s_mov_b64 s[4:5], 0
	s_cbranch_scc1 .LBB3_283
; %bb.281:                              ;   in Loop: Header=BB3_273 Depth=1
	v_mov_b32_e32 v11, 0
	v_mov_b32_e32 v12, 0
	s_lshl_b64 s[18:19], s[16:17], 3
	s_mov_b64 s[20:21], s[6:7]
.LBB3_282:                              ;   Parent Loop BB3_273 Depth=1
                                        ; =>  This Inner Loop Header: Depth=2
	global_load_ubyte v4, v6, s[20:21]
	s_waitcnt vmcnt(0)
	v_and_b32_e32 v5, 0xffff, v4
	v_lshlrev_b64 v[4:5], s4, v[5:6]
	s_add_u32 s4, s4, 8
	s_addc_u32 s5, s5, 0
	s_add_u32 s20, s20, 1
	s_addc_u32 s21, s21, 0
	s_cmp_lg_u32 s18, s4
	v_or_b32_e32 v11, v4, v11
	v_or_b32_e32 v12, v5, v12
	s_cbranch_scc1 .LBB3_282
.LBB3_283:                              ;   in Loop: Header=BB3_273 Depth=1
	s_mov_b32 s22, 0
	s_mov_b64 s[4:5], s[6:7]
	s_cbranch_execnz .LBB3_275
.LBB3_284:                              ;   in Loop: Header=BB3_273 Depth=1
	global_load_dwordx2 v[11:12], v6, s[6:7]
	s_add_i32 s22, s16, -8
	s_add_u32 s4, s6, 8
	s_addc_u32 s5, s7, 0
	s_cmp_gt_u32 s22, 7
	s_cbranch_scc0 .LBB3_276
.LBB3_285:                              ;   in Loop: Header=BB3_273 Depth=1
                                        ; implicit-def: $vgpr13_vgpr14
                                        ; implicit-def: $sgpr23
.LBB3_286:                              ;   in Loop: Header=BB3_273 Depth=1
	global_load_dwordx2 v[13:14], v6, s[4:5]
	s_add_i32 s23, s22, -8
	s_add_u32 s4, s4, 8
	s_addc_u32 s5, s5, 0
.LBB3_287:                              ;   in Loop: Header=BB3_273 Depth=1
	s_cmp_gt_u32 s23, 7
	s_cbranch_scc1 .LBB3_292
; %bb.288:                              ;   in Loop: Header=BB3_273 Depth=1
	v_mov_b32_e32 v15, 0
	v_mov_b32_e32 v16, 0
	s_cmp_eq_u32 s23, 0
	s_cbranch_scc1 .LBB3_291
; %bb.289:                              ;   in Loop: Header=BB3_273 Depth=1
	s_mov_b64 s[18:19], 0
	s_mov_b64 s[20:21], 0
.LBB3_290:                              ;   Parent Loop BB3_273 Depth=1
                                        ; =>  This Inner Loop Header: Depth=2
	s_add_u32 s24, s4, s20
	s_addc_u32 s25, s5, s21
	s_add_u32 s20, s20, 1
	global_load_ubyte v4, v6, s[24:25]
	s_addc_u32 s21, s21, 0
	s_waitcnt vmcnt(0)
	v_and_b32_e32 v5, 0xffff, v4
	v_lshlrev_b64 v[4:5], s18, v[5:6]
	s_add_u32 s18, s18, 8
	s_addc_u32 s19, s19, 0
	s_cmp_lg_u32 s23, s20
	v_or_b32_e32 v15, v4, v15
	v_or_b32_e32 v16, v5, v16
	s_cbranch_scc1 .LBB3_290
.LBB3_291:                              ;   in Loop: Header=BB3_273 Depth=1
	s_mov_b32 s22, 0
	s_cbranch_execz .LBB3_293
	s_branch .LBB3_294
.LBB3_292:                              ;   in Loop: Header=BB3_273 Depth=1
                                        ; implicit-def: $sgpr22
.LBB3_293:                              ;   in Loop: Header=BB3_273 Depth=1
	global_load_dwordx2 v[15:16], v6, s[4:5]
	s_add_i32 s22, s23, -8
	s_add_u32 s4, s4, 8
	s_addc_u32 s5, s5, 0
.LBB3_294:                              ;   in Loop: Header=BB3_273 Depth=1
	s_cmp_gt_u32 s22, 7
	s_cbranch_scc1 .LBB3_299
; %bb.295:                              ;   in Loop: Header=BB3_273 Depth=1
	v_mov_b32_e32 v17, 0
	v_mov_b32_e32 v18, 0
	s_cmp_eq_u32 s22, 0
	s_cbranch_scc1 .LBB3_298
; %bb.296:                              ;   in Loop: Header=BB3_273 Depth=1
	s_mov_b64 s[18:19], 0
	s_mov_b64 s[20:21], 0
.LBB3_297:                              ;   Parent Loop BB3_273 Depth=1
                                        ; =>  This Inner Loop Header: Depth=2
	s_add_u32 s24, s4, s20
	s_addc_u32 s25, s5, s21
	s_add_u32 s20, s20, 1
	global_load_ubyte v4, v6, s[24:25]
	s_addc_u32 s21, s21, 0
	s_waitcnt vmcnt(0)
	v_and_b32_e32 v5, 0xffff, v4
	v_lshlrev_b64 v[4:5], s18, v[5:6]
	s_add_u32 s18, s18, 8
	s_addc_u32 s19, s19, 0
	s_cmp_lg_u32 s22, s20
	v_or_b32_e32 v17, v4, v17
	v_or_b32_e32 v18, v5, v18
	s_cbranch_scc1 .LBB3_297
.LBB3_298:                              ;   in Loop: Header=BB3_273 Depth=1
	s_mov_b32 s23, 0
	s_cbranch_execz .LBB3_300
	s_branch .LBB3_301
.LBB3_299:                              ;   in Loop: Header=BB3_273 Depth=1
                                        ; implicit-def: $vgpr17_vgpr18
                                        ; implicit-def: $sgpr23
.LBB3_300:                              ;   in Loop: Header=BB3_273 Depth=1
	global_load_dwordx2 v[17:18], v6, s[4:5]
	s_add_i32 s23, s22, -8
	s_add_u32 s4, s4, 8
	s_addc_u32 s5, s5, 0
.LBB3_301:                              ;   in Loop: Header=BB3_273 Depth=1
	s_cmp_gt_u32 s23, 7
	s_cbranch_scc1 .LBB3_306
; %bb.302:                              ;   in Loop: Header=BB3_273 Depth=1
	v_mov_b32_e32 v19, 0
	v_mov_b32_e32 v20, 0
	s_cmp_eq_u32 s23, 0
	s_cbranch_scc1 .LBB3_305
; %bb.303:                              ;   in Loop: Header=BB3_273 Depth=1
	s_mov_b64 s[18:19], 0
	s_mov_b64 s[20:21], 0
.LBB3_304:                              ;   Parent Loop BB3_273 Depth=1
                                        ; =>  This Inner Loop Header: Depth=2
	s_add_u32 s24, s4, s20
	s_addc_u32 s25, s5, s21
	s_add_u32 s20, s20, 1
	global_load_ubyte v4, v6, s[24:25]
	s_addc_u32 s21, s21, 0
	s_waitcnt vmcnt(0)
	v_and_b32_e32 v5, 0xffff, v4
	v_lshlrev_b64 v[4:5], s18, v[5:6]
	s_add_u32 s18, s18, 8
	s_addc_u32 s19, s19, 0
	s_cmp_lg_u32 s23, s20
	v_or_b32_e32 v19, v4, v19
	v_or_b32_e32 v20, v5, v20
	s_cbranch_scc1 .LBB3_304
.LBB3_305:                              ;   in Loop: Header=BB3_273 Depth=1
	s_mov_b32 s22, 0
	s_cbranch_execz .LBB3_307
	s_branch .LBB3_308
.LBB3_306:                              ;   in Loop: Header=BB3_273 Depth=1
                                        ; implicit-def: $sgpr22
.LBB3_307:                              ;   in Loop: Header=BB3_273 Depth=1
	global_load_dwordx2 v[19:20], v6, s[4:5]
	s_add_i32 s22, s23, -8
	s_add_u32 s4, s4, 8
	s_addc_u32 s5, s5, 0
.LBB3_308:                              ;   in Loop: Header=BB3_273 Depth=1
	s_cmp_gt_u32 s22, 7
	s_cbranch_scc1 .LBB3_313
; %bb.309:                              ;   in Loop: Header=BB3_273 Depth=1
	v_mov_b32_e32 v21, 0
	v_mov_b32_e32 v22, 0
	s_cmp_eq_u32 s22, 0
	s_cbranch_scc1 .LBB3_312
; %bb.310:                              ;   in Loop: Header=BB3_273 Depth=1
	s_mov_b64 s[18:19], 0
	s_mov_b64 s[20:21], 0
.LBB3_311:                              ;   Parent Loop BB3_273 Depth=1
                                        ; =>  This Inner Loop Header: Depth=2
	s_add_u32 s24, s4, s20
	s_addc_u32 s25, s5, s21
	s_add_u32 s20, s20, 1
	global_load_ubyte v4, v6, s[24:25]
	s_addc_u32 s21, s21, 0
	s_waitcnt vmcnt(0)
	v_and_b32_e32 v5, 0xffff, v4
	v_lshlrev_b64 v[4:5], s18, v[5:6]
	s_add_u32 s18, s18, 8
	s_addc_u32 s19, s19, 0
	s_cmp_lg_u32 s22, s20
	v_or_b32_e32 v21, v4, v21
	v_or_b32_e32 v22, v5, v22
	s_cbranch_scc1 .LBB3_311
.LBB3_312:                              ;   in Loop: Header=BB3_273 Depth=1
	s_mov_b32 s23, 0
	s_cbranch_execz .LBB3_314
	s_branch .LBB3_315
.LBB3_313:                              ;   in Loop: Header=BB3_273 Depth=1
                                        ; implicit-def: $vgpr21_vgpr22
                                        ; implicit-def: $sgpr23
.LBB3_314:                              ;   in Loop: Header=BB3_273 Depth=1
	global_load_dwordx2 v[21:22], v6, s[4:5]
	s_add_i32 s23, s22, -8
	s_add_u32 s4, s4, 8
	s_addc_u32 s5, s5, 0
.LBB3_315:                              ;   in Loop: Header=BB3_273 Depth=1
	s_cmp_gt_u32 s23, 7
	s_cbranch_scc1 .LBB3_320
; %bb.316:                              ;   in Loop: Header=BB3_273 Depth=1
	v_mov_b32_e32 v23, 0
	v_mov_b32_e32 v24, 0
	s_cmp_eq_u32 s23, 0
	s_cbranch_scc1 .LBB3_319
; %bb.317:                              ;   in Loop: Header=BB3_273 Depth=1
	s_mov_b64 s[18:19], 0
	s_mov_b64 s[20:21], s[4:5]
.LBB3_318:                              ;   Parent Loop BB3_273 Depth=1
                                        ; =>  This Inner Loop Header: Depth=2
	global_load_ubyte v4, v6, s[20:21]
	s_add_i32 s23, s23, -1
	s_waitcnt vmcnt(0)
	v_and_b32_e32 v5, 0xffff, v4
	v_lshlrev_b64 v[4:5], s18, v[5:6]
	s_add_u32 s18, s18, 8
	s_addc_u32 s19, s19, 0
	s_add_u32 s20, s20, 1
	s_addc_u32 s21, s21, 0
	s_cmp_lg_u32 s23, 0
	v_or_b32_e32 v23, v4, v23
	v_or_b32_e32 v24, v5, v24
	s_cbranch_scc1 .LBB3_318
.LBB3_319:                              ;   in Loop: Header=BB3_273 Depth=1
	s_cbranch_execz .LBB3_321
	s_branch .LBB3_322
.LBB3_320:                              ;   in Loop: Header=BB3_273 Depth=1
.LBB3_321:                              ;   in Loop: Header=BB3_273 Depth=1
	global_load_dwordx2 v[23:24], v6, s[4:5]
.LBB3_322:                              ;   in Loop: Header=BB3_273 Depth=1
	v_readfirstlane_b32 s4, v49
	s_waitcnt vmcnt(0)
	v_mov_b32_e32 v4, 0
	v_mov_b32_e32 v5, 0
	v_cmp_eq_u32_e64 s4, s4, v49
	s_and_saveexec_b32 s5, s4
	s_cbranch_execz .LBB3_328
; %bb.323:                              ;   in Loop: Header=BB3_273 Depth=1
	global_load_dwordx2 v[27:28], v6, s[26:27] offset:24 glc dlc
	s_waitcnt vmcnt(0)
	buffer_gl1_inv
	buffer_gl0_inv
	s_clause 0x1
	global_load_dwordx2 v[4:5], v6, s[26:27] offset:40
	global_load_dwordx2 v[9:10], v6, s[26:27]
	s_mov_b32 s18, exec_lo
	s_waitcnt vmcnt(1)
	v_and_b32_e32 v5, v5, v28
	v_and_b32_e32 v4, v4, v27
	v_mul_lo_u32 v5, v5, 24
	v_mul_hi_u32 v25, v4, 24
	v_mul_lo_u32 v4, v4, 24
	v_add_nc_u32_e32 v5, v25, v5
	s_waitcnt vmcnt(0)
	v_add_co_u32 v4, vcc_lo, v9, v4
	v_add_co_ci_u32_e32 v5, vcc_lo, v10, v5, vcc_lo
	global_load_dwordx2 v[25:26], v[4:5], off glc dlc
	s_waitcnt vmcnt(0)
	global_atomic_cmpswap_x2 v[4:5], v6, v[25:28], s[26:27] offset:24 glc
	s_waitcnt vmcnt(0)
	buffer_gl1_inv
	buffer_gl0_inv
	v_cmpx_ne_u64_e64 v[4:5], v[27:28]
	s_cbranch_execz .LBB3_327
; %bb.324:                              ;   in Loop: Header=BB3_273 Depth=1
	s_mov_b32 s19, 0
	.p2align	6
.LBB3_325:                              ;   Parent Loop BB3_273 Depth=1
                                        ; =>  This Inner Loop Header: Depth=2
	s_sleep 1
	s_clause 0x1
	global_load_dwordx2 v[9:10], v6, s[26:27] offset:40
	global_load_dwordx2 v[25:26], v6, s[26:27]
	v_mov_b32_e32 v28, v5
	v_mov_b32_e32 v27, v4
	s_waitcnt vmcnt(1)
	v_and_b32_e32 v4, v9, v27
	v_and_b32_e32 v9, v10, v28
	s_waitcnt vmcnt(0)
	v_mad_u64_u32 v[4:5], null, v4, 24, v[25:26]
	v_mad_u64_u32 v[9:10], null, v9, 24, v[5:6]
	v_mov_b32_e32 v5, v9
	global_load_dwordx2 v[25:26], v[4:5], off glc dlc
	s_waitcnt vmcnt(0)
	global_atomic_cmpswap_x2 v[4:5], v6, v[25:28], s[26:27] offset:24 glc
	s_waitcnt vmcnt(0)
	buffer_gl1_inv
	buffer_gl0_inv
	v_cmp_eq_u64_e32 vcc_lo, v[4:5], v[27:28]
	s_or_b32 s19, vcc_lo, s19
	s_andn2_b32 exec_lo, exec_lo, s19
	s_cbranch_execnz .LBB3_325
; %bb.326:                              ;   in Loop: Header=BB3_273 Depth=1
	s_or_b32 exec_lo, exec_lo, s19
.LBB3_327:                              ;   in Loop: Header=BB3_273 Depth=1
	s_or_b32 exec_lo, exec_lo, s18
.LBB3_328:                              ;   in Loop: Header=BB3_273 Depth=1
	s_or_b32 exec_lo, exec_lo, s5
	s_clause 0x1
	global_load_dwordx2 v[9:10], v6, s[26:27] offset:40
	global_load_dwordx4 v[25:28], v6, s[26:27]
	v_readfirstlane_b32 s18, v4
	v_readfirstlane_b32 s19, v5
	s_mov_b32 s5, exec_lo
	s_waitcnt vmcnt(1)
	v_readfirstlane_b32 s20, v9
	v_readfirstlane_b32 s21, v10
	s_and_b64 s[20:21], s[18:19], s[20:21]
	s_mul_i32 s22, s21, 24
	s_mul_hi_u32 s23, s20, 24
	s_mul_i32 s24, s20, 24
	s_add_i32 s23, s23, s22
	s_waitcnt vmcnt(0)
	v_add_co_u32 v29, vcc_lo, v25, s24
	v_add_co_ci_u32_e32 v30, vcc_lo, s23, v26, vcc_lo
	s_and_saveexec_b32 s22, s4
	s_cbranch_execz .LBB3_330
; %bb.329:                              ;   in Loop: Header=BB3_273 Depth=1
	v_mov_b32_e32 v5, s5
	global_store_dwordx4 v[29:30], v[5:8], off offset:8
.LBB3_330:                              ;   in Loop: Header=BB3_273 Depth=1
	s_or_b32 exec_lo, exec_lo, s22
	s_lshl_b64 s[20:21], s[20:21], 12
	v_cmp_gt_u64_e64 vcc_lo, s[10:11], 56
	v_or_b32_e32 v5, v2, v31
	v_add_co_u32 v27, s5, v27, s20
	v_add_co_ci_u32_e64 v28, s5, s21, v28, s5
	s_lshl_b32 s5, s16, 2
	v_or_b32_e32 v4, 0, v3
	v_cndmask_b32_e32 v2, v5, v2, vcc_lo
	s_add_i32 s5, s5, 28
	v_readfirstlane_b32 s20, v27
	s_and_b32 s5, s5, 0x1e0
	v_cndmask_b32_e32 v10, v4, v3, vcc_lo
	v_readfirstlane_b32 s21, v28
	v_and_or_b32 v9, 0xffffff1f, v2, s5
	global_store_dwordx4 v48, v[9:12], s[20:21]
	global_store_dwordx4 v48, v[13:16], s[20:21] offset:16
	global_store_dwordx4 v48, v[17:20], s[20:21] offset:32
	global_store_dwordx4 v48, v[21:24], s[20:21] offset:48
	s_and_saveexec_b32 s5, s4
	s_cbranch_execz .LBB3_338
; %bb.331:                              ;   in Loop: Header=BB3_273 Depth=1
	s_clause 0x1
	global_load_dwordx2 v[13:14], v6, s[26:27] offset:32 glc dlc
	global_load_dwordx2 v[2:3], v6, s[26:27] offset:40
	v_mov_b32_e32 v11, s18
	v_mov_b32_e32 v12, s19
	s_waitcnt vmcnt(0)
	v_readfirstlane_b32 s20, v2
	v_readfirstlane_b32 s21, v3
	s_and_b64 s[20:21], s[20:21], s[18:19]
	s_mul_i32 s21, s21, 24
	s_mul_hi_u32 s22, s20, 24
	s_mul_i32 s20, s20, 24
	s_add_i32 s22, s22, s21
	v_add_co_u32 v9, vcc_lo, v25, s20
	v_add_co_ci_u32_e32 v10, vcc_lo, s22, v26, vcc_lo
	s_mov_b32 s20, exec_lo
	global_store_dwordx2 v[9:10], v[13:14], off
	s_waitcnt_vscnt null, 0x0
	global_atomic_cmpswap_x2 v[4:5], v6, v[11:14], s[26:27] offset:32 glc
	s_waitcnt vmcnt(0)
	v_cmpx_ne_u64_e64 v[4:5], v[13:14]
	s_cbranch_execz .LBB3_334
; %bb.332:                              ;   in Loop: Header=BB3_273 Depth=1
	s_mov_b32 s21, 0
.LBB3_333:                              ;   Parent Loop BB3_273 Depth=1
                                        ; =>  This Inner Loop Header: Depth=2
	v_mov_b32_e32 v2, s18
	v_mov_b32_e32 v3, s19
	s_sleep 1
	global_store_dwordx2 v[9:10], v[4:5], off
	s_waitcnt_vscnt null, 0x0
	global_atomic_cmpswap_x2 v[2:3], v6, v[2:5], s[26:27] offset:32 glc
	s_waitcnt vmcnt(0)
	v_cmp_eq_u64_e32 vcc_lo, v[2:3], v[4:5]
	v_mov_b32_e32 v5, v3
	v_mov_b32_e32 v4, v2
	s_or_b32 s21, vcc_lo, s21
	s_andn2_b32 exec_lo, exec_lo, s21
	s_cbranch_execnz .LBB3_333
.LBB3_334:                              ;   in Loop: Header=BB3_273 Depth=1
	s_or_b32 exec_lo, exec_lo, s20
	global_load_dwordx2 v[2:3], v6, s[26:27] offset:16
	s_mov_b32 s21, exec_lo
	s_mov_b32 s20, exec_lo
	v_mbcnt_lo_u32_b32 v4, s21, 0
	v_cmpx_eq_u32_e32 0, v4
	s_cbranch_execz .LBB3_336
; %bb.335:                              ;   in Loop: Header=BB3_273 Depth=1
	s_bcnt1_i32_b32 s21, s21
	v_mov_b32_e32 v5, s21
	s_waitcnt vmcnt(0)
	global_atomic_add_x2 v[2:3], v[5:6], off offset:8
.LBB3_336:                              ;   in Loop: Header=BB3_273 Depth=1
	s_or_b32 exec_lo, exec_lo, s20
	s_waitcnt vmcnt(0)
	global_load_dwordx2 v[9:10], v[2:3], off offset:16
	s_waitcnt vmcnt(0)
	v_cmp_eq_u64_e32 vcc_lo, 0, v[9:10]
	s_cbranch_vccnz .LBB3_338
; %bb.337:                              ;   in Loop: Header=BB3_273 Depth=1
	global_load_dword v5, v[2:3], off offset:24
	s_waitcnt vmcnt(0)
	v_and_b32_e32 v2, 0x7fffff, v5
	s_waitcnt_vscnt null, 0x0
	global_store_dwordx2 v[9:10], v[5:6], off
	v_readfirstlane_b32 m0, v2
	s_sendmsg sendmsg(MSG_INTERRUPT)
.LBB3_338:                              ;   in Loop: Header=BB3_273 Depth=1
	s_or_b32 exec_lo, exec_lo, s5
	v_add_co_u32 v2, vcc_lo, v27, v48
	v_add_co_ci_u32_e32 v3, vcc_lo, 0, v28, vcc_lo
	s_branch .LBB3_342
	.p2align	6
.LBB3_339:                              ;   in Loop: Header=BB3_342 Depth=2
	s_or_b32 exec_lo, exec_lo, s5
	v_readfirstlane_b32 s5, v4
	s_cmp_eq_u32 s5, 0
	s_cbranch_scc1 .LBB3_341
; %bb.340:                              ;   in Loop: Header=BB3_342 Depth=2
	s_sleep 1
	s_cbranch_execnz .LBB3_342
	s_branch .LBB3_344
	.p2align	6
.LBB3_341:                              ;   in Loop: Header=BB3_273 Depth=1
	s_branch .LBB3_344
.LBB3_342:                              ;   Parent Loop BB3_273 Depth=1
                                        ; =>  This Inner Loop Header: Depth=2
	v_mov_b32_e32 v4, 1
	s_and_saveexec_b32 s5, s4
	s_cbranch_execz .LBB3_339
; %bb.343:                              ;   in Loop: Header=BB3_342 Depth=2
	global_load_dword v4, v[29:30], off offset:20 glc dlc
	s_waitcnt vmcnt(0)
	buffer_gl1_inv
	buffer_gl0_inv
	v_and_b32_e32 v4, 1, v4
	s_branch .LBB3_339
.LBB3_344:                              ;   in Loop: Header=BB3_273 Depth=1
	global_load_dwordx4 v[2:5], v[2:3], off
	s_and_saveexec_b32 s5, s4
	s_cbranch_execz .LBB3_272
; %bb.345:                              ;   in Loop: Header=BB3_273 Depth=1
	s_clause 0x2
	global_load_dwordx2 v[4:5], v6, s[26:27] offset:40
	global_load_dwordx2 v[13:14], v6, s[26:27] offset:24 glc dlc
	global_load_dwordx2 v[11:12], v6, s[26:27]
	s_waitcnt vmcnt(2)
	v_add_co_u32 v15, vcc_lo, v4, 1
	v_add_co_ci_u32_e32 v16, vcc_lo, 0, v5, vcc_lo
	v_add_co_u32 v9, vcc_lo, v15, s18
	v_add_co_ci_u32_e32 v10, vcc_lo, s19, v16, vcc_lo
	v_cmp_eq_u64_e32 vcc_lo, 0, v[9:10]
	v_cndmask_b32_e32 v10, v10, v16, vcc_lo
	v_cndmask_b32_e32 v9, v9, v15, vcc_lo
	v_and_b32_e32 v5, v10, v5
	v_and_b32_e32 v4, v9, v4
	v_mul_lo_u32 v5, v5, 24
	v_mul_hi_u32 v15, v4, 24
	v_mul_lo_u32 v4, v4, 24
	v_add_nc_u32_e32 v5, v15, v5
	s_waitcnt vmcnt(0)
	v_add_co_u32 v4, vcc_lo, v11, v4
	v_mov_b32_e32 v11, v13
	v_add_co_ci_u32_e32 v5, vcc_lo, v12, v5, vcc_lo
	v_mov_b32_e32 v12, v14
	global_store_dwordx2 v[4:5], v[13:14], off
	s_waitcnt_vscnt null, 0x0
	global_atomic_cmpswap_x2 v[11:12], v6, v[9:12], s[26:27] offset:24 glc
	s_waitcnt vmcnt(0)
	v_cmp_ne_u64_e32 vcc_lo, v[11:12], v[13:14]
	s_and_b32 exec_lo, exec_lo, vcc_lo
	s_cbranch_execz .LBB3_272
; %bb.346:                              ;   in Loop: Header=BB3_273 Depth=1
	s_mov_b32 s4, 0
.LBB3_347:                              ;   Parent Loop BB3_273 Depth=1
                                        ; =>  This Inner Loop Header: Depth=2
	s_sleep 1
	global_store_dwordx2 v[4:5], v[11:12], off
	s_waitcnt_vscnt null, 0x0
	global_atomic_cmpswap_x2 v[13:14], v6, v[9:12], s[26:27] offset:24 glc
	s_waitcnt vmcnt(0)
	v_cmp_eq_u64_e32 vcc_lo, v[13:14], v[11:12]
	v_mov_b32_e32 v11, v13
	v_mov_b32_e32 v12, v14
	s_or_b32 s4, vcc_lo, s4
	s_andn2_b32 exec_lo, exec_lo, s4
	s_cbranch_execnz .LBB3_347
	s_branch .LBB3_272
.LBB3_348:
	s_branch .LBB3_377
.LBB3_349:
                                        ; implicit-def: $vgpr2_vgpr3
	s_cbranch_execz .LBB3_377
; %bb.350:
	v_readfirstlane_b32 s4, v49
	v_mov_b32_e32 v8, 0
	v_mov_b32_e32 v9, 0
	v_cmp_eq_u32_e64 s4, s4, v49
	s_and_saveexec_b32 s5, s4
	s_cbranch_execz .LBB3_356
; %bb.351:
	s_waitcnt vmcnt(0)
	v_mov_b32_e32 v2, 0
	s_mov_b32 s6, exec_lo
	global_load_dwordx2 v[5:6], v2, s[26:27] offset:24 glc dlc
	s_waitcnt vmcnt(0)
	buffer_gl1_inv
	buffer_gl0_inv
	s_clause 0x1
	global_load_dwordx2 v[3:4], v2, s[26:27] offset:40
	global_load_dwordx2 v[7:8], v2, s[26:27]
	s_waitcnt vmcnt(1)
	v_and_b32_e32 v4, v4, v6
	v_and_b32_e32 v3, v3, v5
	v_mul_lo_u32 v4, v4, 24
	v_mul_hi_u32 v9, v3, 24
	v_mul_lo_u32 v3, v3, 24
	v_add_nc_u32_e32 v4, v9, v4
	s_waitcnt vmcnt(0)
	v_add_co_u32 v3, vcc_lo, v7, v3
	v_add_co_ci_u32_e32 v4, vcc_lo, v8, v4, vcc_lo
	global_load_dwordx2 v[3:4], v[3:4], off glc dlc
	s_waitcnt vmcnt(0)
	global_atomic_cmpswap_x2 v[8:9], v2, v[3:6], s[26:27] offset:24 glc
	s_waitcnt vmcnt(0)
	buffer_gl1_inv
	buffer_gl0_inv
	v_cmpx_ne_u64_e64 v[8:9], v[5:6]
	s_cbranch_execz .LBB3_355
; %bb.352:
	s_mov_b32 s7, 0
	.p2align	6
.LBB3_353:                              ; =>This Inner Loop Header: Depth=1
	s_sleep 1
	s_clause 0x1
	global_load_dwordx2 v[3:4], v2, s[26:27] offset:40
	global_load_dwordx2 v[10:11], v2, s[26:27]
	v_mov_b32_e32 v5, v8
	v_mov_b32_e32 v6, v9
	s_waitcnt vmcnt(1)
	v_and_b32_e32 v3, v3, v5
	v_and_b32_e32 v4, v4, v6
	s_waitcnt vmcnt(0)
	v_mad_u64_u32 v[7:8], null, v3, 24, v[10:11]
	v_mov_b32_e32 v3, v8
	v_mad_u64_u32 v[3:4], null, v4, 24, v[3:4]
	v_mov_b32_e32 v8, v3
	global_load_dwordx2 v[3:4], v[7:8], off glc dlc
	s_waitcnt vmcnt(0)
	global_atomic_cmpswap_x2 v[8:9], v2, v[3:6], s[26:27] offset:24 glc
	s_waitcnt vmcnt(0)
	buffer_gl1_inv
	buffer_gl0_inv
	v_cmp_eq_u64_e32 vcc_lo, v[8:9], v[5:6]
	s_or_b32 s7, vcc_lo, s7
	s_andn2_b32 exec_lo, exec_lo, s7
	s_cbranch_execnz .LBB3_353
; %bb.354:
	s_or_b32 exec_lo, exec_lo, s7
.LBB3_355:
	s_or_b32 exec_lo, exec_lo, s6
.LBB3_356:
	s_or_b32 exec_lo, exec_lo, s5
	s_waitcnt vmcnt(0)
	v_mov_b32_e32 v2, 0
	v_readfirstlane_b32 s6, v8
	v_readfirstlane_b32 s7, v9
	s_mov_b32 s5, exec_lo
	s_clause 0x1
	global_load_dwordx2 v[10:11], v2, s[26:27] offset:40
	global_load_dwordx4 v[4:7], v2, s[26:27]
	s_waitcnt vmcnt(1)
	v_readfirstlane_b32 s10, v10
	v_readfirstlane_b32 s11, v11
	s_and_b64 s[10:11], s[6:7], s[10:11]
	s_mul_i32 s16, s11, 24
	s_mul_hi_u32 s17, s10, 24
	s_mul_i32 s18, s10, 24
	s_add_i32 s17, s17, s16
	s_waitcnt vmcnt(0)
	v_add_co_u32 v8, vcc_lo, v4, s18
	v_add_co_ci_u32_e32 v9, vcc_lo, s17, v5, vcc_lo
	s_and_saveexec_b32 s16, s4
	s_cbranch_execz .LBB3_358
; %bb.357:
	v_mov_b32_e32 v10, s5
	v_mov_b32_e32 v11, v2
	;; [unrolled: 1-line block ×4, first 2 shown]
	global_store_dwordx4 v[8:9], v[10:13], off offset:8
.LBB3_358:
	s_or_b32 exec_lo, exec_lo, s16
	s_lshl_b64 s[10:11], s[10:11], 12
	s_mov_b32 s16, 0
	v_add_co_u32 v6, vcc_lo, v6, s10
	v_add_co_ci_u32_e32 v7, vcc_lo, s11, v7, vcc_lo
	s_mov_b32 s17, s16
	v_readfirstlane_b32 s10, v6
	v_add_co_u32 v6, vcc_lo, v6, v48
	s_mov_b32 s18, s16
	s_mov_b32 s19, s16
	v_and_or_b32 v0, 0xffffff1f, v0, 32
	v_mov_b32_e32 v3, v2
	v_readfirstlane_b32 s11, v7
	v_mov_b32_e32 v10, s16
	v_add_co_ci_u32_e32 v7, vcc_lo, 0, v7, vcc_lo
	v_mov_b32_e32 v11, s17
	v_mov_b32_e32 v12, s18
	;; [unrolled: 1-line block ×3, first 2 shown]
	global_store_dwordx4 v48, v[0:3], s[10:11]
	global_store_dwordx4 v48, v[10:13], s[10:11] offset:16
	global_store_dwordx4 v48, v[10:13], s[10:11] offset:32
	global_store_dwordx4 v48, v[10:13], s[10:11] offset:48
	s_and_saveexec_b32 s5, s4
	s_cbranch_execz .LBB3_366
; %bb.359:
	v_mov_b32_e32 v10, 0
	v_mov_b32_e32 v11, s6
	;; [unrolled: 1-line block ×3, first 2 shown]
	s_clause 0x1
	global_load_dwordx2 v[13:14], v10, s[26:27] offset:32 glc dlc
	global_load_dwordx2 v[0:1], v10, s[26:27] offset:40
	s_waitcnt vmcnt(0)
	v_readfirstlane_b32 s10, v0
	v_readfirstlane_b32 s11, v1
	s_and_b64 s[10:11], s[10:11], s[6:7]
	s_mul_i32 s11, s11, 24
	s_mul_hi_u32 s16, s10, 24
	s_mul_i32 s10, s10, 24
	s_add_i32 s16, s16, s11
	v_add_co_u32 v4, vcc_lo, v4, s10
	v_add_co_ci_u32_e32 v5, vcc_lo, s16, v5, vcc_lo
	s_mov_b32 s10, exec_lo
	global_store_dwordx2 v[4:5], v[13:14], off
	s_waitcnt_vscnt null, 0x0
	global_atomic_cmpswap_x2 v[2:3], v10, v[11:14], s[26:27] offset:32 glc
	s_waitcnt vmcnt(0)
	v_cmpx_ne_u64_e64 v[2:3], v[13:14]
	s_cbranch_execz .LBB3_362
; %bb.360:
	s_mov_b32 s11, 0
.LBB3_361:                              ; =>This Inner Loop Header: Depth=1
	v_mov_b32_e32 v0, s6
	v_mov_b32_e32 v1, s7
	s_sleep 1
	global_store_dwordx2 v[4:5], v[2:3], off
	s_waitcnt_vscnt null, 0x0
	global_atomic_cmpswap_x2 v[0:1], v10, v[0:3], s[26:27] offset:32 glc
	s_waitcnt vmcnt(0)
	v_cmp_eq_u64_e32 vcc_lo, v[0:1], v[2:3]
	v_mov_b32_e32 v3, v1
	v_mov_b32_e32 v2, v0
	s_or_b32 s11, vcc_lo, s11
	s_andn2_b32 exec_lo, exec_lo, s11
	s_cbranch_execnz .LBB3_361
.LBB3_362:
	s_or_b32 exec_lo, exec_lo, s10
	v_mov_b32_e32 v3, 0
	s_mov_b32 s11, exec_lo
	s_mov_b32 s10, exec_lo
	v_mbcnt_lo_u32_b32 v2, s11, 0
	global_load_dwordx2 v[0:1], v3, s[26:27] offset:16
	v_cmpx_eq_u32_e32 0, v2
	s_cbranch_execz .LBB3_364
; %bb.363:
	s_bcnt1_i32_b32 s11, s11
	v_mov_b32_e32 v2, s11
	s_waitcnt vmcnt(0)
	global_atomic_add_x2 v[0:1], v[2:3], off offset:8
.LBB3_364:
	s_or_b32 exec_lo, exec_lo, s10
	s_waitcnt vmcnt(0)
	global_load_dwordx2 v[2:3], v[0:1], off offset:16
	s_waitcnt vmcnt(0)
	v_cmp_eq_u64_e32 vcc_lo, 0, v[2:3]
	s_cbranch_vccnz .LBB3_366
; %bb.365:
	global_load_dword v0, v[0:1], off offset:24
	v_mov_b32_e32 v1, 0
	s_waitcnt vmcnt(0)
	v_and_b32_e32 v4, 0x7fffff, v0
	s_waitcnt_vscnt null, 0x0
	global_store_dwordx2 v[2:3], v[0:1], off
	v_readfirstlane_b32 m0, v4
	s_sendmsg sendmsg(MSG_INTERRUPT)
.LBB3_366:
	s_or_b32 exec_lo, exec_lo, s5
	s_branch .LBB3_370
	.p2align	6
.LBB3_367:                              ;   in Loop: Header=BB3_370 Depth=1
	s_or_b32 exec_lo, exec_lo, s5
	v_readfirstlane_b32 s5, v0
	s_cmp_eq_u32 s5, 0
	s_cbranch_scc1 .LBB3_369
; %bb.368:                              ;   in Loop: Header=BB3_370 Depth=1
	s_sleep 1
	s_cbranch_execnz .LBB3_370
	s_branch .LBB3_372
	.p2align	6
.LBB3_369:
	s_branch .LBB3_372
.LBB3_370:                              ; =>This Inner Loop Header: Depth=1
	v_mov_b32_e32 v0, 1
	s_and_saveexec_b32 s5, s4
	s_cbranch_execz .LBB3_367
; %bb.371:                              ;   in Loop: Header=BB3_370 Depth=1
	global_load_dword v0, v[8:9], off offset:20 glc dlc
	s_waitcnt vmcnt(0)
	buffer_gl1_inv
	buffer_gl0_inv
	v_and_b32_e32 v0, 1, v0
	s_branch .LBB3_367
.LBB3_372:
	global_load_dwordx2 v[2:3], v[6:7], off
	s_and_saveexec_b32 s5, s4
	s_cbranch_execz .LBB3_376
; %bb.373:
	v_mov_b32_e32 v8, 0
	s_clause 0x2
	global_load_dwordx2 v[0:1], v8, s[26:27] offset:40
	global_load_dwordx2 v[9:10], v8, s[26:27] offset:24 glc dlc
	global_load_dwordx2 v[6:7], v8, s[26:27]
	s_waitcnt vmcnt(2)
	v_add_co_u32 v11, vcc_lo, v0, 1
	v_add_co_ci_u32_e32 v12, vcc_lo, 0, v1, vcc_lo
	v_add_co_u32 v4, vcc_lo, v11, s6
	v_add_co_ci_u32_e32 v5, vcc_lo, s7, v12, vcc_lo
	v_cmp_eq_u64_e32 vcc_lo, 0, v[4:5]
	v_cndmask_b32_e32 v5, v5, v12, vcc_lo
	v_cndmask_b32_e32 v4, v4, v11, vcc_lo
	v_and_b32_e32 v1, v5, v1
	v_and_b32_e32 v0, v4, v0
	v_mul_lo_u32 v1, v1, 24
	v_mul_hi_u32 v11, v0, 24
	v_mul_lo_u32 v0, v0, 24
	v_add_nc_u32_e32 v1, v11, v1
	s_waitcnt vmcnt(0)
	v_add_co_u32 v0, vcc_lo, v6, v0
	v_mov_b32_e32 v6, v9
	v_add_co_ci_u32_e32 v1, vcc_lo, v7, v1, vcc_lo
	v_mov_b32_e32 v7, v10
	global_store_dwordx2 v[0:1], v[9:10], off
	s_waitcnt_vscnt null, 0x0
	global_atomic_cmpswap_x2 v[6:7], v8, v[4:7], s[26:27] offset:24 glc
	s_waitcnt vmcnt(0)
	v_cmp_ne_u64_e32 vcc_lo, v[6:7], v[9:10]
	s_and_b32 exec_lo, exec_lo, vcc_lo
	s_cbranch_execz .LBB3_376
; %bb.374:
	s_mov_b32 s4, 0
.LBB3_375:                              ; =>This Inner Loop Header: Depth=1
	s_sleep 1
	global_store_dwordx2 v[0:1], v[6:7], off
	s_waitcnt_vscnt null, 0x0
	global_atomic_cmpswap_x2 v[9:10], v8, v[4:7], s[26:27] offset:24 glc
	s_waitcnt vmcnt(0)
	v_cmp_eq_u64_e32 vcc_lo, v[9:10], v[6:7]
	v_mov_b32_e32 v6, v9
	v_mov_b32_e32 v7, v10
	s_or_b32 s4, vcc_lo, s4
	s_andn2_b32 exec_lo, exec_lo, s4
	s_cbranch_execnz .LBB3_375
.LBB3_376:
	s_or_b32 exec_lo, exec_lo, s5
.LBB3_377:
	v_readfirstlane_b32 s4, v49
	s_waitcnt vmcnt(0)
	v_mov_b32_e32 v0, 0
	v_mov_b32_e32 v1, 0
	v_cmp_eq_u32_e64 s4, s4, v49
	s_and_saveexec_b32 s5, s4
	s_cbranch_execz .LBB3_383
; %bb.378:
	v_mov_b32_e32 v4, 0
	s_mov_b32 s6, exec_lo
	global_load_dwordx2 v[7:8], v4, s[26:27] offset:24 glc dlc
	s_waitcnt vmcnt(0)
	buffer_gl1_inv
	buffer_gl0_inv
	s_clause 0x1
	global_load_dwordx2 v[0:1], v4, s[26:27] offset:40
	global_load_dwordx2 v[5:6], v4, s[26:27]
	s_waitcnt vmcnt(1)
	v_and_b32_e32 v1, v1, v8
	v_and_b32_e32 v0, v0, v7
	v_mul_lo_u32 v1, v1, 24
	v_mul_hi_u32 v9, v0, 24
	v_mul_lo_u32 v0, v0, 24
	v_add_nc_u32_e32 v1, v9, v1
	s_waitcnt vmcnt(0)
	v_add_co_u32 v0, vcc_lo, v5, v0
	v_add_co_ci_u32_e32 v1, vcc_lo, v6, v1, vcc_lo
	global_load_dwordx2 v[5:6], v[0:1], off glc dlc
	s_waitcnt vmcnt(0)
	global_atomic_cmpswap_x2 v[0:1], v4, v[5:8], s[26:27] offset:24 glc
	s_waitcnt vmcnt(0)
	buffer_gl1_inv
	buffer_gl0_inv
	v_cmpx_ne_u64_e64 v[0:1], v[7:8]
	s_cbranch_execz .LBB3_382
; %bb.379:
	s_mov_b32 s7, 0
	.p2align	6
.LBB3_380:                              ; =>This Inner Loop Header: Depth=1
	s_sleep 1
	s_clause 0x1
	global_load_dwordx2 v[5:6], v4, s[26:27] offset:40
	global_load_dwordx2 v[9:10], v4, s[26:27]
	v_mov_b32_e32 v8, v1
	v_mov_b32_e32 v7, v0
	s_waitcnt vmcnt(1)
	v_and_b32_e32 v0, v5, v7
	v_and_b32_e32 v5, v6, v8
	s_waitcnt vmcnt(0)
	v_mad_u64_u32 v[0:1], null, v0, 24, v[9:10]
	v_mad_u64_u32 v[5:6], null, v5, 24, v[1:2]
	v_mov_b32_e32 v1, v5
	global_load_dwordx2 v[5:6], v[0:1], off glc dlc
	s_waitcnt vmcnt(0)
	global_atomic_cmpswap_x2 v[0:1], v4, v[5:8], s[26:27] offset:24 glc
	s_waitcnt vmcnt(0)
	buffer_gl1_inv
	buffer_gl0_inv
	v_cmp_eq_u64_e32 vcc_lo, v[0:1], v[7:8]
	s_or_b32 s7, vcc_lo, s7
	s_andn2_b32 exec_lo, exec_lo, s7
	s_cbranch_execnz .LBB3_380
; %bb.381:
	s_or_b32 exec_lo, exec_lo, s7
.LBB3_382:
	s_or_b32 exec_lo, exec_lo, s6
.LBB3_383:
	s_or_b32 exec_lo, exec_lo, s5
	v_mov_b32_e32 v5, 0
	v_readfirstlane_b32 s6, v0
	v_readfirstlane_b32 s7, v1
	s_mov_b32 s5, exec_lo
	s_clause 0x1
	global_load_dwordx2 v[10:11], v5, s[26:27] offset:40
	global_load_dwordx4 v[6:9], v5, s[26:27]
	s_waitcnt vmcnt(1)
	v_readfirstlane_b32 s10, v10
	v_readfirstlane_b32 s11, v11
	s_and_b64 s[10:11], s[6:7], s[10:11]
	s_mul_i32 s16, s11, 24
	s_mul_hi_u32 s17, s10, 24
	s_mul_i32 s18, s10, 24
	s_add_i32 s17, s17, s16
	s_waitcnt vmcnt(0)
	v_add_co_u32 v10, vcc_lo, v6, s18
	v_add_co_ci_u32_e32 v11, vcc_lo, s17, v7, vcc_lo
	s_and_saveexec_b32 s16, s4
	s_cbranch_execz .LBB3_385
; %bb.384:
	v_mov_b32_e32 v4, s5
	v_mov_b32_e32 v13, v5
	;; [unrolled: 1-line block ×5, first 2 shown]
	global_store_dwordx4 v[10:11], v[12:15], off offset:8
.LBB3_385:
	s_or_b32 exec_lo, exec_lo, s16
	s_lshl_b64 s[10:11], s[10:11], 12
	s_mov_b32 s16, 0
	v_add_co_u32 v0, vcc_lo, v8, s10
	v_add_co_ci_u32_e32 v1, vcc_lo, s11, v9, vcc_lo
	s_mov_b32 s17, s16
	s_mov_b32 s18, s16
	s_mov_b32 s19, s16
	v_and_or_b32 v2, 0xffffff1d, v2, 34
	v_mov_b32_e32 v4, 10
	v_readfirstlane_b32 s10, v0
	v_readfirstlane_b32 s11, v1
	v_mov_b32_e32 v12, s16
	v_mov_b32_e32 v13, s17
	;; [unrolled: 1-line block ×4, first 2 shown]
	global_store_dwordx4 v48, v[2:5], s[10:11]
	global_store_dwordx4 v48, v[12:15], s[10:11] offset:16
	global_store_dwordx4 v48, v[12:15], s[10:11] offset:32
	;; [unrolled: 1-line block ×3, first 2 shown]
	s_and_saveexec_b32 s5, s4
	s_cbranch_execz .LBB3_393
; %bb.386:
	v_mov_b32_e32 v8, 0
	v_mov_b32_e32 v12, s6
	;; [unrolled: 1-line block ×3, first 2 shown]
	s_clause 0x1
	global_load_dwordx2 v[14:15], v8, s[26:27] offset:32 glc dlc
	global_load_dwordx2 v[0:1], v8, s[26:27] offset:40
	s_waitcnt vmcnt(0)
	v_readfirstlane_b32 s10, v0
	v_readfirstlane_b32 s11, v1
	s_and_b64 s[10:11], s[10:11], s[6:7]
	s_mul_i32 s11, s11, 24
	s_mul_hi_u32 s16, s10, 24
	s_mul_i32 s10, s10, 24
	s_add_i32 s16, s16, s11
	v_add_co_u32 v4, vcc_lo, v6, s10
	v_add_co_ci_u32_e32 v5, vcc_lo, s16, v7, vcc_lo
	s_mov_b32 s10, exec_lo
	global_store_dwordx2 v[4:5], v[14:15], off
	s_waitcnt_vscnt null, 0x0
	global_atomic_cmpswap_x2 v[2:3], v8, v[12:15], s[26:27] offset:32 glc
	s_waitcnt vmcnt(0)
	v_cmpx_ne_u64_e64 v[2:3], v[14:15]
	s_cbranch_execz .LBB3_389
; %bb.387:
	s_mov_b32 s11, 0
.LBB3_388:                              ; =>This Inner Loop Header: Depth=1
	v_mov_b32_e32 v0, s6
	v_mov_b32_e32 v1, s7
	s_sleep 1
	global_store_dwordx2 v[4:5], v[2:3], off
	s_waitcnt_vscnt null, 0x0
	global_atomic_cmpswap_x2 v[0:1], v8, v[0:3], s[26:27] offset:32 glc
	s_waitcnt vmcnt(0)
	v_cmp_eq_u64_e32 vcc_lo, v[0:1], v[2:3]
	v_mov_b32_e32 v3, v1
	v_mov_b32_e32 v2, v0
	s_or_b32 s11, vcc_lo, s11
	s_andn2_b32 exec_lo, exec_lo, s11
	s_cbranch_execnz .LBB3_388
.LBB3_389:
	s_or_b32 exec_lo, exec_lo, s10
	v_mov_b32_e32 v3, 0
	s_mov_b32 s11, exec_lo
	s_mov_b32 s10, exec_lo
	v_mbcnt_lo_u32_b32 v2, s11, 0
	global_load_dwordx2 v[0:1], v3, s[26:27] offset:16
	v_cmpx_eq_u32_e32 0, v2
	s_cbranch_execz .LBB3_391
; %bb.390:
	s_bcnt1_i32_b32 s11, s11
	v_mov_b32_e32 v2, s11
	s_waitcnt vmcnt(0)
	global_atomic_add_x2 v[0:1], v[2:3], off offset:8
.LBB3_391:
	s_or_b32 exec_lo, exec_lo, s10
	s_waitcnt vmcnt(0)
	global_load_dwordx2 v[2:3], v[0:1], off offset:16
	s_waitcnt vmcnt(0)
	v_cmp_eq_u64_e32 vcc_lo, 0, v[2:3]
	s_cbranch_vccnz .LBB3_393
; %bb.392:
	global_load_dword v0, v[0:1], off offset:24
	v_mov_b32_e32 v1, 0
	s_waitcnt vmcnt(0)
	v_and_b32_e32 v4, 0x7fffff, v0
	s_waitcnt_vscnt null, 0x0
	global_store_dwordx2 v[2:3], v[0:1], off
	v_readfirstlane_b32 m0, v4
	s_sendmsg sendmsg(MSG_INTERRUPT)
.LBB3_393:
	s_or_b32 exec_lo, exec_lo, s5
	s_branch .LBB3_397
	.p2align	6
.LBB3_394:                              ;   in Loop: Header=BB3_397 Depth=1
	s_or_b32 exec_lo, exec_lo, s5
	v_readfirstlane_b32 s5, v0
	s_cmp_eq_u32 s5, 0
	s_cbranch_scc1 .LBB3_396
; %bb.395:                              ;   in Loop: Header=BB3_397 Depth=1
	s_sleep 1
	s_cbranch_execnz .LBB3_397
	s_branch .LBB3_399
	.p2align	6
.LBB3_396:
	s_branch .LBB3_399
.LBB3_397:                              ; =>This Inner Loop Header: Depth=1
	v_mov_b32_e32 v0, 1
	s_and_saveexec_b32 s5, s4
	s_cbranch_execz .LBB3_394
; %bb.398:                              ;   in Loop: Header=BB3_397 Depth=1
	global_load_dword v0, v[10:11], off offset:20 glc dlc
	s_waitcnt vmcnt(0)
	buffer_gl1_inv
	buffer_gl0_inv
	v_and_b32_e32 v0, 1, v0
	s_branch .LBB3_394
.LBB3_399:
	s_and_saveexec_b32 s5, s4
	s_cbranch_execz .LBB3_403
; %bb.400:
	v_mov_b32_e32 v6, 0
	s_clause 0x2
	global_load_dwordx2 v[2:3], v6, s[26:27] offset:40
	global_load_dwordx2 v[7:8], v6, s[26:27] offset:24 glc dlc
	global_load_dwordx2 v[4:5], v6, s[26:27]
	s_waitcnt vmcnt(2)
	v_add_co_u32 v9, vcc_lo, v2, 1
	v_add_co_ci_u32_e32 v10, vcc_lo, 0, v3, vcc_lo
	v_add_co_u32 v0, vcc_lo, v9, s6
	v_add_co_ci_u32_e32 v1, vcc_lo, s7, v10, vcc_lo
	v_cmp_eq_u64_e32 vcc_lo, 0, v[0:1]
	v_cndmask_b32_e32 v1, v1, v10, vcc_lo
	v_cndmask_b32_e32 v0, v0, v9, vcc_lo
	v_and_b32_e32 v3, v1, v3
	v_and_b32_e32 v2, v0, v2
	v_mul_lo_u32 v3, v3, 24
	v_mul_hi_u32 v9, v2, 24
	v_mul_lo_u32 v2, v2, 24
	v_add_nc_u32_e32 v3, v9, v3
	s_waitcnt vmcnt(0)
	v_add_co_u32 v4, vcc_lo, v4, v2
	v_mov_b32_e32 v2, v7
	v_add_co_ci_u32_e32 v5, vcc_lo, v5, v3, vcc_lo
	v_mov_b32_e32 v3, v8
	global_store_dwordx2 v[4:5], v[7:8], off
	s_waitcnt_vscnt null, 0x0
	global_atomic_cmpswap_x2 v[2:3], v6, v[0:3], s[26:27] offset:24 glc
	s_waitcnt vmcnt(0)
	v_cmp_ne_u64_e32 vcc_lo, v[2:3], v[7:8]
	s_and_b32 exec_lo, exec_lo, vcc_lo
	s_cbranch_execz .LBB3_403
; %bb.401:
	s_mov_b32 s4, 0
.LBB3_402:                              ; =>This Inner Loop Header: Depth=1
	s_sleep 1
	global_store_dwordx2 v[4:5], v[2:3], off
	s_waitcnt_vscnt null, 0x0
	global_atomic_cmpswap_x2 v[7:8], v6, v[0:3], s[26:27] offset:24 glc
	s_waitcnt vmcnt(0)
	v_cmp_eq_u64_e32 vcc_lo, v[7:8], v[2:3]
	v_mov_b32_e32 v2, v7
	v_mov_b32_e32 v3, v8
	s_or_b32 s4, vcc_lo, s4
	s_andn2_b32 exec_lo, exec_lo, s4
	s_cbranch_execnz .LBB3_402
.LBB3_403:
	s_or_b32 exec_lo, exec_lo, s5
	v_readfirstlane_b32 s4, v49
	v_mov_b32_e32 v6, 0
	v_mov_b32_e32 v7, 0
	v_cmp_eq_u32_e64 s4, s4, v49
	s_and_saveexec_b32 s5, s4
	s_cbranch_execz .LBB3_409
; %bb.404:
	v_mov_b32_e32 v0, 0
	s_mov_b32 s6, exec_lo
	global_load_dwordx2 v[3:4], v0, s[26:27] offset:24 glc dlc
	s_waitcnt vmcnt(0)
	buffer_gl1_inv
	buffer_gl0_inv
	s_clause 0x1
	global_load_dwordx2 v[1:2], v0, s[26:27] offset:40
	global_load_dwordx2 v[5:6], v0, s[26:27]
	s_waitcnt vmcnt(1)
	v_and_b32_e32 v2, v2, v4
	v_and_b32_e32 v1, v1, v3
	v_mul_lo_u32 v2, v2, 24
	v_mul_hi_u32 v7, v1, 24
	v_mul_lo_u32 v1, v1, 24
	v_add_nc_u32_e32 v2, v7, v2
	s_waitcnt vmcnt(0)
	v_add_co_u32 v1, vcc_lo, v5, v1
	v_add_co_ci_u32_e32 v2, vcc_lo, v6, v2, vcc_lo
	global_load_dwordx2 v[1:2], v[1:2], off glc dlc
	s_waitcnt vmcnt(0)
	global_atomic_cmpswap_x2 v[6:7], v0, v[1:4], s[26:27] offset:24 glc
	s_waitcnt vmcnt(0)
	buffer_gl1_inv
	buffer_gl0_inv
	v_cmpx_ne_u64_e64 v[6:7], v[3:4]
	s_cbranch_execz .LBB3_408
; %bb.405:
	s_mov_b32 s7, 0
	.p2align	6
.LBB3_406:                              ; =>This Inner Loop Header: Depth=1
	s_sleep 1
	s_clause 0x1
	global_load_dwordx2 v[1:2], v0, s[26:27] offset:40
	global_load_dwordx2 v[8:9], v0, s[26:27]
	v_mov_b32_e32 v3, v6
	v_mov_b32_e32 v4, v7
	s_waitcnt vmcnt(1)
	v_and_b32_e32 v1, v1, v3
	v_and_b32_e32 v2, v2, v4
	s_waitcnt vmcnt(0)
	v_mad_u64_u32 v[5:6], null, v1, 24, v[8:9]
	v_mov_b32_e32 v1, v6
	v_mad_u64_u32 v[1:2], null, v2, 24, v[1:2]
	v_mov_b32_e32 v6, v1
	global_load_dwordx2 v[1:2], v[5:6], off glc dlc
	s_waitcnt vmcnt(0)
	global_atomic_cmpswap_x2 v[6:7], v0, v[1:4], s[26:27] offset:24 glc
	s_waitcnt vmcnt(0)
	buffer_gl1_inv
	buffer_gl0_inv
	v_cmp_eq_u64_e32 vcc_lo, v[6:7], v[3:4]
	s_or_b32 s7, vcc_lo, s7
	s_andn2_b32 exec_lo, exec_lo, s7
	s_cbranch_execnz .LBB3_406
; %bb.407:
	s_or_b32 exec_lo, exec_lo, s7
.LBB3_408:
	s_or_b32 exec_lo, exec_lo, s6
.LBB3_409:
	s_or_b32 exec_lo, exec_lo, s5
	v_mov_b32_e32 v5, 0
	v_readfirstlane_b32 s6, v6
	v_readfirstlane_b32 s7, v7
	s_mov_b32 s5, exec_lo
	s_clause 0x1
	global_load_dwordx2 v[8:9], v5, s[26:27] offset:40
	global_load_dwordx4 v[0:3], v5, s[26:27]
	s_waitcnt vmcnt(1)
	v_readfirstlane_b32 s10, v8
	v_readfirstlane_b32 s11, v9
	s_and_b64 s[10:11], s[6:7], s[10:11]
	s_mul_i32 s16, s11, 24
	s_mul_hi_u32 s17, s10, 24
	s_mul_i32 s18, s10, 24
	s_add_i32 s17, s17, s16
	s_waitcnt vmcnt(0)
	v_add_co_u32 v8, vcc_lo, v0, s18
	v_add_co_ci_u32_e32 v9, vcc_lo, s17, v1, vcc_lo
	s_and_saveexec_b32 s16, s4
	s_cbranch_execz .LBB3_411
; %bb.410:
	v_mov_b32_e32 v4, s5
	v_mov_b32_e32 v6, 2
	;; [unrolled: 1-line block ×3, first 2 shown]
	global_store_dwordx4 v[8:9], v[4:7], off offset:8
.LBB3_411:
	s_or_b32 exec_lo, exec_lo, s16
	s_lshl_b64 s[10:11], s[10:11], 12
	s_mov_b32 s16, 0
	v_add_co_u32 v2, vcc_lo, v2, s10
	v_add_co_ci_u32_e32 v3, vcc_lo, s11, v3, vcc_lo
	s_mov_b32 s17, s16
	v_add_co_u32 v10, vcc_lo, v2, v48
	s_mov_b32 s18, s16
	s_mov_b32 s19, s16
	v_mov_b32_e32 v4, 33
	v_mov_b32_e32 v6, v5
	;; [unrolled: 1-line block ×3, first 2 shown]
	v_readfirstlane_b32 s10, v2
	v_readfirstlane_b32 s11, v3
	v_mov_b32_e32 v12, s16
	v_add_co_ci_u32_e32 v11, vcc_lo, 0, v3, vcc_lo
	v_mov_b32_e32 v13, s17
	v_mov_b32_e32 v14, s18
	;; [unrolled: 1-line block ×3, first 2 shown]
	global_store_dwordx4 v48, v[4:7], s[10:11]
	global_store_dwordx4 v48, v[12:15], s[10:11] offset:16
	global_store_dwordx4 v48, v[12:15], s[10:11] offset:32
	;; [unrolled: 1-line block ×3, first 2 shown]
	s_and_saveexec_b32 s5, s4
	s_cbranch_execz .LBB3_419
; %bb.412:
	v_mov_b32_e32 v6, 0
	v_mov_b32_e32 v12, s6
	;; [unrolled: 1-line block ×3, first 2 shown]
	s_clause 0x1
	global_load_dwordx2 v[14:15], v6, s[26:27] offset:32 glc dlc
	global_load_dwordx2 v[2:3], v6, s[26:27] offset:40
	s_waitcnt vmcnt(0)
	v_readfirstlane_b32 s10, v2
	v_readfirstlane_b32 s11, v3
	s_and_b64 s[10:11], s[10:11], s[6:7]
	s_mul_i32 s11, s11, 24
	s_mul_hi_u32 s16, s10, 24
	s_mul_i32 s10, s10, 24
	s_add_i32 s16, s16, s11
	v_add_co_u32 v4, vcc_lo, v0, s10
	v_add_co_ci_u32_e32 v5, vcc_lo, s16, v1, vcc_lo
	s_mov_b32 s10, exec_lo
	global_store_dwordx2 v[4:5], v[14:15], off
	s_waitcnt_vscnt null, 0x0
	global_atomic_cmpswap_x2 v[2:3], v6, v[12:15], s[26:27] offset:32 glc
	s_waitcnt vmcnt(0)
	v_cmpx_ne_u64_e64 v[2:3], v[14:15]
	s_cbranch_execz .LBB3_415
; %bb.413:
	s_mov_b32 s11, 0
.LBB3_414:                              ; =>This Inner Loop Header: Depth=1
	v_mov_b32_e32 v0, s6
	v_mov_b32_e32 v1, s7
	s_sleep 1
	global_store_dwordx2 v[4:5], v[2:3], off
	s_waitcnt_vscnt null, 0x0
	global_atomic_cmpswap_x2 v[0:1], v6, v[0:3], s[26:27] offset:32 glc
	s_waitcnt vmcnt(0)
	v_cmp_eq_u64_e32 vcc_lo, v[0:1], v[2:3]
	v_mov_b32_e32 v3, v1
	v_mov_b32_e32 v2, v0
	s_or_b32 s11, vcc_lo, s11
	s_andn2_b32 exec_lo, exec_lo, s11
	s_cbranch_execnz .LBB3_414
.LBB3_415:
	s_or_b32 exec_lo, exec_lo, s10
	v_mov_b32_e32 v3, 0
	s_mov_b32 s11, exec_lo
	s_mov_b32 s10, exec_lo
	v_mbcnt_lo_u32_b32 v2, s11, 0
	global_load_dwordx2 v[0:1], v3, s[26:27] offset:16
	v_cmpx_eq_u32_e32 0, v2
	s_cbranch_execz .LBB3_417
; %bb.416:
	s_bcnt1_i32_b32 s11, s11
	v_mov_b32_e32 v2, s11
	s_waitcnt vmcnt(0)
	global_atomic_add_x2 v[0:1], v[2:3], off offset:8
.LBB3_417:
	s_or_b32 exec_lo, exec_lo, s10
	s_waitcnt vmcnt(0)
	global_load_dwordx2 v[2:3], v[0:1], off offset:16
	s_waitcnt vmcnt(0)
	v_cmp_eq_u64_e32 vcc_lo, 0, v[2:3]
	s_cbranch_vccnz .LBB3_419
; %bb.418:
	global_load_dword v0, v[0:1], off offset:24
	v_mov_b32_e32 v1, 0
	s_waitcnt vmcnt(0)
	v_and_b32_e32 v4, 0x7fffff, v0
	s_waitcnt_vscnt null, 0x0
	global_store_dwordx2 v[2:3], v[0:1], off
	v_readfirstlane_b32 m0, v4
	s_sendmsg sendmsg(MSG_INTERRUPT)
.LBB3_419:
	s_or_b32 exec_lo, exec_lo, s5
	s_branch .LBB3_423
	.p2align	6
.LBB3_420:                              ;   in Loop: Header=BB3_423 Depth=1
	s_or_b32 exec_lo, exec_lo, s5
	v_readfirstlane_b32 s5, v0
	s_cmp_eq_u32 s5, 0
	s_cbranch_scc1 .LBB3_422
; %bb.421:                              ;   in Loop: Header=BB3_423 Depth=1
	s_sleep 1
	s_cbranch_execnz .LBB3_423
	s_branch .LBB3_425
	.p2align	6
.LBB3_422:
	s_branch .LBB3_425
.LBB3_423:                              ; =>This Inner Loop Header: Depth=1
	v_mov_b32_e32 v0, 1
	s_and_saveexec_b32 s5, s4
	s_cbranch_execz .LBB3_420
; %bb.424:                              ;   in Loop: Header=BB3_423 Depth=1
	global_load_dword v0, v[8:9], off offset:20 glc dlc
	s_waitcnt vmcnt(0)
	buffer_gl1_inv
	buffer_gl0_inv
	v_and_b32_e32 v0, 1, v0
	s_branch .LBB3_420
.LBB3_425:
	global_load_dwordx2 v[4:5], v[10:11], off
	s_and_saveexec_b32 s5, s4
	s_cbranch_execz .LBB3_429
; %bb.426:
	v_mov_b32_e32 v8, 0
	s_clause 0x2
	global_load_dwordx2 v[2:3], v8, s[26:27] offset:40
	global_load_dwordx2 v[9:10], v8, s[26:27] offset:24 glc dlc
	global_load_dwordx2 v[6:7], v8, s[26:27]
	s_waitcnt vmcnt(2)
	v_add_co_u32 v11, vcc_lo, v2, 1
	v_add_co_ci_u32_e32 v12, vcc_lo, 0, v3, vcc_lo
	v_add_co_u32 v0, vcc_lo, v11, s6
	v_add_co_ci_u32_e32 v1, vcc_lo, s7, v12, vcc_lo
	v_cmp_eq_u64_e32 vcc_lo, 0, v[0:1]
	v_cndmask_b32_e32 v1, v1, v12, vcc_lo
	v_cndmask_b32_e32 v0, v0, v11, vcc_lo
	v_and_b32_e32 v3, v1, v3
	v_and_b32_e32 v2, v0, v2
	v_mul_lo_u32 v3, v3, 24
	v_mul_hi_u32 v11, v2, 24
	v_mul_lo_u32 v2, v2, 24
	v_add_nc_u32_e32 v3, v11, v3
	s_waitcnt vmcnt(0)
	v_add_co_u32 v6, vcc_lo, v6, v2
	v_mov_b32_e32 v2, v9
	v_add_co_ci_u32_e32 v7, vcc_lo, v7, v3, vcc_lo
	v_mov_b32_e32 v3, v10
	global_store_dwordx2 v[6:7], v[9:10], off
	s_waitcnt_vscnt null, 0x0
	global_atomic_cmpswap_x2 v[2:3], v8, v[0:3], s[26:27] offset:24 glc
	s_waitcnt vmcnt(0)
	v_cmp_ne_u64_e32 vcc_lo, v[2:3], v[9:10]
	s_and_b32 exec_lo, exec_lo, vcc_lo
	s_cbranch_execz .LBB3_429
; %bb.427:
	s_mov_b32 s4, 0
.LBB3_428:                              ; =>This Inner Loop Header: Depth=1
	s_sleep 1
	global_store_dwordx2 v[6:7], v[2:3], off
	s_waitcnt_vscnt null, 0x0
	global_atomic_cmpswap_x2 v[9:10], v8, v[0:3], s[26:27] offset:24 glc
	s_waitcnt vmcnt(0)
	v_cmp_eq_u64_e32 vcc_lo, v[9:10], v[2:3]
	v_mov_b32_e32 v2, v9
	v_mov_b32_e32 v3, v10
	s_or_b32 s4, vcc_lo, s4
	s_andn2_b32 exec_lo, exec_lo, s4
	s_cbranch_execnz .LBB3_428
.LBB3_429:
	s_or_b32 exec_lo, exec_lo, s5
	s_and_b32 vcc_lo, exec_lo, s15
	s_cbranch_vccz .LBB3_508
; %bb.430:
	s_waitcnt vmcnt(0)
	v_and_b32_e32 v28, 2, v4
	v_mov_b32_e32 v7, 0
	v_and_b32_e32 v0, -3, v4
	v_mov_b32_e32 v1, v5
	v_mov_b32_e32 v8, 2
	;; [unrolled: 1-line block ×3, first 2 shown]
	s_mov_b64 s[10:11], 3
	s_getpc_b64 s[6:7]
	s_add_u32 s6, s6, .str.5@rel32@lo+4
	s_addc_u32 s7, s7, .str.5@rel32@hi+12
	s_branch .LBB3_432
.LBB3_431:                              ;   in Loop: Header=BB3_432 Depth=1
	s_or_b32 exec_lo, exec_lo, s5
	s_sub_u32 s10, s10, s16
	s_subb_u32 s11, s11, s17
	s_add_u32 s6, s6, s16
	s_addc_u32 s7, s7, s17
	s_cmp_lg_u64 s[10:11], 0
	s_cbranch_scc0 .LBB3_507
.LBB3_432:                              ; =>This Loop Header: Depth=1
                                        ;     Child Loop BB3_441 Depth 2
                                        ;     Child Loop BB3_437 Depth 2
	;; [unrolled: 1-line block ×11, first 2 shown]
	v_cmp_lt_u64_e64 s4, s[10:11], 56
	v_cmp_gt_u64_e64 s5, s[10:11], 7
                                        ; implicit-def: $vgpr2_vgpr3
                                        ; implicit-def: $sgpr22
	s_and_b32 s4, s4, exec_lo
	s_cselect_b32 s17, s11, 0
	s_cselect_b32 s16, s10, 56
	s_and_b32 vcc_lo, exec_lo, s5
	s_mov_b32 s4, -1
	s_cbranch_vccz .LBB3_439
; %bb.433:                              ;   in Loop: Header=BB3_432 Depth=1
	s_andn2_b32 vcc_lo, exec_lo, s4
	s_mov_b64 s[4:5], s[6:7]
	s_cbranch_vccz .LBB3_443
.LBB3_434:                              ;   in Loop: Header=BB3_432 Depth=1
	s_cmp_gt_u32 s22, 7
	s_cbranch_scc1 .LBB3_444
.LBB3_435:                              ;   in Loop: Header=BB3_432 Depth=1
	v_mov_b32_e32 v10, 0
	v_mov_b32_e32 v11, 0
	s_cmp_eq_u32 s22, 0
	s_cbranch_scc1 .LBB3_438
; %bb.436:                              ;   in Loop: Header=BB3_432 Depth=1
	s_mov_b64 s[18:19], 0
	s_mov_b64 s[20:21], 0
.LBB3_437:                              ;   Parent Loop BB3_432 Depth=1
                                        ; =>  This Inner Loop Header: Depth=2
	s_add_u32 s24, s4, s20
	s_addc_u32 s25, s5, s21
	s_add_u32 s20, s20, 1
	global_load_ubyte v6, v7, s[24:25]
	s_addc_u32 s21, s21, 0
	s_waitcnt vmcnt(0)
	v_and_b32_e32 v6, 0xffff, v6
	v_lshlrev_b64 v[12:13], s18, v[6:7]
	s_add_u32 s18, s18, 8
	s_addc_u32 s19, s19, 0
	s_cmp_lg_u32 s22, s20
	v_or_b32_e32 v10, v12, v10
	v_or_b32_e32 v11, v13, v11
	s_cbranch_scc1 .LBB3_437
.LBB3_438:                              ;   in Loop: Header=BB3_432 Depth=1
	s_mov_b32 s23, 0
	s_cbranch_execz .LBB3_445
	s_branch .LBB3_446
.LBB3_439:                              ;   in Loop: Header=BB3_432 Depth=1
	s_waitcnt vmcnt(0)
	v_mov_b32_e32 v2, 0
	v_mov_b32_e32 v3, 0
	s_cmp_eq_u64 s[10:11], 0
	s_mov_b64 s[4:5], 0
	s_cbranch_scc1 .LBB3_442
; %bb.440:                              ;   in Loop: Header=BB3_432 Depth=1
	v_mov_b32_e32 v2, 0
	v_mov_b32_e32 v3, 0
	s_lshl_b64 s[18:19], s[16:17], 3
	s_mov_b64 s[20:21], s[6:7]
.LBB3_441:                              ;   Parent Loop BB3_432 Depth=1
                                        ; =>  This Inner Loop Header: Depth=2
	global_load_ubyte v6, v7, s[20:21]
	s_waitcnt vmcnt(0)
	v_and_b32_e32 v6, 0xffff, v6
	v_lshlrev_b64 v[10:11], s4, v[6:7]
	s_add_u32 s4, s4, 8
	s_addc_u32 s5, s5, 0
	s_add_u32 s20, s20, 1
	s_addc_u32 s21, s21, 0
	s_cmp_lg_u32 s18, s4
	v_or_b32_e32 v2, v10, v2
	v_or_b32_e32 v3, v11, v3
	s_cbranch_scc1 .LBB3_441
.LBB3_442:                              ;   in Loop: Header=BB3_432 Depth=1
	s_mov_b32 s22, 0
	s_mov_b64 s[4:5], s[6:7]
	s_cbranch_execnz .LBB3_434
.LBB3_443:                              ;   in Loop: Header=BB3_432 Depth=1
	global_load_dwordx2 v[2:3], v7, s[6:7]
	s_add_i32 s22, s16, -8
	s_add_u32 s4, s6, 8
	s_addc_u32 s5, s7, 0
	s_cmp_gt_u32 s22, 7
	s_cbranch_scc0 .LBB3_435
.LBB3_444:                              ;   in Loop: Header=BB3_432 Depth=1
                                        ; implicit-def: $vgpr10_vgpr11
                                        ; implicit-def: $sgpr23
.LBB3_445:                              ;   in Loop: Header=BB3_432 Depth=1
	global_load_dwordx2 v[10:11], v7, s[4:5]
	s_add_i32 s23, s22, -8
	s_add_u32 s4, s4, 8
	s_addc_u32 s5, s5, 0
.LBB3_446:                              ;   in Loop: Header=BB3_432 Depth=1
	s_cmp_gt_u32 s23, 7
	s_cbranch_scc1 .LBB3_451
; %bb.447:                              ;   in Loop: Header=BB3_432 Depth=1
	v_mov_b32_e32 v12, 0
	v_mov_b32_e32 v13, 0
	s_cmp_eq_u32 s23, 0
	s_cbranch_scc1 .LBB3_450
; %bb.448:                              ;   in Loop: Header=BB3_432 Depth=1
	s_mov_b64 s[18:19], 0
	s_mov_b64 s[20:21], 0
.LBB3_449:                              ;   Parent Loop BB3_432 Depth=1
                                        ; =>  This Inner Loop Header: Depth=2
	s_add_u32 s24, s4, s20
	s_addc_u32 s25, s5, s21
	s_add_u32 s20, s20, 1
	global_load_ubyte v6, v7, s[24:25]
	s_addc_u32 s21, s21, 0
	s_waitcnt vmcnt(0)
	v_and_b32_e32 v6, 0xffff, v6
	v_lshlrev_b64 v[14:15], s18, v[6:7]
	s_add_u32 s18, s18, 8
	s_addc_u32 s19, s19, 0
	s_cmp_lg_u32 s23, s20
	v_or_b32_e32 v12, v14, v12
	v_or_b32_e32 v13, v15, v13
	s_cbranch_scc1 .LBB3_449
.LBB3_450:                              ;   in Loop: Header=BB3_432 Depth=1
	s_mov_b32 s22, 0
	s_cbranch_execz .LBB3_452
	s_branch .LBB3_453
.LBB3_451:                              ;   in Loop: Header=BB3_432 Depth=1
                                        ; implicit-def: $sgpr22
.LBB3_452:                              ;   in Loop: Header=BB3_432 Depth=1
	global_load_dwordx2 v[12:13], v7, s[4:5]
	s_add_i32 s22, s23, -8
	s_add_u32 s4, s4, 8
	s_addc_u32 s5, s5, 0
.LBB3_453:                              ;   in Loop: Header=BB3_432 Depth=1
	s_cmp_gt_u32 s22, 7
	s_cbranch_scc1 .LBB3_458
; %bb.454:                              ;   in Loop: Header=BB3_432 Depth=1
	v_mov_b32_e32 v14, 0
	v_mov_b32_e32 v15, 0
	s_cmp_eq_u32 s22, 0
	s_cbranch_scc1 .LBB3_457
; %bb.455:                              ;   in Loop: Header=BB3_432 Depth=1
	s_mov_b64 s[18:19], 0
	s_mov_b64 s[20:21], 0
.LBB3_456:                              ;   Parent Loop BB3_432 Depth=1
                                        ; =>  This Inner Loop Header: Depth=2
	s_add_u32 s24, s4, s20
	s_addc_u32 s25, s5, s21
	s_add_u32 s20, s20, 1
	global_load_ubyte v6, v7, s[24:25]
	s_addc_u32 s21, s21, 0
	s_waitcnt vmcnt(0)
	v_and_b32_e32 v6, 0xffff, v6
	v_lshlrev_b64 v[16:17], s18, v[6:7]
	s_add_u32 s18, s18, 8
	s_addc_u32 s19, s19, 0
	s_cmp_lg_u32 s22, s20
	v_or_b32_e32 v14, v16, v14
	v_or_b32_e32 v15, v17, v15
	s_cbranch_scc1 .LBB3_456
.LBB3_457:                              ;   in Loop: Header=BB3_432 Depth=1
	s_mov_b32 s23, 0
	s_cbranch_execz .LBB3_459
	s_branch .LBB3_460
.LBB3_458:                              ;   in Loop: Header=BB3_432 Depth=1
                                        ; implicit-def: $vgpr14_vgpr15
                                        ; implicit-def: $sgpr23
.LBB3_459:                              ;   in Loop: Header=BB3_432 Depth=1
	global_load_dwordx2 v[14:15], v7, s[4:5]
	s_add_i32 s23, s22, -8
	s_add_u32 s4, s4, 8
	s_addc_u32 s5, s5, 0
.LBB3_460:                              ;   in Loop: Header=BB3_432 Depth=1
	s_cmp_gt_u32 s23, 7
	s_cbranch_scc1 .LBB3_465
; %bb.461:                              ;   in Loop: Header=BB3_432 Depth=1
	v_mov_b32_e32 v16, 0
	v_mov_b32_e32 v17, 0
	s_cmp_eq_u32 s23, 0
	s_cbranch_scc1 .LBB3_464
; %bb.462:                              ;   in Loop: Header=BB3_432 Depth=1
	s_mov_b64 s[18:19], 0
	s_mov_b64 s[20:21], 0
.LBB3_463:                              ;   Parent Loop BB3_432 Depth=1
                                        ; =>  This Inner Loop Header: Depth=2
	s_add_u32 s24, s4, s20
	s_addc_u32 s25, s5, s21
	s_add_u32 s20, s20, 1
	global_load_ubyte v6, v7, s[24:25]
	s_addc_u32 s21, s21, 0
	s_waitcnt vmcnt(0)
	v_and_b32_e32 v6, 0xffff, v6
	v_lshlrev_b64 v[18:19], s18, v[6:7]
	s_add_u32 s18, s18, 8
	s_addc_u32 s19, s19, 0
	s_cmp_lg_u32 s23, s20
	v_or_b32_e32 v16, v18, v16
	v_or_b32_e32 v17, v19, v17
	s_cbranch_scc1 .LBB3_463
.LBB3_464:                              ;   in Loop: Header=BB3_432 Depth=1
	s_mov_b32 s22, 0
	s_cbranch_execz .LBB3_466
	s_branch .LBB3_467
.LBB3_465:                              ;   in Loop: Header=BB3_432 Depth=1
                                        ; implicit-def: $sgpr22
.LBB3_466:                              ;   in Loop: Header=BB3_432 Depth=1
	global_load_dwordx2 v[16:17], v7, s[4:5]
	s_add_i32 s22, s23, -8
	s_add_u32 s4, s4, 8
	s_addc_u32 s5, s5, 0
.LBB3_467:                              ;   in Loop: Header=BB3_432 Depth=1
	s_cmp_gt_u32 s22, 7
	s_cbranch_scc1 .LBB3_472
; %bb.468:                              ;   in Loop: Header=BB3_432 Depth=1
	v_mov_b32_e32 v18, 0
	v_mov_b32_e32 v19, 0
	s_cmp_eq_u32 s22, 0
	s_cbranch_scc1 .LBB3_471
; %bb.469:                              ;   in Loop: Header=BB3_432 Depth=1
	s_mov_b64 s[18:19], 0
	s_mov_b64 s[20:21], 0
.LBB3_470:                              ;   Parent Loop BB3_432 Depth=1
                                        ; =>  This Inner Loop Header: Depth=2
	s_add_u32 s24, s4, s20
	s_addc_u32 s25, s5, s21
	s_add_u32 s20, s20, 1
	global_load_ubyte v6, v7, s[24:25]
	s_addc_u32 s21, s21, 0
	s_waitcnt vmcnt(0)
	v_and_b32_e32 v6, 0xffff, v6
	v_lshlrev_b64 v[20:21], s18, v[6:7]
	s_add_u32 s18, s18, 8
	s_addc_u32 s19, s19, 0
	s_cmp_lg_u32 s22, s20
	v_or_b32_e32 v18, v20, v18
	v_or_b32_e32 v19, v21, v19
	s_cbranch_scc1 .LBB3_470
.LBB3_471:                              ;   in Loop: Header=BB3_432 Depth=1
	s_mov_b32 s23, 0
	s_cbranch_execz .LBB3_473
	s_branch .LBB3_474
.LBB3_472:                              ;   in Loop: Header=BB3_432 Depth=1
                                        ; implicit-def: $vgpr18_vgpr19
                                        ; implicit-def: $sgpr23
.LBB3_473:                              ;   in Loop: Header=BB3_432 Depth=1
	global_load_dwordx2 v[18:19], v7, s[4:5]
	s_add_i32 s23, s22, -8
	s_add_u32 s4, s4, 8
	s_addc_u32 s5, s5, 0
.LBB3_474:                              ;   in Loop: Header=BB3_432 Depth=1
	s_cmp_gt_u32 s23, 7
	s_cbranch_scc1 .LBB3_479
; %bb.475:                              ;   in Loop: Header=BB3_432 Depth=1
	v_mov_b32_e32 v20, 0
	v_mov_b32_e32 v21, 0
	s_cmp_eq_u32 s23, 0
	s_cbranch_scc1 .LBB3_478
; %bb.476:                              ;   in Loop: Header=BB3_432 Depth=1
	s_mov_b64 s[18:19], 0
	s_mov_b64 s[20:21], s[4:5]
.LBB3_477:                              ;   Parent Loop BB3_432 Depth=1
                                        ; =>  This Inner Loop Header: Depth=2
	global_load_ubyte v6, v7, s[20:21]
	s_add_i32 s23, s23, -1
	s_waitcnt vmcnt(0)
	v_and_b32_e32 v6, 0xffff, v6
	v_lshlrev_b64 v[22:23], s18, v[6:7]
	s_add_u32 s18, s18, 8
	s_addc_u32 s19, s19, 0
	s_add_u32 s20, s20, 1
	s_addc_u32 s21, s21, 0
	s_cmp_lg_u32 s23, 0
	v_or_b32_e32 v20, v22, v20
	v_or_b32_e32 v21, v23, v21
	s_cbranch_scc1 .LBB3_477
.LBB3_478:                              ;   in Loop: Header=BB3_432 Depth=1
	s_cbranch_execz .LBB3_480
	s_branch .LBB3_481
.LBB3_479:                              ;   in Loop: Header=BB3_432 Depth=1
.LBB3_480:                              ;   in Loop: Header=BB3_432 Depth=1
	global_load_dwordx2 v[20:21], v7, s[4:5]
.LBB3_481:                              ;   in Loop: Header=BB3_432 Depth=1
	v_readfirstlane_b32 s4, v49
	v_mov_b32_e32 v26, 0
	v_mov_b32_e32 v27, 0
	v_cmp_eq_u32_e64 s4, s4, v49
	s_and_saveexec_b32 s5, s4
	s_cbranch_execz .LBB3_487
; %bb.482:                              ;   in Loop: Header=BB3_432 Depth=1
	global_load_dwordx2 v[24:25], v7, s[26:27] offset:24 glc dlc
	s_waitcnt vmcnt(0)
	buffer_gl1_inv
	buffer_gl0_inv
	s_clause 0x1
	global_load_dwordx2 v[22:23], v7, s[26:27] offset:40
	global_load_dwordx2 v[26:27], v7, s[26:27]
	s_mov_b32 s18, exec_lo
	s_waitcnt vmcnt(1)
	v_and_b32_e32 v6, v23, v25
	v_and_b32_e32 v22, v22, v24
	v_mul_lo_u32 v6, v6, 24
	v_mul_hi_u32 v23, v22, 24
	v_mul_lo_u32 v22, v22, 24
	v_add_nc_u32_e32 v6, v23, v6
	s_waitcnt vmcnt(0)
	v_add_co_u32 v22, vcc_lo, v26, v22
	v_add_co_ci_u32_e32 v23, vcc_lo, v27, v6, vcc_lo
	global_load_dwordx2 v[22:23], v[22:23], off glc dlc
	s_waitcnt vmcnt(0)
	global_atomic_cmpswap_x2 v[26:27], v7, v[22:25], s[26:27] offset:24 glc
	s_waitcnt vmcnt(0)
	buffer_gl1_inv
	buffer_gl0_inv
	v_cmpx_ne_u64_e64 v[26:27], v[24:25]
	s_cbranch_execz .LBB3_486
; %bb.483:                              ;   in Loop: Header=BB3_432 Depth=1
	s_mov_b32 s19, 0
	.p2align	6
.LBB3_484:                              ;   Parent Loop BB3_432 Depth=1
                                        ; =>  This Inner Loop Header: Depth=2
	s_sleep 1
	s_clause 0x1
	global_load_dwordx2 v[22:23], v7, s[26:27] offset:40
	global_load_dwordx2 v[29:30], v7, s[26:27]
	v_mov_b32_e32 v24, v26
	v_mov_b32_e32 v25, v27
	s_waitcnt vmcnt(1)
	v_and_b32_e32 v6, v22, v24
	v_and_b32_e32 v22, v23, v25
	s_waitcnt vmcnt(0)
	v_mad_u64_u32 v[26:27], null, v6, 24, v[29:30]
	v_mov_b32_e32 v6, v27
	v_mad_u64_u32 v[22:23], null, v22, 24, v[6:7]
	v_mov_b32_e32 v27, v22
	global_load_dwordx2 v[22:23], v[26:27], off glc dlc
	s_waitcnt vmcnt(0)
	global_atomic_cmpswap_x2 v[26:27], v7, v[22:25], s[26:27] offset:24 glc
	s_waitcnt vmcnt(0)
	buffer_gl1_inv
	buffer_gl0_inv
	v_cmp_eq_u64_e32 vcc_lo, v[26:27], v[24:25]
	s_or_b32 s19, vcc_lo, s19
	s_andn2_b32 exec_lo, exec_lo, s19
	s_cbranch_execnz .LBB3_484
; %bb.485:                              ;   in Loop: Header=BB3_432 Depth=1
	s_or_b32 exec_lo, exec_lo, s19
.LBB3_486:                              ;   in Loop: Header=BB3_432 Depth=1
	s_or_b32 exec_lo, exec_lo, s18
.LBB3_487:                              ;   in Loop: Header=BB3_432 Depth=1
	s_or_b32 exec_lo, exec_lo, s5
	s_clause 0x1
	global_load_dwordx2 v[29:30], v7, s[26:27] offset:40
	global_load_dwordx4 v[22:25], v7, s[26:27]
	v_readfirstlane_b32 s18, v26
	v_readfirstlane_b32 s19, v27
	s_mov_b32 s5, exec_lo
	s_waitcnt vmcnt(1)
	v_readfirstlane_b32 s20, v29
	v_readfirstlane_b32 s21, v30
	s_and_b64 s[20:21], s[18:19], s[20:21]
	s_mul_i32 s22, s21, 24
	s_mul_hi_u32 s23, s20, 24
	s_mul_i32 s24, s20, 24
	s_add_i32 s23, s23, s22
	s_waitcnt vmcnt(0)
	v_add_co_u32 v26, vcc_lo, v22, s24
	v_add_co_ci_u32_e32 v27, vcc_lo, s23, v23, vcc_lo
	s_and_saveexec_b32 s22, s4
	s_cbranch_execz .LBB3_489
; %bb.488:                              ;   in Loop: Header=BB3_432 Depth=1
	v_mov_b32_e32 v6, s5
	global_store_dwordx4 v[26:27], v[6:9], off offset:8
.LBB3_489:                              ;   in Loop: Header=BB3_432 Depth=1
	s_or_b32 exec_lo, exec_lo, s22
	s_lshl_b64 s[20:21], s[20:21], 12
	v_cmp_gt_u64_e64 vcc_lo, s[10:11], 56
	v_or_b32_e32 v29, v0, v28
	v_add_co_u32 v24, s5, v24, s20
	v_add_co_ci_u32_e64 v25, s5, s21, v25, s5
	s_lshl_b32 s5, s16, 2
	v_or_b32_e32 v6, 0, v1
	v_cndmask_b32_e32 v0, v29, v0, vcc_lo
	s_add_i32 s5, s5, 28
	v_readfirstlane_b32 s20, v24
	s_and_b32 s5, s5, 0x1e0
	v_cndmask_b32_e32 v1, v6, v1, vcc_lo
	v_readfirstlane_b32 s21, v25
	v_and_or_b32 v0, 0xffffff1f, v0, s5
	global_store_dwordx4 v48, v[0:3], s[20:21]
	global_store_dwordx4 v48, v[10:13], s[20:21] offset:16
	global_store_dwordx4 v48, v[14:17], s[20:21] offset:32
	global_store_dwordx4 v48, v[18:21], s[20:21] offset:48
	s_and_saveexec_b32 s5, s4
	s_cbranch_execz .LBB3_497
; %bb.490:                              ;   in Loop: Header=BB3_432 Depth=1
	s_clause 0x1
	global_load_dwordx2 v[14:15], v7, s[26:27] offset:32 glc dlc
	global_load_dwordx2 v[0:1], v7, s[26:27] offset:40
	v_mov_b32_e32 v12, s18
	v_mov_b32_e32 v13, s19
	s_waitcnt vmcnt(0)
	v_readfirstlane_b32 s20, v0
	v_readfirstlane_b32 s21, v1
	s_and_b64 s[20:21], s[20:21], s[18:19]
	s_mul_i32 s21, s21, 24
	s_mul_hi_u32 s22, s20, 24
	s_mul_i32 s20, s20, 24
	s_add_i32 s22, s22, s21
	v_add_co_u32 v10, vcc_lo, v22, s20
	v_add_co_ci_u32_e32 v11, vcc_lo, s22, v23, vcc_lo
	s_mov_b32 s20, exec_lo
	global_store_dwordx2 v[10:11], v[14:15], off
	s_waitcnt_vscnt null, 0x0
	global_atomic_cmpswap_x2 v[2:3], v7, v[12:15], s[26:27] offset:32 glc
	s_waitcnt vmcnt(0)
	v_cmpx_ne_u64_e64 v[2:3], v[14:15]
	s_cbranch_execz .LBB3_493
; %bb.491:                              ;   in Loop: Header=BB3_432 Depth=1
	s_mov_b32 s21, 0
.LBB3_492:                              ;   Parent Loop BB3_432 Depth=1
                                        ; =>  This Inner Loop Header: Depth=2
	v_mov_b32_e32 v0, s18
	v_mov_b32_e32 v1, s19
	s_sleep 1
	global_store_dwordx2 v[10:11], v[2:3], off
	s_waitcnt_vscnt null, 0x0
	global_atomic_cmpswap_x2 v[0:1], v7, v[0:3], s[26:27] offset:32 glc
	s_waitcnt vmcnt(0)
	v_cmp_eq_u64_e32 vcc_lo, v[0:1], v[2:3]
	v_mov_b32_e32 v3, v1
	v_mov_b32_e32 v2, v0
	s_or_b32 s21, vcc_lo, s21
	s_andn2_b32 exec_lo, exec_lo, s21
	s_cbranch_execnz .LBB3_492
.LBB3_493:                              ;   in Loop: Header=BB3_432 Depth=1
	s_or_b32 exec_lo, exec_lo, s20
	global_load_dwordx2 v[0:1], v7, s[26:27] offset:16
	s_mov_b32 s21, exec_lo
	s_mov_b32 s20, exec_lo
	v_mbcnt_lo_u32_b32 v2, s21, 0
	v_cmpx_eq_u32_e32 0, v2
	s_cbranch_execz .LBB3_495
; %bb.494:                              ;   in Loop: Header=BB3_432 Depth=1
	s_bcnt1_i32_b32 s21, s21
	v_mov_b32_e32 v6, s21
	s_waitcnt vmcnt(0)
	global_atomic_add_x2 v[0:1], v[6:7], off offset:8
.LBB3_495:                              ;   in Loop: Header=BB3_432 Depth=1
	s_or_b32 exec_lo, exec_lo, s20
	s_waitcnt vmcnt(0)
	global_load_dwordx2 v[2:3], v[0:1], off offset:16
	s_waitcnt vmcnt(0)
	v_cmp_eq_u64_e32 vcc_lo, 0, v[2:3]
	s_cbranch_vccnz .LBB3_497
; %bb.496:                              ;   in Loop: Header=BB3_432 Depth=1
	global_load_dword v6, v[0:1], off offset:24
	s_waitcnt vmcnt(0)
	v_and_b32_e32 v0, 0x7fffff, v6
	s_waitcnt_vscnt null, 0x0
	global_store_dwordx2 v[2:3], v[6:7], off
	v_readfirstlane_b32 m0, v0
	s_sendmsg sendmsg(MSG_INTERRUPT)
.LBB3_497:                              ;   in Loop: Header=BB3_432 Depth=1
	s_or_b32 exec_lo, exec_lo, s5
	v_add_co_u32 v0, vcc_lo, v24, v48
	v_add_co_ci_u32_e32 v1, vcc_lo, 0, v25, vcc_lo
	s_branch .LBB3_501
	.p2align	6
.LBB3_498:                              ;   in Loop: Header=BB3_501 Depth=2
	s_or_b32 exec_lo, exec_lo, s5
	v_readfirstlane_b32 s5, v2
	s_cmp_eq_u32 s5, 0
	s_cbranch_scc1 .LBB3_500
; %bb.499:                              ;   in Loop: Header=BB3_501 Depth=2
	s_sleep 1
	s_cbranch_execnz .LBB3_501
	s_branch .LBB3_503
	.p2align	6
.LBB3_500:                              ;   in Loop: Header=BB3_432 Depth=1
	s_branch .LBB3_503
.LBB3_501:                              ;   Parent Loop BB3_432 Depth=1
                                        ; =>  This Inner Loop Header: Depth=2
	v_mov_b32_e32 v2, 1
	s_and_saveexec_b32 s5, s4
	s_cbranch_execz .LBB3_498
; %bb.502:                              ;   in Loop: Header=BB3_501 Depth=2
	global_load_dword v2, v[26:27], off offset:20 glc dlc
	s_waitcnt vmcnt(0)
	buffer_gl1_inv
	buffer_gl0_inv
	v_and_b32_e32 v2, 1, v2
	s_branch .LBB3_498
.LBB3_503:                              ;   in Loop: Header=BB3_432 Depth=1
	global_load_dwordx4 v[0:3], v[0:1], off
	s_and_saveexec_b32 s5, s4
	s_cbranch_execz .LBB3_431
; %bb.504:                              ;   in Loop: Header=BB3_432 Depth=1
	s_clause 0x2
	global_load_dwordx2 v[2:3], v7, s[26:27] offset:40
	global_load_dwordx2 v[14:15], v7, s[26:27] offset:24 glc dlc
	global_load_dwordx2 v[12:13], v7, s[26:27]
	s_waitcnt vmcnt(2)
	v_add_co_u32 v6, vcc_lo, v2, 1
	v_add_co_ci_u32_e32 v16, vcc_lo, 0, v3, vcc_lo
	v_add_co_u32 v10, vcc_lo, v6, s18
	v_add_co_ci_u32_e32 v11, vcc_lo, s19, v16, vcc_lo
	v_cmp_eq_u64_e32 vcc_lo, 0, v[10:11]
	v_cndmask_b32_e32 v11, v11, v16, vcc_lo
	v_cndmask_b32_e32 v10, v10, v6, vcc_lo
	v_and_b32_e32 v3, v11, v3
	v_and_b32_e32 v2, v10, v2
	v_mul_lo_u32 v3, v3, 24
	v_mul_hi_u32 v6, v2, 24
	v_mul_lo_u32 v2, v2, 24
	v_add_nc_u32_e32 v3, v6, v3
	s_waitcnt vmcnt(0)
	v_add_co_u32 v2, vcc_lo, v12, v2
	v_mov_b32_e32 v12, v14
	v_add_co_ci_u32_e32 v3, vcc_lo, v13, v3, vcc_lo
	v_mov_b32_e32 v13, v15
	global_store_dwordx2 v[2:3], v[14:15], off
	s_waitcnt_vscnt null, 0x0
	global_atomic_cmpswap_x2 v[12:13], v7, v[10:13], s[26:27] offset:24 glc
	s_waitcnt vmcnt(0)
	v_cmp_ne_u64_e32 vcc_lo, v[12:13], v[14:15]
	s_and_b32 exec_lo, exec_lo, vcc_lo
	s_cbranch_execz .LBB3_431
; %bb.505:                              ;   in Loop: Header=BB3_432 Depth=1
	s_mov_b32 s4, 0
.LBB3_506:                              ;   Parent Loop BB3_432 Depth=1
                                        ; =>  This Inner Loop Header: Depth=2
	s_sleep 1
	global_store_dwordx2 v[2:3], v[12:13], off
	s_waitcnt_vscnt null, 0x0
	global_atomic_cmpswap_x2 v[14:15], v7, v[10:13], s[26:27] offset:24 glc
	s_waitcnt vmcnt(0)
	v_cmp_eq_u64_e32 vcc_lo, v[14:15], v[12:13]
	v_mov_b32_e32 v12, v14
	v_mov_b32_e32 v13, v15
	s_or_b32 s4, vcc_lo, s4
	s_andn2_b32 exec_lo, exec_lo, s4
	s_cbranch_execnz .LBB3_506
	s_branch .LBB3_431
.LBB3_507:
	s_branch .LBB3_536
.LBB3_508:
                                        ; implicit-def: $vgpr0_vgpr1
	s_cbranch_execz .LBB3_536
; %bb.509:
	v_readfirstlane_b32 s4, v49
	v_mov_b32_e32 v7, 0
	v_mov_b32_e32 v8, 0
	v_cmp_eq_u32_e64 s4, s4, v49
	s_and_saveexec_b32 s5, s4
	s_cbranch_execz .LBB3_515
; %bb.510:
	s_waitcnt vmcnt(0)
	v_mov_b32_e32 v0, 0
	s_mov_b32 s6, exec_lo
	global_load_dwordx2 v[9:10], v0, s[26:27] offset:24 glc dlc
	s_waitcnt vmcnt(0)
	buffer_gl1_inv
	buffer_gl0_inv
	s_clause 0x1
	global_load_dwordx2 v[1:2], v0, s[26:27] offset:40
	global_load_dwordx2 v[6:7], v0, s[26:27]
	s_waitcnt vmcnt(1)
	v_and_b32_e32 v2, v2, v10
	v_and_b32_e32 v1, v1, v9
	v_mul_lo_u32 v2, v2, 24
	v_mul_hi_u32 v3, v1, 24
	v_mul_lo_u32 v1, v1, 24
	v_add_nc_u32_e32 v2, v3, v2
	s_waitcnt vmcnt(0)
	v_add_co_u32 v1, vcc_lo, v6, v1
	v_add_co_ci_u32_e32 v2, vcc_lo, v7, v2, vcc_lo
	global_load_dwordx2 v[7:8], v[1:2], off glc dlc
	s_waitcnt vmcnt(0)
	global_atomic_cmpswap_x2 v[7:8], v0, v[7:10], s[26:27] offset:24 glc
	s_waitcnt vmcnt(0)
	buffer_gl1_inv
	buffer_gl0_inv
	v_cmpx_ne_u64_e64 v[7:8], v[9:10]
	s_cbranch_execz .LBB3_514
; %bb.511:
	s_mov_b32 s7, 0
	.p2align	6
.LBB3_512:                              ; =>This Inner Loop Header: Depth=1
	s_sleep 1
	s_clause 0x1
	global_load_dwordx2 v[1:2], v0, s[26:27] offset:40
	global_load_dwordx2 v[11:12], v0, s[26:27]
	v_mov_b32_e32 v10, v8
	v_mov_b32_e32 v9, v7
	s_waitcnt vmcnt(1)
	v_and_b32_e32 v1, v1, v9
	v_and_b32_e32 v2, v2, v10
	s_waitcnt vmcnt(0)
	v_mad_u64_u32 v[6:7], null, v1, 24, v[11:12]
	v_mov_b32_e32 v1, v7
	v_mad_u64_u32 v[1:2], null, v2, 24, v[1:2]
	v_mov_b32_e32 v7, v1
	global_load_dwordx2 v[7:8], v[6:7], off glc dlc
	s_waitcnt vmcnt(0)
	global_atomic_cmpswap_x2 v[7:8], v0, v[7:10], s[26:27] offset:24 glc
	s_waitcnt vmcnt(0)
	buffer_gl1_inv
	buffer_gl0_inv
	v_cmp_eq_u64_e32 vcc_lo, v[7:8], v[9:10]
	s_or_b32 s7, vcc_lo, s7
	s_andn2_b32 exec_lo, exec_lo, s7
	s_cbranch_execnz .LBB3_512
; %bb.513:
	s_or_b32 exec_lo, exec_lo, s7
.LBB3_514:
	s_or_b32 exec_lo, exec_lo, s6
.LBB3_515:
	s_or_b32 exec_lo, exec_lo, s5
	v_mov_b32_e32 v6, 0
	v_readfirstlane_b32 s6, v7
	v_readfirstlane_b32 s7, v8
	s_mov_b32 s5, exec_lo
	s_clause 0x1
	global_load_dwordx2 v[9:10], v6, s[26:27] offset:40
	global_load_dwordx4 v[0:3], v6, s[26:27]
	s_waitcnt vmcnt(1)
	v_readfirstlane_b32 s10, v9
	v_readfirstlane_b32 s11, v10
	s_and_b64 s[10:11], s[6:7], s[10:11]
	s_mul_i32 s16, s11, 24
	s_mul_hi_u32 s17, s10, 24
	s_mul_i32 s18, s10, 24
	s_add_i32 s17, s17, s16
	s_waitcnt vmcnt(0)
	v_add_co_u32 v8, vcc_lo, v0, s18
	v_add_co_ci_u32_e32 v9, vcc_lo, s17, v1, vcc_lo
	s_and_saveexec_b32 s16, s4
	s_cbranch_execz .LBB3_517
; %bb.516:
	v_mov_b32_e32 v10, s5
	v_mov_b32_e32 v11, v6
	;; [unrolled: 1-line block ×4, first 2 shown]
	global_store_dwordx4 v[8:9], v[10:13], off offset:8
.LBB3_517:
	s_or_b32 exec_lo, exec_lo, s16
	s_lshl_b64 s[10:11], s[10:11], 12
	s_mov_b32 s16, 0
	v_add_co_u32 v2, vcc_lo, v2, s10
	v_add_co_ci_u32_e32 v3, vcc_lo, s11, v3, vcc_lo
	s_mov_b32 s17, s16
	v_add_co_u32 v10, vcc_lo, v2, v48
	s_mov_b32 s18, s16
	s_mov_b32 s19, s16
	v_and_or_b32 v4, 0xffffff1f, v4, 32
	v_mov_b32_e32 v7, v6
	v_readfirstlane_b32 s10, v2
	v_readfirstlane_b32 s11, v3
	v_mov_b32_e32 v12, s16
	v_add_co_ci_u32_e32 v11, vcc_lo, 0, v3, vcc_lo
	v_mov_b32_e32 v13, s17
	v_mov_b32_e32 v14, s18
	;; [unrolled: 1-line block ×3, first 2 shown]
	global_store_dwordx4 v48, v[4:7], s[10:11]
	global_store_dwordx4 v48, v[12:15], s[10:11] offset:16
	global_store_dwordx4 v48, v[12:15], s[10:11] offset:32
	;; [unrolled: 1-line block ×3, first 2 shown]
	s_and_saveexec_b32 s5, s4
	s_cbranch_execz .LBB3_525
; %bb.518:
	v_mov_b32_e32 v6, 0
	v_mov_b32_e32 v12, s6
	;; [unrolled: 1-line block ×3, first 2 shown]
	s_clause 0x1
	global_load_dwordx2 v[14:15], v6, s[26:27] offset:32 glc dlc
	global_load_dwordx2 v[2:3], v6, s[26:27] offset:40
	s_waitcnt vmcnt(0)
	v_readfirstlane_b32 s10, v2
	v_readfirstlane_b32 s11, v3
	s_and_b64 s[10:11], s[10:11], s[6:7]
	s_mul_i32 s11, s11, 24
	s_mul_hi_u32 s16, s10, 24
	s_mul_i32 s10, s10, 24
	s_add_i32 s16, s16, s11
	v_add_co_u32 v4, vcc_lo, v0, s10
	v_add_co_ci_u32_e32 v5, vcc_lo, s16, v1, vcc_lo
	s_mov_b32 s10, exec_lo
	global_store_dwordx2 v[4:5], v[14:15], off
	s_waitcnt_vscnt null, 0x0
	global_atomic_cmpswap_x2 v[2:3], v6, v[12:15], s[26:27] offset:32 glc
	s_waitcnt vmcnt(0)
	v_cmpx_ne_u64_e64 v[2:3], v[14:15]
	s_cbranch_execz .LBB3_521
; %bb.519:
	s_mov_b32 s11, 0
.LBB3_520:                              ; =>This Inner Loop Header: Depth=1
	v_mov_b32_e32 v0, s6
	v_mov_b32_e32 v1, s7
	s_sleep 1
	global_store_dwordx2 v[4:5], v[2:3], off
	s_waitcnt_vscnt null, 0x0
	global_atomic_cmpswap_x2 v[0:1], v6, v[0:3], s[26:27] offset:32 glc
	s_waitcnt vmcnt(0)
	v_cmp_eq_u64_e32 vcc_lo, v[0:1], v[2:3]
	v_mov_b32_e32 v3, v1
	v_mov_b32_e32 v2, v0
	s_or_b32 s11, vcc_lo, s11
	s_andn2_b32 exec_lo, exec_lo, s11
	s_cbranch_execnz .LBB3_520
.LBB3_521:
	s_or_b32 exec_lo, exec_lo, s10
	v_mov_b32_e32 v3, 0
	s_mov_b32 s11, exec_lo
	s_mov_b32 s10, exec_lo
	v_mbcnt_lo_u32_b32 v2, s11, 0
	global_load_dwordx2 v[0:1], v3, s[26:27] offset:16
	v_cmpx_eq_u32_e32 0, v2
	s_cbranch_execz .LBB3_523
; %bb.522:
	s_bcnt1_i32_b32 s11, s11
	v_mov_b32_e32 v2, s11
	s_waitcnt vmcnt(0)
	global_atomic_add_x2 v[0:1], v[2:3], off offset:8
.LBB3_523:
	s_or_b32 exec_lo, exec_lo, s10
	s_waitcnt vmcnt(0)
	global_load_dwordx2 v[2:3], v[0:1], off offset:16
	s_waitcnt vmcnt(0)
	v_cmp_eq_u64_e32 vcc_lo, 0, v[2:3]
	s_cbranch_vccnz .LBB3_525
; %bb.524:
	global_load_dword v0, v[0:1], off offset:24
	v_mov_b32_e32 v1, 0
	s_waitcnt vmcnt(0)
	v_and_b32_e32 v4, 0x7fffff, v0
	s_waitcnt_vscnt null, 0x0
	global_store_dwordx2 v[2:3], v[0:1], off
	v_readfirstlane_b32 m0, v4
	s_sendmsg sendmsg(MSG_INTERRUPT)
.LBB3_525:
	s_or_b32 exec_lo, exec_lo, s5
	s_branch .LBB3_529
	.p2align	6
.LBB3_526:                              ;   in Loop: Header=BB3_529 Depth=1
	s_or_b32 exec_lo, exec_lo, s5
	v_readfirstlane_b32 s5, v0
	s_cmp_eq_u32 s5, 0
	s_cbranch_scc1 .LBB3_528
; %bb.527:                              ;   in Loop: Header=BB3_529 Depth=1
	s_sleep 1
	s_cbranch_execnz .LBB3_529
	s_branch .LBB3_531
	.p2align	6
.LBB3_528:
	s_branch .LBB3_531
.LBB3_529:                              ; =>This Inner Loop Header: Depth=1
	v_mov_b32_e32 v0, 1
	s_and_saveexec_b32 s5, s4
	s_cbranch_execz .LBB3_526
; %bb.530:                              ;   in Loop: Header=BB3_529 Depth=1
	global_load_dword v0, v[8:9], off offset:20 glc dlc
	s_waitcnt vmcnt(0)
	buffer_gl1_inv
	buffer_gl0_inv
	v_and_b32_e32 v0, 1, v0
	s_branch .LBB3_526
.LBB3_531:
	global_load_dwordx2 v[0:1], v[10:11], off
	s_and_saveexec_b32 s5, s4
	s_cbranch_execz .LBB3_535
; %bb.532:
	v_mov_b32_e32 v8, 0
	s_clause 0x2
	global_load_dwordx2 v[4:5], v8, s[26:27] offset:40
	global_load_dwordx2 v[9:10], v8, s[26:27] offset:24 glc dlc
	global_load_dwordx2 v[6:7], v8, s[26:27]
	s_waitcnt vmcnt(2)
	v_add_co_u32 v11, vcc_lo, v4, 1
	v_add_co_ci_u32_e32 v12, vcc_lo, 0, v5, vcc_lo
	v_add_co_u32 v2, vcc_lo, v11, s6
	v_add_co_ci_u32_e32 v3, vcc_lo, s7, v12, vcc_lo
	v_cmp_eq_u64_e32 vcc_lo, 0, v[2:3]
	v_cndmask_b32_e32 v3, v3, v12, vcc_lo
	v_cndmask_b32_e32 v2, v2, v11, vcc_lo
	v_and_b32_e32 v5, v3, v5
	v_and_b32_e32 v4, v2, v4
	v_mul_lo_u32 v5, v5, 24
	v_mul_hi_u32 v11, v4, 24
	v_mul_lo_u32 v4, v4, 24
	v_add_nc_u32_e32 v5, v11, v5
	s_waitcnt vmcnt(0)
	v_add_co_u32 v6, vcc_lo, v6, v4
	v_mov_b32_e32 v4, v9
	v_add_co_ci_u32_e32 v7, vcc_lo, v7, v5, vcc_lo
	v_mov_b32_e32 v5, v10
	global_store_dwordx2 v[6:7], v[9:10], off
	s_waitcnt_vscnt null, 0x0
	global_atomic_cmpswap_x2 v[4:5], v8, v[2:5], s[26:27] offset:24 glc
	s_waitcnt vmcnt(0)
	v_cmp_ne_u64_e32 vcc_lo, v[4:5], v[9:10]
	s_and_b32 exec_lo, exec_lo, vcc_lo
	s_cbranch_execz .LBB3_535
; %bb.533:
	s_mov_b32 s4, 0
.LBB3_534:                              ; =>This Inner Loop Header: Depth=1
	s_sleep 1
	global_store_dwordx2 v[6:7], v[4:5], off
	s_waitcnt_vscnt null, 0x0
	global_atomic_cmpswap_x2 v[9:10], v8, v[2:5], s[26:27] offset:24 glc
	s_waitcnt vmcnt(0)
	v_cmp_eq_u64_e32 vcc_lo, v[9:10], v[4:5]
	v_mov_b32_e32 v4, v9
	v_mov_b32_e32 v5, v10
	s_or_b32 s4, vcc_lo, s4
	s_andn2_b32 exec_lo, exec_lo, s4
	s_cbranch_execnz .LBB3_534
.LBB3_535:
	s_or_b32 exec_lo, exec_lo, s5
.LBB3_536:
	s_getpc_b64 s[6:7]
	s_add_u32 s6, s6, .str.1@rel32@lo+4
	s_addc_u32 s7, s7, .str.1@rel32@hi+12
	s_cmp_lg_u64 s[6:7], 0
	s_cbranch_scc0 .LBB3_615
; %bb.537:
	s_waitcnt vmcnt(0)
	v_and_b32_e32 v6, -3, v0
	v_mov_b32_e32 v7, v1
	v_mov_b32_e32 v3, 0
	v_mov_b32_e32 v4, 2
	v_mov_b32_e32 v5, 1
	s_mov_b64 s[10:11], 0x53
	s_branch .LBB3_539
.LBB3_538:                              ;   in Loop: Header=BB3_539 Depth=1
	s_or_b32 exec_lo, exec_lo, s5
	s_sub_u32 s10, s10, s16
	s_subb_u32 s11, s11, s17
	s_add_u32 s6, s6, s16
	s_addc_u32 s7, s7, s17
	s_cmp_lg_u64 s[10:11], 0
	s_cbranch_scc0 .LBB3_614
.LBB3_539:                              ; =>This Loop Header: Depth=1
                                        ;     Child Loop BB3_548 Depth 2
                                        ;     Child Loop BB3_544 Depth 2
	;; [unrolled: 1-line block ×11, first 2 shown]
	v_cmp_lt_u64_e64 s4, s[10:11], 56
	v_cmp_gt_u64_e64 s5, s[10:11], 7
                                        ; implicit-def: $sgpr22
	s_and_b32 s4, s4, exec_lo
	s_cselect_b32 s17, s11, 0
	s_cselect_b32 s16, s10, 56
	s_and_b32 vcc_lo, exec_lo, s5
	s_mov_b32 s4, -1
	s_cbranch_vccz .LBB3_546
; %bb.540:                              ;   in Loop: Header=BB3_539 Depth=1
	s_andn2_b32 vcc_lo, exec_lo, s4
	s_mov_b64 s[4:5], s[6:7]
	s_cbranch_vccz .LBB3_550
.LBB3_541:                              ;   in Loop: Header=BB3_539 Depth=1
	s_cmp_gt_u32 s22, 7
	s_cbranch_scc1 .LBB3_551
.LBB3_542:                              ;   in Loop: Header=BB3_539 Depth=1
	v_mov_b32_e32 v10, 0
	v_mov_b32_e32 v11, 0
	s_cmp_eq_u32 s22, 0
	s_cbranch_scc1 .LBB3_545
; %bb.543:                              ;   in Loop: Header=BB3_539 Depth=1
	s_mov_b64 s[18:19], 0
	s_mov_b64 s[20:21], 0
.LBB3_544:                              ;   Parent Loop BB3_539 Depth=1
                                        ; =>  This Inner Loop Header: Depth=2
	s_add_u32 s24, s4, s20
	s_addc_u32 s25, s5, s21
	s_add_u32 s20, s20, 1
	global_load_ubyte v2, v3, s[24:25]
	s_addc_u32 s21, s21, 0
	s_waitcnt vmcnt(0)
	v_and_b32_e32 v2, 0xffff, v2
	v_lshlrev_b64 v[12:13], s18, v[2:3]
	s_add_u32 s18, s18, 8
	s_addc_u32 s19, s19, 0
	s_cmp_lg_u32 s22, s20
	v_or_b32_e32 v10, v12, v10
	v_or_b32_e32 v11, v13, v11
	s_cbranch_scc1 .LBB3_544
.LBB3_545:                              ;   in Loop: Header=BB3_539 Depth=1
	s_mov_b32 s23, 0
	s_cbranch_execz .LBB3_552
	s_branch .LBB3_553
.LBB3_546:                              ;   in Loop: Header=BB3_539 Depth=1
	s_waitcnt vmcnt(0)
	v_mov_b32_e32 v8, 0
	v_mov_b32_e32 v9, 0
	s_cmp_eq_u64 s[10:11], 0
	s_mov_b64 s[4:5], 0
	s_cbranch_scc1 .LBB3_549
; %bb.547:                              ;   in Loop: Header=BB3_539 Depth=1
	v_mov_b32_e32 v8, 0
	v_mov_b32_e32 v9, 0
	s_lshl_b64 s[18:19], s[16:17], 3
	s_mov_b64 s[20:21], s[6:7]
.LBB3_548:                              ;   Parent Loop BB3_539 Depth=1
                                        ; =>  This Inner Loop Header: Depth=2
	global_load_ubyte v2, v3, s[20:21]
	s_waitcnt vmcnt(0)
	v_and_b32_e32 v2, 0xffff, v2
	v_lshlrev_b64 v[10:11], s4, v[2:3]
	s_add_u32 s4, s4, 8
	s_addc_u32 s5, s5, 0
	s_add_u32 s20, s20, 1
	s_addc_u32 s21, s21, 0
	s_cmp_lg_u32 s18, s4
	v_or_b32_e32 v8, v10, v8
	v_or_b32_e32 v9, v11, v9
	s_cbranch_scc1 .LBB3_548
.LBB3_549:                              ;   in Loop: Header=BB3_539 Depth=1
	s_mov_b32 s22, 0
	s_mov_b64 s[4:5], s[6:7]
	s_cbranch_execnz .LBB3_541
.LBB3_550:                              ;   in Loop: Header=BB3_539 Depth=1
	global_load_dwordx2 v[8:9], v3, s[6:7]
	s_add_i32 s22, s16, -8
	s_add_u32 s4, s6, 8
	s_addc_u32 s5, s7, 0
	s_cmp_gt_u32 s22, 7
	s_cbranch_scc0 .LBB3_542
.LBB3_551:                              ;   in Loop: Header=BB3_539 Depth=1
                                        ; implicit-def: $vgpr10_vgpr11
                                        ; implicit-def: $sgpr23
.LBB3_552:                              ;   in Loop: Header=BB3_539 Depth=1
	global_load_dwordx2 v[10:11], v3, s[4:5]
	s_add_i32 s23, s22, -8
	s_add_u32 s4, s4, 8
	s_addc_u32 s5, s5, 0
.LBB3_553:                              ;   in Loop: Header=BB3_539 Depth=1
	s_cmp_gt_u32 s23, 7
	s_cbranch_scc1 .LBB3_558
; %bb.554:                              ;   in Loop: Header=BB3_539 Depth=1
	v_mov_b32_e32 v12, 0
	v_mov_b32_e32 v13, 0
	s_cmp_eq_u32 s23, 0
	s_cbranch_scc1 .LBB3_557
; %bb.555:                              ;   in Loop: Header=BB3_539 Depth=1
	s_mov_b64 s[18:19], 0
	s_mov_b64 s[20:21], 0
.LBB3_556:                              ;   Parent Loop BB3_539 Depth=1
                                        ; =>  This Inner Loop Header: Depth=2
	s_add_u32 s24, s4, s20
	s_addc_u32 s25, s5, s21
	s_add_u32 s20, s20, 1
	global_load_ubyte v2, v3, s[24:25]
	s_addc_u32 s21, s21, 0
	s_waitcnt vmcnt(0)
	v_and_b32_e32 v2, 0xffff, v2
	v_lshlrev_b64 v[14:15], s18, v[2:3]
	s_add_u32 s18, s18, 8
	s_addc_u32 s19, s19, 0
	s_cmp_lg_u32 s23, s20
	v_or_b32_e32 v12, v14, v12
	v_or_b32_e32 v13, v15, v13
	s_cbranch_scc1 .LBB3_556
.LBB3_557:                              ;   in Loop: Header=BB3_539 Depth=1
	s_mov_b32 s22, 0
	s_cbranch_execz .LBB3_559
	s_branch .LBB3_560
.LBB3_558:                              ;   in Loop: Header=BB3_539 Depth=1
                                        ; implicit-def: $sgpr22
.LBB3_559:                              ;   in Loop: Header=BB3_539 Depth=1
	global_load_dwordx2 v[12:13], v3, s[4:5]
	s_add_i32 s22, s23, -8
	s_add_u32 s4, s4, 8
	s_addc_u32 s5, s5, 0
.LBB3_560:                              ;   in Loop: Header=BB3_539 Depth=1
	s_cmp_gt_u32 s22, 7
	s_cbranch_scc1 .LBB3_565
; %bb.561:                              ;   in Loop: Header=BB3_539 Depth=1
	v_mov_b32_e32 v14, 0
	v_mov_b32_e32 v15, 0
	s_cmp_eq_u32 s22, 0
	s_cbranch_scc1 .LBB3_564
; %bb.562:                              ;   in Loop: Header=BB3_539 Depth=1
	s_mov_b64 s[18:19], 0
	s_mov_b64 s[20:21], 0
.LBB3_563:                              ;   Parent Loop BB3_539 Depth=1
                                        ; =>  This Inner Loop Header: Depth=2
	s_add_u32 s24, s4, s20
	s_addc_u32 s25, s5, s21
	s_add_u32 s20, s20, 1
	global_load_ubyte v2, v3, s[24:25]
	s_addc_u32 s21, s21, 0
	s_waitcnt vmcnt(0)
	v_and_b32_e32 v2, 0xffff, v2
	v_lshlrev_b64 v[16:17], s18, v[2:3]
	s_add_u32 s18, s18, 8
	s_addc_u32 s19, s19, 0
	s_cmp_lg_u32 s22, s20
	v_or_b32_e32 v14, v16, v14
	v_or_b32_e32 v15, v17, v15
	s_cbranch_scc1 .LBB3_563
.LBB3_564:                              ;   in Loop: Header=BB3_539 Depth=1
	s_mov_b32 s23, 0
	s_cbranch_execz .LBB3_566
	s_branch .LBB3_567
.LBB3_565:                              ;   in Loop: Header=BB3_539 Depth=1
                                        ; implicit-def: $vgpr14_vgpr15
                                        ; implicit-def: $sgpr23
.LBB3_566:                              ;   in Loop: Header=BB3_539 Depth=1
	global_load_dwordx2 v[14:15], v3, s[4:5]
	s_add_i32 s23, s22, -8
	s_add_u32 s4, s4, 8
	s_addc_u32 s5, s5, 0
.LBB3_567:                              ;   in Loop: Header=BB3_539 Depth=1
	s_cmp_gt_u32 s23, 7
	s_cbranch_scc1 .LBB3_572
; %bb.568:                              ;   in Loop: Header=BB3_539 Depth=1
	v_mov_b32_e32 v16, 0
	v_mov_b32_e32 v17, 0
	s_cmp_eq_u32 s23, 0
	s_cbranch_scc1 .LBB3_571
; %bb.569:                              ;   in Loop: Header=BB3_539 Depth=1
	s_mov_b64 s[18:19], 0
	s_mov_b64 s[20:21], 0
.LBB3_570:                              ;   Parent Loop BB3_539 Depth=1
                                        ; =>  This Inner Loop Header: Depth=2
	s_add_u32 s24, s4, s20
	s_addc_u32 s25, s5, s21
	s_add_u32 s20, s20, 1
	global_load_ubyte v2, v3, s[24:25]
	s_addc_u32 s21, s21, 0
	s_waitcnt vmcnt(0)
	v_and_b32_e32 v2, 0xffff, v2
	v_lshlrev_b64 v[18:19], s18, v[2:3]
	s_add_u32 s18, s18, 8
	s_addc_u32 s19, s19, 0
	s_cmp_lg_u32 s23, s20
	v_or_b32_e32 v16, v18, v16
	v_or_b32_e32 v17, v19, v17
	s_cbranch_scc1 .LBB3_570
.LBB3_571:                              ;   in Loop: Header=BB3_539 Depth=1
	s_mov_b32 s22, 0
	s_cbranch_execz .LBB3_573
	s_branch .LBB3_574
.LBB3_572:                              ;   in Loop: Header=BB3_539 Depth=1
                                        ; implicit-def: $sgpr22
.LBB3_573:                              ;   in Loop: Header=BB3_539 Depth=1
	global_load_dwordx2 v[16:17], v3, s[4:5]
	s_add_i32 s22, s23, -8
	s_add_u32 s4, s4, 8
	s_addc_u32 s5, s5, 0
.LBB3_574:                              ;   in Loop: Header=BB3_539 Depth=1
	s_cmp_gt_u32 s22, 7
	s_cbranch_scc1 .LBB3_579
; %bb.575:                              ;   in Loop: Header=BB3_539 Depth=1
	v_mov_b32_e32 v18, 0
	v_mov_b32_e32 v19, 0
	s_cmp_eq_u32 s22, 0
	s_cbranch_scc1 .LBB3_578
; %bb.576:                              ;   in Loop: Header=BB3_539 Depth=1
	s_mov_b64 s[18:19], 0
	s_mov_b64 s[20:21], 0
.LBB3_577:                              ;   Parent Loop BB3_539 Depth=1
                                        ; =>  This Inner Loop Header: Depth=2
	s_add_u32 s24, s4, s20
	s_addc_u32 s25, s5, s21
	s_add_u32 s20, s20, 1
	global_load_ubyte v2, v3, s[24:25]
	s_addc_u32 s21, s21, 0
	s_waitcnt vmcnt(0)
	v_and_b32_e32 v2, 0xffff, v2
	v_lshlrev_b64 v[20:21], s18, v[2:3]
	s_add_u32 s18, s18, 8
	s_addc_u32 s19, s19, 0
	s_cmp_lg_u32 s22, s20
	v_or_b32_e32 v18, v20, v18
	v_or_b32_e32 v19, v21, v19
	s_cbranch_scc1 .LBB3_577
.LBB3_578:                              ;   in Loop: Header=BB3_539 Depth=1
	s_mov_b32 s23, 0
	s_cbranch_execz .LBB3_580
	s_branch .LBB3_581
.LBB3_579:                              ;   in Loop: Header=BB3_539 Depth=1
                                        ; implicit-def: $vgpr18_vgpr19
                                        ; implicit-def: $sgpr23
.LBB3_580:                              ;   in Loop: Header=BB3_539 Depth=1
	global_load_dwordx2 v[18:19], v3, s[4:5]
	s_add_i32 s23, s22, -8
	s_add_u32 s4, s4, 8
	s_addc_u32 s5, s5, 0
.LBB3_581:                              ;   in Loop: Header=BB3_539 Depth=1
	s_cmp_gt_u32 s23, 7
	s_cbranch_scc1 .LBB3_586
; %bb.582:                              ;   in Loop: Header=BB3_539 Depth=1
	v_mov_b32_e32 v20, 0
	v_mov_b32_e32 v21, 0
	s_cmp_eq_u32 s23, 0
	s_cbranch_scc1 .LBB3_585
; %bb.583:                              ;   in Loop: Header=BB3_539 Depth=1
	s_mov_b64 s[18:19], 0
	s_mov_b64 s[20:21], s[4:5]
.LBB3_584:                              ;   Parent Loop BB3_539 Depth=1
                                        ; =>  This Inner Loop Header: Depth=2
	global_load_ubyte v2, v3, s[20:21]
	s_add_i32 s23, s23, -1
	s_waitcnt vmcnt(0)
	v_and_b32_e32 v2, 0xffff, v2
	v_lshlrev_b64 v[22:23], s18, v[2:3]
	s_add_u32 s18, s18, 8
	s_addc_u32 s19, s19, 0
	s_add_u32 s20, s20, 1
	s_addc_u32 s21, s21, 0
	s_cmp_lg_u32 s23, 0
	v_or_b32_e32 v20, v22, v20
	v_or_b32_e32 v21, v23, v21
	s_cbranch_scc1 .LBB3_584
.LBB3_585:                              ;   in Loop: Header=BB3_539 Depth=1
	s_cbranch_execz .LBB3_587
	s_branch .LBB3_588
.LBB3_586:                              ;   in Loop: Header=BB3_539 Depth=1
.LBB3_587:                              ;   in Loop: Header=BB3_539 Depth=1
	global_load_dwordx2 v[20:21], v3, s[4:5]
.LBB3_588:                              ;   in Loop: Header=BB3_539 Depth=1
	v_readfirstlane_b32 s4, v49
	v_mov_b32_e32 v26, 0
	v_mov_b32_e32 v27, 0
	v_cmp_eq_u32_e64 s4, s4, v49
	s_and_saveexec_b32 s5, s4
	s_cbranch_execz .LBB3_594
; %bb.589:                              ;   in Loop: Header=BB3_539 Depth=1
	global_load_dwordx2 v[24:25], v3, s[26:27] offset:24 glc dlc
	s_waitcnt vmcnt(0)
	buffer_gl1_inv
	buffer_gl0_inv
	s_clause 0x1
	global_load_dwordx2 v[22:23], v3, s[26:27] offset:40
	global_load_dwordx2 v[26:27], v3, s[26:27]
	s_mov_b32 s18, exec_lo
	s_waitcnt vmcnt(1)
	v_and_b32_e32 v2, v23, v25
	v_and_b32_e32 v22, v22, v24
	v_mul_lo_u32 v2, v2, 24
	v_mul_hi_u32 v23, v22, 24
	v_mul_lo_u32 v22, v22, 24
	v_add_nc_u32_e32 v2, v23, v2
	s_waitcnt vmcnt(0)
	v_add_co_u32 v22, vcc_lo, v26, v22
	v_add_co_ci_u32_e32 v23, vcc_lo, v27, v2, vcc_lo
	global_load_dwordx2 v[22:23], v[22:23], off glc dlc
	s_waitcnt vmcnt(0)
	global_atomic_cmpswap_x2 v[26:27], v3, v[22:25], s[26:27] offset:24 glc
	s_waitcnt vmcnt(0)
	buffer_gl1_inv
	buffer_gl0_inv
	v_cmpx_ne_u64_e64 v[26:27], v[24:25]
	s_cbranch_execz .LBB3_593
; %bb.590:                              ;   in Loop: Header=BB3_539 Depth=1
	s_mov_b32 s19, 0
	.p2align	6
.LBB3_591:                              ;   Parent Loop BB3_539 Depth=1
                                        ; =>  This Inner Loop Header: Depth=2
	s_sleep 1
	s_clause 0x1
	global_load_dwordx2 v[22:23], v3, s[26:27] offset:40
	global_load_dwordx2 v[28:29], v3, s[26:27]
	v_mov_b32_e32 v24, v26
	v_mov_b32_e32 v25, v27
	s_waitcnt vmcnt(1)
	v_and_b32_e32 v2, v22, v24
	v_and_b32_e32 v22, v23, v25
	s_waitcnt vmcnt(0)
	v_mad_u64_u32 v[26:27], null, v2, 24, v[28:29]
	v_mov_b32_e32 v2, v27
	v_mad_u64_u32 v[22:23], null, v22, 24, v[2:3]
	v_mov_b32_e32 v27, v22
	global_load_dwordx2 v[22:23], v[26:27], off glc dlc
	s_waitcnt vmcnt(0)
	global_atomic_cmpswap_x2 v[26:27], v3, v[22:25], s[26:27] offset:24 glc
	s_waitcnt vmcnt(0)
	buffer_gl1_inv
	buffer_gl0_inv
	v_cmp_eq_u64_e32 vcc_lo, v[26:27], v[24:25]
	s_or_b32 s19, vcc_lo, s19
	s_andn2_b32 exec_lo, exec_lo, s19
	s_cbranch_execnz .LBB3_591
; %bb.592:                              ;   in Loop: Header=BB3_539 Depth=1
	s_or_b32 exec_lo, exec_lo, s19
.LBB3_593:                              ;   in Loop: Header=BB3_539 Depth=1
	s_or_b32 exec_lo, exec_lo, s18
.LBB3_594:                              ;   in Loop: Header=BB3_539 Depth=1
	s_or_b32 exec_lo, exec_lo, s5
	s_clause 0x1
	global_load_dwordx2 v[28:29], v3, s[26:27] offset:40
	global_load_dwordx4 v[22:25], v3, s[26:27]
	v_readfirstlane_b32 s18, v26
	v_readfirstlane_b32 s19, v27
	s_mov_b32 s5, exec_lo
	s_waitcnt vmcnt(1)
	v_readfirstlane_b32 s20, v28
	v_readfirstlane_b32 s21, v29
	s_and_b64 s[20:21], s[18:19], s[20:21]
	s_mul_i32 s22, s21, 24
	s_mul_hi_u32 s23, s20, 24
	s_mul_i32 s24, s20, 24
	s_add_i32 s23, s23, s22
	s_waitcnt vmcnt(0)
	v_add_co_u32 v26, vcc_lo, v22, s24
	v_add_co_ci_u32_e32 v27, vcc_lo, s23, v23, vcc_lo
	s_and_saveexec_b32 s22, s4
	s_cbranch_execz .LBB3_596
; %bb.595:                              ;   in Loop: Header=BB3_539 Depth=1
	v_mov_b32_e32 v2, s5
	global_store_dwordx4 v[26:27], v[2:5], off offset:8
.LBB3_596:                              ;   in Loop: Header=BB3_539 Depth=1
	s_or_b32 exec_lo, exec_lo, s22
	s_lshl_b64 s[20:21], s[20:21], 12
	v_or_b32_e32 v2, 2, v6
	v_add_co_u32 v24, vcc_lo, v24, s20
	v_add_co_ci_u32_e32 v25, vcc_lo, s21, v25, vcc_lo
	v_cmp_gt_u64_e64 vcc_lo, s[10:11], 56
	s_lshl_b32 s5, s16, 2
	v_readfirstlane_b32 s20, v24
	s_add_i32 s5, s5, 28
	v_readfirstlane_b32 s21, v25
	s_and_b32 s5, s5, 0x1e0
	v_cndmask_b32_e32 v2, v2, v6, vcc_lo
	v_and_or_b32 v6, 0xffffff1f, v2, s5
	global_store_dwordx4 v48, v[10:13], s[20:21] offset:16
	global_store_dwordx4 v48, v[6:9], s[20:21]
	global_store_dwordx4 v48, v[14:17], s[20:21] offset:32
	global_store_dwordx4 v48, v[18:21], s[20:21] offset:48
	s_and_saveexec_b32 s5, s4
	s_cbranch_execz .LBB3_604
; %bb.597:                              ;   in Loop: Header=BB3_539 Depth=1
	s_clause 0x1
	global_load_dwordx2 v[14:15], v3, s[26:27] offset:32 glc dlc
	global_load_dwordx2 v[6:7], v3, s[26:27] offset:40
	v_mov_b32_e32 v12, s18
	v_mov_b32_e32 v13, s19
	s_waitcnt vmcnt(0)
	v_readfirstlane_b32 s20, v6
	v_readfirstlane_b32 s21, v7
	s_and_b64 s[20:21], s[20:21], s[18:19]
	s_mul_i32 s21, s21, 24
	s_mul_hi_u32 s22, s20, 24
	s_mul_i32 s20, s20, 24
	s_add_i32 s22, s22, s21
	v_add_co_u32 v10, vcc_lo, v22, s20
	v_add_co_ci_u32_e32 v11, vcc_lo, s22, v23, vcc_lo
	s_mov_b32 s20, exec_lo
	global_store_dwordx2 v[10:11], v[14:15], off
	s_waitcnt_vscnt null, 0x0
	global_atomic_cmpswap_x2 v[8:9], v3, v[12:15], s[26:27] offset:32 glc
	s_waitcnt vmcnt(0)
	v_cmpx_ne_u64_e64 v[8:9], v[14:15]
	s_cbranch_execz .LBB3_600
; %bb.598:                              ;   in Loop: Header=BB3_539 Depth=1
	s_mov_b32 s21, 0
.LBB3_599:                              ;   Parent Loop BB3_539 Depth=1
                                        ; =>  This Inner Loop Header: Depth=2
	v_mov_b32_e32 v6, s18
	v_mov_b32_e32 v7, s19
	s_sleep 1
	global_store_dwordx2 v[10:11], v[8:9], off
	s_waitcnt_vscnt null, 0x0
	global_atomic_cmpswap_x2 v[6:7], v3, v[6:9], s[26:27] offset:32 glc
	s_waitcnt vmcnt(0)
	v_cmp_eq_u64_e32 vcc_lo, v[6:7], v[8:9]
	v_mov_b32_e32 v9, v7
	v_mov_b32_e32 v8, v6
	s_or_b32 s21, vcc_lo, s21
	s_andn2_b32 exec_lo, exec_lo, s21
	s_cbranch_execnz .LBB3_599
.LBB3_600:                              ;   in Loop: Header=BB3_539 Depth=1
	s_or_b32 exec_lo, exec_lo, s20
	global_load_dwordx2 v[6:7], v3, s[26:27] offset:16
	s_mov_b32 s21, exec_lo
	s_mov_b32 s20, exec_lo
	v_mbcnt_lo_u32_b32 v2, s21, 0
	v_cmpx_eq_u32_e32 0, v2
	s_cbranch_execz .LBB3_602
; %bb.601:                              ;   in Loop: Header=BB3_539 Depth=1
	s_bcnt1_i32_b32 s21, s21
	v_mov_b32_e32 v2, s21
	s_waitcnt vmcnt(0)
	global_atomic_add_x2 v[6:7], v[2:3], off offset:8
.LBB3_602:                              ;   in Loop: Header=BB3_539 Depth=1
	s_or_b32 exec_lo, exec_lo, s20
	s_waitcnt vmcnt(0)
	global_load_dwordx2 v[8:9], v[6:7], off offset:16
	s_waitcnt vmcnt(0)
	v_cmp_eq_u64_e32 vcc_lo, 0, v[8:9]
	s_cbranch_vccnz .LBB3_604
; %bb.603:                              ;   in Loop: Header=BB3_539 Depth=1
	global_load_dword v2, v[6:7], off offset:24
	s_waitcnt vmcnt(0)
	v_and_b32_e32 v6, 0x7fffff, v2
	s_waitcnt_vscnt null, 0x0
	global_store_dwordx2 v[8:9], v[2:3], off
	v_readfirstlane_b32 m0, v6
	s_sendmsg sendmsg(MSG_INTERRUPT)
.LBB3_604:                              ;   in Loop: Header=BB3_539 Depth=1
	s_or_b32 exec_lo, exec_lo, s5
	v_add_co_u32 v6, vcc_lo, v24, v48
	v_add_co_ci_u32_e32 v7, vcc_lo, 0, v25, vcc_lo
	s_branch .LBB3_608
	.p2align	6
.LBB3_605:                              ;   in Loop: Header=BB3_608 Depth=2
	s_or_b32 exec_lo, exec_lo, s5
	v_readfirstlane_b32 s5, v2
	s_cmp_eq_u32 s5, 0
	s_cbranch_scc1 .LBB3_607
; %bb.606:                              ;   in Loop: Header=BB3_608 Depth=2
	s_sleep 1
	s_cbranch_execnz .LBB3_608
	s_branch .LBB3_610
	.p2align	6
.LBB3_607:                              ;   in Loop: Header=BB3_539 Depth=1
	s_branch .LBB3_610
.LBB3_608:                              ;   Parent Loop BB3_539 Depth=1
                                        ; =>  This Inner Loop Header: Depth=2
	v_mov_b32_e32 v2, 1
	s_and_saveexec_b32 s5, s4
	s_cbranch_execz .LBB3_605
; %bb.609:                              ;   in Loop: Header=BB3_608 Depth=2
	global_load_dword v2, v[26:27], off offset:20 glc dlc
	s_waitcnt vmcnt(0)
	buffer_gl1_inv
	buffer_gl0_inv
	v_and_b32_e32 v2, 1, v2
	s_branch .LBB3_605
.LBB3_610:                              ;   in Loop: Header=BB3_539 Depth=1
	global_load_dwordx4 v[6:9], v[6:7], off
	s_and_saveexec_b32 s5, s4
	s_cbranch_execz .LBB3_538
; %bb.611:                              ;   in Loop: Header=BB3_539 Depth=1
	s_clause 0x2
	global_load_dwordx2 v[10:11], v3, s[26:27] offset:40
	global_load_dwordx2 v[14:15], v3, s[26:27] offset:24 glc dlc
	global_load_dwordx2 v[12:13], v3, s[26:27]
	s_waitcnt vmcnt(2)
	v_add_co_u32 v2, vcc_lo, v10, 1
	v_add_co_ci_u32_e32 v16, vcc_lo, 0, v11, vcc_lo
	v_add_co_u32 v8, vcc_lo, v2, s18
	v_add_co_ci_u32_e32 v9, vcc_lo, s19, v16, vcc_lo
	v_cmp_eq_u64_e32 vcc_lo, 0, v[8:9]
	v_cndmask_b32_e32 v9, v9, v16, vcc_lo
	v_cndmask_b32_e32 v8, v8, v2, vcc_lo
	v_and_b32_e32 v2, v9, v11
	v_and_b32_e32 v10, v8, v10
	v_mul_lo_u32 v2, v2, 24
	v_mul_hi_u32 v11, v10, 24
	v_mul_lo_u32 v10, v10, 24
	v_add_nc_u32_e32 v2, v11, v2
	s_waitcnt vmcnt(0)
	v_add_co_u32 v12, vcc_lo, v12, v10
	v_mov_b32_e32 v10, v14
	v_mov_b32_e32 v11, v15
	v_add_co_ci_u32_e32 v13, vcc_lo, v13, v2, vcc_lo
	global_store_dwordx2 v[12:13], v[14:15], off
	s_waitcnt_vscnt null, 0x0
	global_atomic_cmpswap_x2 v[10:11], v3, v[8:11], s[26:27] offset:24 glc
	s_waitcnt vmcnt(0)
	v_cmp_ne_u64_e32 vcc_lo, v[10:11], v[14:15]
	s_and_b32 exec_lo, exec_lo, vcc_lo
	s_cbranch_execz .LBB3_538
; %bb.612:                              ;   in Loop: Header=BB3_539 Depth=1
	s_mov_b32 s4, 0
.LBB3_613:                              ;   Parent Loop BB3_539 Depth=1
                                        ; =>  This Inner Loop Header: Depth=2
	s_sleep 1
	global_store_dwordx2 v[12:13], v[10:11], off
	s_waitcnt_vscnt null, 0x0
	global_atomic_cmpswap_x2 v[14:15], v3, v[8:11], s[26:27] offset:24 glc
	s_waitcnt vmcnt(0)
	v_cmp_eq_u64_e32 vcc_lo, v[14:15], v[10:11]
	v_mov_b32_e32 v10, v14
	v_mov_b32_e32 v11, v15
	s_or_b32 s4, vcc_lo, s4
	s_andn2_b32 exec_lo, exec_lo, s4
	s_cbranch_execnz .LBB3_613
	s_branch .LBB3_538
.LBB3_614:
	s_branch .LBB3_643
.LBB3_615:
	s_cbranch_execz .LBB3_643
; %bb.616:
	v_readfirstlane_b32 s4, v49
	s_waitcnt vmcnt(0)
	v_mov_b32_e32 v8, 0
	v_mov_b32_e32 v9, 0
	v_cmp_eq_u32_e64 s4, s4, v49
	s_and_saveexec_b32 s5, s4
	s_cbranch_execz .LBB3_622
; %bb.617:
	v_mov_b32_e32 v2, 0
	s_mov_b32 s6, exec_lo
	global_load_dwordx2 v[5:6], v2, s[26:27] offset:24 glc dlc
	s_waitcnt vmcnt(0)
	buffer_gl1_inv
	buffer_gl0_inv
	s_clause 0x1
	global_load_dwordx2 v[3:4], v2, s[26:27] offset:40
	global_load_dwordx2 v[7:8], v2, s[26:27]
	s_waitcnt vmcnt(1)
	v_and_b32_e32 v4, v4, v6
	v_and_b32_e32 v3, v3, v5
	v_mul_lo_u32 v4, v4, 24
	v_mul_hi_u32 v9, v3, 24
	v_mul_lo_u32 v3, v3, 24
	v_add_nc_u32_e32 v4, v9, v4
	s_waitcnt vmcnt(0)
	v_add_co_u32 v3, vcc_lo, v7, v3
	v_add_co_ci_u32_e32 v4, vcc_lo, v8, v4, vcc_lo
	global_load_dwordx2 v[3:4], v[3:4], off glc dlc
	s_waitcnt vmcnt(0)
	global_atomic_cmpswap_x2 v[8:9], v2, v[3:6], s[26:27] offset:24 glc
	s_waitcnt vmcnt(0)
	buffer_gl1_inv
	buffer_gl0_inv
	v_cmpx_ne_u64_e64 v[8:9], v[5:6]
	s_cbranch_execz .LBB3_621
; %bb.618:
	s_mov_b32 s7, 0
	.p2align	6
.LBB3_619:                              ; =>This Inner Loop Header: Depth=1
	s_sleep 1
	s_clause 0x1
	global_load_dwordx2 v[3:4], v2, s[26:27] offset:40
	global_load_dwordx2 v[10:11], v2, s[26:27]
	v_mov_b32_e32 v5, v8
	v_mov_b32_e32 v6, v9
	s_waitcnt vmcnt(1)
	v_and_b32_e32 v3, v3, v5
	v_and_b32_e32 v4, v4, v6
	s_waitcnt vmcnt(0)
	v_mad_u64_u32 v[7:8], null, v3, 24, v[10:11]
	v_mov_b32_e32 v3, v8
	v_mad_u64_u32 v[3:4], null, v4, 24, v[3:4]
	v_mov_b32_e32 v8, v3
	global_load_dwordx2 v[3:4], v[7:8], off glc dlc
	s_waitcnt vmcnt(0)
	global_atomic_cmpswap_x2 v[8:9], v2, v[3:6], s[26:27] offset:24 glc
	s_waitcnt vmcnt(0)
	buffer_gl1_inv
	buffer_gl0_inv
	v_cmp_eq_u64_e32 vcc_lo, v[8:9], v[5:6]
	s_or_b32 s7, vcc_lo, s7
	s_andn2_b32 exec_lo, exec_lo, s7
	s_cbranch_execnz .LBB3_619
; %bb.620:
	s_or_b32 exec_lo, exec_lo, s7
.LBB3_621:
	s_or_b32 exec_lo, exec_lo, s6
.LBB3_622:
	s_or_b32 exec_lo, exec_lo, s5
	v_mov_b32_e32 v2, 0
	v_readfirstlane_b32 s6, v8
	v_readfirstlane_b32 s7, v9
	s_mov_b32 s5, exec_lo
	s_clause 0x1
	global_load_dwordx2 v[10:11], v2, s[26:27] offset:40
	global_load_dwordx4 v[4:7], v2, s[26:27]
	s_waitcnt vmcnt(1)
	v_readfirstlane_b32 s10, v10
	v_readfirstlane_b32 s11, v11
	s_and_b64 s[10:11], s[6:7], s[10:11]
	s_mul_i32 s16, s11, 24
	s_mul_hi_u32 s17, s10, 24
	s_mul_i32 s18, s10, 24
	s_add_i32 s17, s17, s16
	s_waitcnt vmcnt(0)
	v_add_co_u32 v8, vcc_lo, v4, s18
	v_add_co_ci_u32_e32 v9, vcc_lo, s17, v5, vcc_lo
	s_and_saveexec_b32 s16, s4
	s_cbranch_execz .LBB3_624
; %bb.623:
	v_mov_b32_e32 v10, s5
	v_mov_b32_e32 v11, v2
	;; [unrolled: 1-line block ×4, first 2 shown]
	global_store_dwordx4 v[8:9], v[10:13], off offset:8
.LBB3_624:
	s_or_b32 exec_lo, exec_lo, s16
	s_lshl_b64 s[10:11], s[10:11], 12
	s_mov_b32 s16, 0
	v_add_co_u32 v6, vcc_lo, v6, s10
	v_add_co_ci_u32_e32 v7, vcc_lo, s11, v7, vcc_lo
	s_mov_b32 s17, s16
	s_mov_b32 s18, s16
	;; [unrolled: 1-line block ×3, first 2 shown]
	v_and_or_b32 v0, 0xffffff1d, v0, 34
	v_mov_b32_e32 v3, v2
	v_readfirstlane_b32 s10, v6
	v_readfirstlane_b32 s11, v7
	v_mov_b32_e32 v10, s16
	v_mov_b32_e32 v11, s17
	;; [unrolled: 1-line block ×4, first 2 shown]
	global_store_dwordx4 v48, v[0:3], s[10:11]
	global_store_dwordx4 v48, v[10:13], s[10:11] offset:16
	global_store_dwordx4 v48, v[10:13], s[10:11] offset:32
	;; [unrolled: 1-line block ×3, first 2 shown]
	s_and_saveexec_b32 s5, s4
	s_cbranch_execz .LBB3_632
; %bb.625:
	v_mov_b32_e32 v6, 0
	v_mov_b32_e32 v10, s6
	;; [unrolled: 1-line block ×3, first 2 shown]
	s_clause 0x1
	global_load_dwordx2 v[12:13], v6, s[26:27] offset:32 glc dlc
	global_load_dwordx2 v[0:1], v6, s[26:27] offset:40
	s_waitcnt vmcnt(0)
	v_readfirstlane_b32 s10, v0
	v_readfirstlane_b32 s11, v1
	s_and_b64 s[10:11], s[10:11], s[6:7]
	s_mul_i32 s11, s11, 24
	s_mul_hi_u32 s16, s10, 24
	s_mul_i32 s10, s10, 24
	s_add_i32 s16, s16, s11
	v_add_co_u32 v4, vcc_lo, v4, s10
	v_add_co_ci_u32_e32 v5, vcc_lo, s16, v5, vcc_lo
	s_mov_b32 s10, exec_lo
	global_store_dwordx2 v[4:5], v[12:13], off
	s_waitcnt_vscnt null, 0x0
	global_atomic_cmpswap_x2 v[2:3], v6, v[10:13], s[26:27] offset:32 glc
	s_waitcnt vmcnt(0)
	v_cmpx_ne_u64_e64 v[2:3], v[12:13]
	s_cbranch_execz .LBB3_628
; %bb.626:
	s_mov_b32 s11, 0
.LBB3_627:                              ; =>This Inner Loop Header: Depth=1
	v_mov_b32_e32 v0, s6
	v_mov_b32_e32 v1, s7
	s_sleep 1
	global_store_dwordx2 v[4:5], v[2:3], off
	s_waitcnt_vscnt null, 0x0
	global_atomic_cmpswap_x2 v[0:1], v6, v[0:3], s[26:27] offset:32 glc
	s_waitcnt vmcnt(0)
	v_cmp_eq_u64_e32 vcc_lo, v[0:1], v[2:3]
	v_mov_b32_e32 v3, v1
	v_mov_b32_e32 v2, v0
	s_or_b32 s11, vcc_lo, s11
	s_andn2_b32 exec_lo, exec_lo, s11
	s_cbranch_execnz .LBB3_627
.LBB3_628:
	s_or_b32 exec_lo, exec_lo, s10
	v_mov_b32_e32 v3, 0
	s_mov_b32 s11, exec_lo
	s_mov_b32 s10, exec_lo
	v_mbcnt_lo_u32_b32 v2, s11, 0
	global_load_dwordx2 v[0:1], v3, s[26:27] offset:16
	v_cmpx_eq_u32_e32 0, v2
	s_cbranch_execz .LBB3_630
; %bb.629:
	s_bcnt1_i32_b32 s11, s11
	v_mov_b32_e32 v2, s11
	s_waitcnt vmcnt(0)
	global_atomic_add_x2 v[0:1], v[2:3], off offset:8
.LBB3_630:
	s_or_b32 exec_lo, exec_lo, s10
	s_waitcnt vmcnt(0)
	global_load_dwordx2 v[2:3], v[0:1], off offset:16
	s_waitcnt vmcnt(0)
	v_cmp_eq_u64_e32 vcc_lo, 0, v[2:3]
	s_cbranch_vccnz .LBB3_632
; %bb.631:
	global_load_dword v0, v[0:1], off offset:24
	v_mov_b32_e32 v1, 0
	s_waitcnt vmcnt(0)
	v_and_b32_e32 v4, 0x7fffff, v0
	s_waitcnt_vscnt null, 0x0
	global_store_dwordx2 v[2:3], v[0:1], off
	v_readfirstlane_b32 m0, v4
	s_sendmsg sendmsg(MSG_INTERRUPT)
.LBB3_632:
	s_or_b32 exec_lo, exec_lo, s5
	s_branch .LBB3_636
	.p2align	6
.LBB3_633:                              ;   in Loop: Header=BB3_636 Depth=1
	s_or_b32 exec_lo, exec_lo, s5
	v_readfirstlane_b32 s5, v0
	s_cmp_eq_u32 s5, 0
	s_cbranch_scc1 .LBB3_635
; %bb.634:                              ;   in Loop: Header=BB3_636 Depth=1
	s_sleep 1
	s_cbranch_execnz .LBB3_636
	s_branch .LBB3_638
	.p2align	6
.LBB3_635:
	s_branch .LBB3_638
.LBB3_636:                              ; =>This Inner Loop Header: Depth=1
	v_mov_b32_e32 v0, 1
	s_and_saveexec_b32 s5, s4
	s_cbranch_execz .LBB3_633
; %bb.637:                              ;   in Loop: Header=BB3_636 Depth=1
	global_load_dword v0, v[8:9], off offset:20 glc dlc
	s_waitcnt vmcnt(0)
	buffer_gl1_inv
	buffer_gl0_inv
	v_and_b32_e32 v0, 1, v0
	s_branch .LBB3_633
.LBB3_638:
	s_and_saveexec_b32 s5, s4
	s_cbranch_execz .LBB3_642
; %bb.639:
	v_mov_b32_e32 v6, 0
	s_clause 0x2
	global_load_dwordx2 v[2:3], v6, s[26:27] offset:40
	global_load_dwordx2 v[7:8], v6, s[26:27] offset:24 glc dlc
	global_load_dwordx2 v[4:5], v6, s[26:27]
	s_waitcnt vmcnt(2)
	v_add_co_u32 v9, vcc_lo, v2, 1
	v_add_co_ci_u32_e32 v10, vcc_lo, 0, v3, vcc_lo
	v_add_co_u32 v0, vcc_lo, v9, s6
	v_add_co_ci_u32_e32 v1, vcc_lo, s7, v10, vcc_lo
	v_cmp_eq_u64_e32 vcc_lo, 0, v[0:1]
	v_cndmask_b32_e32 v1, v1, v10, vcc_lo
	v_cndmask_b32_e32 v0, v0, v9, vcc_lo
	v_and_b32_e32 v3, v1, v3
	v_and_b32_e32 v2, v0, v2
	v_mul_lo_u32 v3, v3, 24
	v_mul_hi_u32 v9, v2, 24
	v_mul_lo_u32 v2, v2, 24
	v_add_nc_u32_e32 v3, v9, v3
	s_waitcnt vmcnt(0)
	v_add_co_u32 v4, vcc_lo, v4, v2
	v_mov_b32_e32 v2, v7
	v_add_co_ci_u32_e32 v5, vcc_lo, v5, v3, vcc_lo
	v_mov_b32_e32 v3, v8
	global_store_dwordx2 v[4:5], v[7:8], off
	s_waitcnt_vscnt null, 0x0
	global_atomic_cmpswap_x2 v[2:3], v6, v[0:3], s[26:27] offset:24 glc
	s_waitcnt vmcnt(0)
	v_cmp_ne_u64_e32 vcc_lo, v[2:3], v[7:8]
	s_and_b32 exec_lo, exec_lo, vcc_lo
	s_cbranch_execz .LBB3_642
; %bb.640:
	s_mov_b32 s4, 0
.LBB3_641:                              ; =>This Inner Loop Header: Depth=1
	s_sleep 1
	global_store_dwordx2 v[4:5], v[2:3], off
	s_waitcnt_vscnt null, 0x0
	global_atomic_cmpswap_x2 v[7:8], v6, v[0:3], s[26:27] offset:24 glc
	s_waitcnt vmcnt(0)
	v_cmp_eq_u64_e32 vcc_lo, v[7:8], v[2:3]
	v_mov_b32_e32 v2, v7
	v_mov_b32_e32 v3, v8
	s_or_b32 s4, vcc_lo, s4
	s_andn2_b32 exec_lo, exec_lo, s4
	s_cbranch_execnz .LBB3_641
.LBB3_642:
	s_or_b32 exec_lo, exec_lo, s5
.LBB3_643:
	v_readfirstlane_b32 s4, v49
	s_waitcnt vmcnt(0)
	v_mov_b32_e32 v6, 0
	v_mov_b32_e32 v7, 0
	v_cmp_eq_u32_e64 s4, s4, v49
	s_and_saveexec_b32 s5, s4
	s_cbranch_execz .LBB3_649
; %bb.644:
	v_mov_b32_e32 v0, 0
	s_mov_b32 s6, exec_lo
	global_load_dwordx2 v[3:4], v0, s[26:27] offset:24 glc dlc
	s_waitcnt vmcnt(0)
	buffer_gl1_inv
	buffer_gl0_inv
	s_clause 0x1
	global_load_dwordx2 v[1:2], v0, s[26:27] offset:40
	global_load_dwordx2 v[5:6], v0, s[26:27]
	s_waitcnt vmcnt(1)
	v_and_b32_e32 v2, v2, v4
	v_and_b32_e32 v1, v1, v3
	v_mul_lo_u32 v2, v2, 24
	v_mul_hi_u32 v7, v1, 24
	v_mul_lo_u32 v1, v1, 24
	v_add_nc_u32_e32 v2, v7, v2
	s_waitcnt vmcnt(0)
	v_add_co_u32 v1, vcc_lo, v5, v1
	v_add_co_ci_u32_e32 v2, vcc_lo, v6, v2, vcc_lo
	global_load_dwordx2 v[1:2], v[1:2], off glc dlc
	s_waitcnt vmcnt(0)
	global_atomic_cmpswap_x2 v[6:7], v0, v[1:4], s[26:27] offset:24 glc
	s_waitcnt vmcnt(0)
	buffer_gl1_inv
	buffer_gl0_inv
	v_cmpx_ne_u64_e64 v[6:7], v[3:4]
	s_cbranch_execz .LBB3_648
; %bb.645:
	s_mov_b32 s7, 0
	.p2align	6
.LBB3_646:                              ; =>This Inner Loop Header: Depth=1
	s_sleep 1
	s_clause 0x1
	global_load_dwordx2 v[1:2], v0, s[26:27] offset:40
	global_load_dwordx2 v[8:9], v0, s[26:27]
	v_mov_b32_e32 v3, v6
	v_mov_b32_e32 v4, v7
	s_waitcnt vmcnt(1)
	v_and_b32_e32 v1, v1, v3
	v_and_b32_e32 v2, v2, v4
	s_waitcnt vmcnt(0)
	v_mad_u64_u32 v[5:6], null, v1, 24, v[8:9]
	v_mov_b32_e32 v1, v6
	v_mad_u64_u32 v[1:2], null, v2, 24, v[1:2]
	v_mov_b32_e32 v6, v1
	global_load_dwordx2 v[1:2], v[5:6], off glc dlc
	s_waitcnt vmcnt(0)
	global_atomic_cmpswap_x2 v[6:7], v0, v[1:4], s[26:27] offset:24 glc
	s_waitcnt vmcnt(0)
	buffer_gl1_inv
	buffer_gl0_inv
	v_cmp_eq_u64_e32 vcc_lo, v[6:7], v[3:4]
	s_or_b32 s7, vcc_lo, s7
	s_andn2_b32 exec_lo, exec_lo, s7
	s_cbranch_execnz .LBB3_646
; %bb.647:
	s_or_b32 exec_lo, exec_lo, s7
.LBB3_648:
	s_or_b32 exec_lo, exec_lo, s6
.LBB3_649:
	s_or_b32 exec_lo, exec_lo, s5
	v_mov_b32_e32 v5, 0
	v_readfirstlane_b32 s6, v6
	v_readfirstlane_b32 s7, v7
	s_mov_b32 s5, exec_lo
	s_clause 0x1
	global_load_dwordx2 v[8:9], v5, s[26:27] offset:40
	global_load_dwordx4 v[0:3], v5, s[26:27]
	s_waitcnt vmcnt(1)
	v_readfirstlane_b32 s10, v8
	v_readfirstlane_b32 s11, v9
	s_and_b64 s[10:11], s[6:7], s[10:11]
	s_mul_i32 s16, s11, 24
	s_mul_hi_u32 s17, s10, 24
	s_mul_i32 s18, s10, 24
	s_add_i32 s17, s17, s16
	s_waitcnt vmcnt(0)
	v_add_co_u32 v8, vcc_lo, v0, s18
	v_add_co_ci_u32_e32 v9, vcc_lo, s17, v1, vcc_lo
	s_and_saveexec_b32 s16, s4
	s_cbranch_execz .LBB3_651
; %bb.650:
	v_mov_b32_e32 v4, s5
	v_mov_b32_e32 v6, 2
	;; [unrolled: 1-line block ×3, first 2 shown]
	global_store_dwordx4 v[8:9], v[4:7], off offset:8
.LBB3_651:
	s_or_b32 exec_lo, exec_lo, s16
	s_lshl_b64 s[10:11], s[10:11], 12
	s_mov_b32 s16, 0
	v_add_co_u32 v2, vcc_lo, v2, s10
	v_add_co_ci_u32_e32 v3, vcc_lo, s11, v3, vcc_lo
	s_mov_b32 s17, s16
	v_add_co_u32 v10, vcc_lo, v2, v48
	s_mov_b32 s18, s16
	s_mov_b32 s19, s16
	v_mov_b32_e32 v4, 33
	v_mov_b32_e32 v6, v5
	;; [unrolled: 1-line block ×3, first 2 shown]
	v_readfirstlane_b32 s10, v2
	v_readfirstlane_b32 s11, v3
	v_mov_b32_e32 v12, s16
	v_add_co_ci_u32_e32 v11, vcc_lo, 0, v3, vcc_lo
	v_mov_b32_e32 v13, s17
	v_mov_b32_e32 v14, s18
	;; [unrolled: 1-line block ×3, first 2 shown]
	global_store_dwordx4 v48, v[4:7], s[10:11]
	global_store_dwordx4 v48, v[12:15], s[10:11] offset:16
	global_store_dwordx4 v48, v[12:15], s[10:11] offset:32
	;; [unrolled: 1-line block ×3, first 2 shown]
	s_and_saveexec_b32 s5, s4
	s_cbranch_execz .LBB3_659
; %bb.652:
	v_mov_b32_e32 v6, 0
	v_mov_b32_e32 v12, s6
	;; [unrolled: 1-line block ×3, first 2 shown]
	s_clause 0x1
	global_load_dwordx2 v[14:15], v6, s[26:27] offset:32 glc dlc
	global_load_dwordx2 v[2:3], v6, s[26:27] offset:40
	s_waitcnt vmcnt(0)
	v_readfirstlane_b32 s10, v2
	v_readfirstlane_b32 s11, v3
	s_and_b64 s[10:11], s[10:11], s[6:7]
	s_mul_i32 s11, s11, 24
	s_mul_hi_u32 s16, s10, 24
	s_mul_i32 s10, s10, 24
	s_add_i32 s16, s16, s11
	v_add_co_u32 v4, vcc_lo, v0, s10
	v_add_co_ci_u32_e32 v5, vcc_lo, s16, v1, vcc_lo
	s_mov_b32 s10, exec_lo
	global_store_dwordx2 v[4:5], v[14:15], off
	s_waitcnt_vscnt null, 0x0
	global_atomic_cmpswap_x2 v[2:3], v6, v[12:15], s[26:27] offset:32 glc
	s_waitcnt vmcnt(0)
	v_cmpx_ne_u64_e64 v[2:3], v[14:15]
	s_cbranch_execz .LBB3_655
; %bb.653:
	s_mov_b32 s11, 0
.LBB3_654:                              ; =>This Inner Loop Header: Depth=1
	v_mov_b32_e32 v0, s6
	v_mov_b32_e32 v1, s7
	s_sleep 1
	global_store_dwordx2 v[4:5], v[2:3], off
	s_waitcnt_vscnt null, 0x0
	global_atomic_cmpswap_x2 v[0:1], v6, v[0:3], s[26:27] offset:32 glc
	s_waitcnt vmcnt(0)
	v_cmp_eq_u64_e32 vcc_lo, v[0:1], v[2:3]
	v_mov_b32_e32 v3, v1
	v_mov_b32_e32 v2, v0
	s_or_b32 s11, vcc_lo, s11
	s_andn2_b32 exec_lo, exec_lo, s11
	s_cbranch_execnz .LBB3_654
.LBB3_655:
	s_or_b32 exec_lo, exec_lo, s10
	v_mov_b32_e32 v3, 0
	s_mov_b32 s11, exec_lo
	s_mov_b32 s10, exec_lo
	v_mbcnt_lo_u32_b32 v2, s11, 0
	global_load_dwordx2 v[0:1], v3, s[26:27] offset:16
	v_cmpx_eq_u32_e32 0, v2
	s_cbranch_execz .LBB3_657
; %bb.656:
	s_bcnt1_i32_b32 s11, s11
	v_mov_b32_e32 v2, s11
	s_waitcnt vmcnt(0)
	global_atomic_add_x2 v[0:1], v[2:3], off offset:8
.LBB3_657:
	s_or_b32 exec_lo, exec_lo, s10
	s_waitcnt vmcnt(0)
	global_load_dwordx2 v[2:3], v[0:1], off offset:16
	s_waitcnt vmcnt(0)
	v_cmp_eq_u64_e32 vcc_lo, 0, v[2:3]
	s_cbranch_vccnz .LBB3_659
; %bb.658:
	global_load_dword v0, v[0:1], off offset:24
	v_mov_b32_e32 v1, 0
	s_waitcnt vmcnt(0)
	v_and_b32_e32 v4, 0x7fffff, v0
	s_waitcnt_vscnt null, 0x0
	global_store_dwordx2 v[2:3], v[0:1], off
	v_readfirstlane_b32 m0, v4
	s_sendmsg sendmsg(MSG_INTERRUPT)
.LBB3_659:
	s_or_b32 exec_lo, exec_lo, s5
	s_branch .LBB3_663
	.p2align	6
.LBB3_660:                              ;   in Loop: Header=BB3_663 Depth=1
	s_or_b32 exec_lo, exec_lo, s5
	v_readfirstlane_b32 s5, v0
	s_cmp_eq_u32 s5, 0
	s_cbranch_scc1 .LBB3_662
; %bb.661:                              ;   in Loop: Header=BB3_663 Depth=1
	s_sleep 1
	s_cbranch_execnz .LBB3_663
	s_branch .LBB3_665
	.p2align	6
.LBB3_662:
	s_branch .LBB3_665
.LBB3_663:                              ; =>This Inner Loop Header: Depth=1
	v_mov_b32_e32 v0, 1
	s_and_saveexec_b32 s5, s4
	s_cbranch_execz .LBB3_660
; %bb.664:                              ;   in Loop: Header=BB3_663 Depth=1
	global_load_dword v0, v[8:9], off offset:20 glc dlc
	s_waitcnt vmcnt(0)
	buffer_gl1_inv
	buffer_gl0_inv
	v_and_b32_e32 v0, 1, v0
	s_branch .LBB3_660
.LBB3_665:
	global_load_dwordx2 v[0:1], v[10:11], off
	s_and_saveexec_b32 s5, s4
	s_cbranch_execz .LBB3_669
; %bb.666:
	v_mov_b32_e32 v8, 0
	s_clause 0x2
	global_load_dwordx2 v[4:5], v8, s[26:27] offset:40
	global_load_dwordx2 v[9:10], v8, s[26:27] offset:24 glc dlc
	global_load_dwordx2 v[6:7], v8, s[26:27]
	s_waitcnt vmcnt(2)
	v_add_co_u32 v11, vcc_lo, v4, 1
	v_add_co_ci_u32_e32 v12, vcc_lo, 0, v5, vcc_lo
	v_add_co_u32 v2, vcc_lo, v11, s6
	v_add_co_ci_u32_e32 v3, vcc_lo, s7, v12, vcc_lo
	v_cmp_eq_u64_e32 vcc_lo, 0, v[2:3]
	v_cndmask_b32_e32 v3, v3, v12, vcc_lo
	v_cndmask_b32_e32 v2, v2, v11, vcc_lo
	v_and_b32_e32 v5, v3, v5
	v_and_b32_e32 v4, v2, v4
	v_mul_lo_u32 v5, v5, 24
	v_mul_hi_u32 v11, v4, 24
	v_mul_lo_u32 v4, v4, 24
	v_add_nc_u32_e32 v5, v11, v5
	s_waitcnt vmcnt(0)
	v_add_co_u32 v6, vcc_lo, v6, v4
	v_mov_b32_e32 v4, v9
	v_add_co_ci_u32_e32 v7, vcc_lo, v7, v5, vcc_lo
	v_mov_b32_e32 v5, v10
	global_store_dwordx2 v[6:7], v[9:10], off
	s_waitcnt_vscnt null, 0x0
	global_atomic_cmpswap_x2 v[4:5], v8, v[2:5], s[26:27] offset:24 glc
	s_waitcnt vmcnt(0)
	v_cmp_ne_u64_e32 vcc_lo, v[4:5], v[9:10]
	s_and_b32 exec_lo, exec_lo, vcc_lo
	s_cbranch_execz .LBB3_669
; %bb.667:
	s_mov_b32 s4, 0
.LBB3_668:                              ; =>This Inner Loop Header: Depth=1
	s_sleep 1
	global_store_dwordx2 v[6:7], v[4:5], off
	s_waitcnt_vscnt null, 0x0
	global_atomic_cmpswap_x2 v[9:10], v8, v[2:5], s[26:27] offset:24 glc
	s_waitcnt vmcnt(0)
	v_cmp_eq_u64_e32 vcc_lo, v[9:10], v[4:5]
	v_mov_b32_e32 v4, v9
	v_mov_b32_e32 v5, v10
	s_or_b32 s4, vcc_lo, s4
	s_andn2_b32 exec_lo, exec_lo, s4
	s_cbranch_execnz .LBB3_668
.LBB3_669:
	s_or_b32 exec_lo, exec_lo, s5
	s_and_b32 vcc_lo, exec_lo, s34
	s_cbranch_vccz .LBB3_748
; %bb.670:
	s_waitcnt vmcnt(0)
	v_and_b32_e32 v31, 2, v0
	v_mov_b32_e32 v6, 0
	v_and_b32_e32 v2, -3, v0
	v_mov_b32_e32 v3, v1
	v_mov_b32_e32 v7, 2
	;; [unrolled: 1-line block ×3, first 2 shown]
	s_mov_b64 s[10:11], 3
	s_getpc_b64 s[6:7]
	s_add_u32 s6, s6, .str.6@rel32@lo+4
	s_addc_u32 s7, s7, .str.6@rel32@hi+12
	s_branch .LBB3_672
.LBB3_671:                              ;   in Loop: Header=BB3_672 Depth=1
	s_or_b32 exec_lo, exec_lo, s5
	s_sub_u32 s10, s10, s16
	s_subb_u32 s11, s11, s17
	s_add_u32 s6, s6, s16
	s_addc_u32 s7, s7, s17
	s_cmp_lg_u64 s[10:11], 0
	s_cbranch_scc0 .LBB3_747
.LBB3_672:                              ; =>This Loop Header: Depth=1
                                        ;     Child Loop BB3_681 Depth 2
                                        ;     Child Loop BB3_677 Depth 2
	;; [unrolled: 1-line block ×11, first 2 shown]
	v_cmp_lt_u64_e64 s4, s[10:11], 56
	v_cmp_gt_u64_e64 s5, s[10:11], 7
                                        ; implicit-def: $vgpr11_vgpr12
                                        ; implicit-def: $sgpr22
	s_and_b32 s4, s4, exec_lo
	s_cselect_b32 s17, s11, 0
	s_cselect_b32 s16, s10, 56
	s_and_b32 vcc_lo, exec_lo, s5
	s_mov_b32 s4, -1
	s_cbranch_vccz .LBB3_679
; %bb.673:                              ;   in Loop: Header=BB3_672 Depth=1
	s_andn2_b32 vcc_lo, exec_lo, s4
	s_mov_b64 s[4:5], s[6:7]
	s_cbranch_vccz .LBB3_683
.LBB3_674:                              ;   in Loop: Header=BB3_672 Depth=1
	s_cmp_gt_u32 s22, 7
	s_cbranch_scc1 .LBB3_684
.LBB3_675:                              ;   in Loop: Header=BB3_672 Depth=1
	v_mov_b32_e32 v13, 0
	v_mov_b32_e32 v14, 0
	s_cmp_eq_u32 s22, 0
	s_cbranch_scc1 .LBB3_678
; %bb.676:                              ;   in Loop: Header=BB3_672 Depth=1
	s_mov_b64 s[18:19], 0
	s_mov_b64 s[20:21], 0
.LBB3_677:                              ;   Parent Loop BB3_672 Depth=1
                                        ; =>  This Inner Loop Header: Depth=2
	s_add_u32 s24, s4, s20
	s_addc_u32 s25, s5, s21
	s_add_u32 s20, s20, 1
	global_load_ubyte v4, v6, s[24:25]
	s_addc_u32 s21, s21, 0
	s_waitcnt vmcnt(0)
	v_and_b32_e32 v5, 0xffff, v4
	v_lshlrev_b64 v[4:5], s18, v[5:6]
	s_add_u32 s18, s18, 8
	s_addc_u32 s19, s19, 0
	s_cmp_lg_u32 s22, s20
	v_or_b32_e32 v13, v4, v13
	v_or_b32_e32 v14, v5, v14
	s_cbranch_scc1 .LBB3_677
.LBB3_678:                              ;   in Loop: Header=BB3_672 Depth=1
	s_mov_b32 s23, 0
	s_cbranch_execz .LBB3_685
	s_branch .LBB3_686
.LBB3_679:                              ;   in Loop: Header=BB3_672 Depth=1
	v_mov_b32_e32 v11, 0
	v_mov_b32_e32 v12, 0
	s_cmp_eq_u64 s[10:11], 0
	s_mov_b64 s[4:5], 0
	s_cbranch_scc1 .LBB3_682
; %bb.680:                              ;   in Loop: Header=BB3_672 Depth=1
	v_mov_b32_e32 v11, 0
	v_mov_b32_e32 v12, 0
	s_lshl_b64 s[18:19], s[16:17], 3
	s_mov_b64 s[20:21], s[6:7]
.LBB3_681:                              ;   Parent Loop BB3_672 Depth=1
                                        ; =>  This Inner Loop Header: Depth=2
	global_load_ubyte v4, v6, s[20:21]
	s_waitcnt vmcnt(0)
	v_and_b32_e32 v5, 0xffff, v4
	v_lshlrev_b64 v[4:5], s4, v[5:6]
	s_add_u32 s4, s4, 8
	s_addc_u32 s5, s5, 0
	s_add_u32 s20, s20, 1
	s_addc_u32 s21, s21, 0
	s_cmp_lg_u32 s18, s4
	v_or_b32_e32 v11, v4, v11
	v_or_b32_e32 v12, v5, v12
	s_cbranch_scc1 .LBB3_681
.LBB3_682:                              ;   in Loop: Header=BB3_672 Depth=1
	s_mov_b32 s22, 0
	s_mov_b64 s[4:5], s[6:7]
	s_cbranch_execnz .LBB3_674
.LBB3_683:                              ;   in Loop: Header=BB3_672 Depth=1
	global_load_dwordx2 v[11:12], v6, s[6:7]
	s_add_i32 s22, s16, -8
	s_add_u32 s4, s6, 8
	s_addc_u32 s5, s7, 0
	s_cmp_gt_u32 s22, 7
	s_cbranch_scc0 .LBB3_675
.LBB3_684:                              ;   in Loop: Header=BB3_672 Depth=1
                                        ; implicit-def: $vgpr13_vgpr14
                                        ; implicit-def: $sgpr23
.LBB3_685:                              ;   in Loop: Header=BB3_672 Depth=1
	global_load_dwordx2 v[13:14], v6, s[4:5]
	s_add_i32 s23, s22, -8
	s_add_u32 s4, s4, 8
	s_addc_u32 s5, s5, 0
.LBB3_686:                              ;   in Loop: Header=BB3_672 Depth=1
	s_cmp_gt_u32 s23, 7
	s_cbranch_scc1 .LBB3_691
; %bb.687:                              ;   in Loop: Header=BB3_672 Depth=1
	v_mov_b32_e32 v15, 0
	v_mov_b32_e32 v16, 0
	s_cmp_eq_u32 s23, 0
	s_cbranch_scc1 .LBB3_690
; %bb.688:                              ;   in Loop: Header=BB3_672 Depth=1
	s_mov_b64 s[18:19], 0
	s_mov_b64 s[20:21], 0
.LBB3_689:                              ;   Parent Loop BB3_672 Depth=1
                                        ; =>  This Inner Loop Header: Depth=2
	s_add_u32 s24, s4, s20
	s_addc_u32 s25, s5, s21
	s_add_u32 s20, s20, 1
	global_load_ubyte v4, v6, s[24:25]
	s_addc_u32 s21, s21, 0
	s_waitcnt vmcnt(0)
	v_and_b32_e32 v5, 0xffff, v4
	v_lshlrev_b64 v[4:5], s18, v[5:6]
	s_add_u32 s18, s18, 8
	s_addc_u32 s19, s19, 0
	s_cmp_lg_u32 s23, s20
	v_or_b32_e32 v15, v4, v15
	v_or_b32_e32 v16, v5, v16
	s_cbranch_scc1 .LBB3_689
.LBB3_690:                              ;   in Loop: Header=BB3_672 Depth=1
	s_mov_b32 s22, 0
	s_cbranch_execz .LBB3_692
	s_branch .LBB3_693
.LBB3_691:                              ;   in Loop: Header=BB3_672 Depth=1
                                        ; implicit-def: $sgpr22
.LBB3_692:                              ;   in Loop: Header=BB3_672 Depth=1
	global_load_dwordx2 v[15:16], v6, s[4:5]
	s_add_i32 s22, s23, -8
	s_add_u32 s4, s4, 8
	s_addc_u32 s5, s5, 0
.LBB3_693:                              ;   in Loop: Header=BB3_672 Depth=1
	s_cmp_gt_u32 s22, 7
	s_cbranch_scc1 .LBB3_698
; %bb.694:                              ;   in Loop: Header=BB3_672 Depth=1
	v_mov_b32_e32 v17, 0
	v_mov_b32_e32 v18, 0
	s_cmp_eq_u32 s22, 0
	s_cbranch_scc1 .LBB3_697
; %bb.695:                              ;   in Loop: Header=BB3_672 Depth=1
	s_mov_b64 s[18:19], 0
	s_mov_b64 s[20:21], 0
.LBB3_696:                              ;   Parent Loop BB3_672 Depth=1
                                        ; =>  This Inner Loop Header: Depth=2
	s_add_u32 s24, s4, s20
	s_addc_u32 s25, s5, s21
	s_add_u32 s20, s20, 1
	global_load_ubyte v4, v6, s[24:25]
	s_addc_u32 s21, s21, 0
	s_waitcnt vmcnt(0)
	v_and_b32_e32 v5, 0xffff, v4
	v_lshlrev_b64 v[4:5], s18, v[5:6]
	s_add_u32 s18, s18, 8
	s_addc_u32 s19, s19, 0
	s_cmp_lg_u32 s22, s20
	v_or_b32_e32 v17, v4, v17
	v_or_b32_e32 v18, v5, v18
	s_cbranch_scc1 .LBB3_696
.LBB3_697:                              ;   in Loop: Header=BB3_672 Depth=1
	s_mov_b32 s23, 0
	s_cbranch_execz .LBB3_699
	s_branch .LBB3_700
.LBB3_698:                              ;   in Loop: Header=BB3_672 Depth=1
                                        ; implicit-def: $vgpr17_vgpr18
                                        ; implicit-def: $sgpr23
.LBB3_699:                              ;   in Loop: Header=BB3_672 Depth=1
	global_load_dwordx2 v[17:18], v6, s[4:5]
	s_add_i32 s23, s22, -8
	s_add_u32 s4, s4, 8
	s_addc_u32 s5, s5, 0
.LBB3_700:                              ;   in Loop: Header=BB3_672 Depth=1
	s_cmp_gt_u32 s23, 7
	s_cbranch_scc1 .LBB3_705
; %bb.701:                              ;   in Loop: Header=BB3_672 Depth=1
	v_mov_b32_e32 v19, 0
	v_mov_b32_e32 v20, 0
	s_cmp_eq_u32 s23, 0
	s_cbranch_scc1 .LBB3_704
; %bb.702:                              ;   in Loop: Header=BB3_672 Depth=1
	s_mov_b64 s[18:19], 0
	s_mov_b64 s[20:21], 0
.LBB3_703:                              ;   Parent Loop BB3_672 Depth=1
                                        ; =>  This Inner Loop Header: Depth=2
	s_add_u32 s24, s4, s20
	s_addc_u32 s25, s5, s21
	s_add_u32 s20, s20, 1
	global_load_ubyte v4, v6, s[24:25]
	s_addc_u32 s21, s21, 0
	s_waitcnt vmcnt(0)
	v_and_b32_e32 v5, 0xffff, v4
	v_lshlrev_b64 v[4:5], s18, v[5:6]
	s_add_u32 s18, s18, 8
	s_addc_u32 s19, s19, 0
	s_cmp_lg_u32 s23, s20
	v_or_b32_e32 v19, v4, v19
	v_or_b32_e32 v20, v5, v20
	s_cbranch_scc1 .LBB3_703
.LBB3_704:                              ;   in Loop: Header=BB3_672 Depth=1
	s_mov_b32 s22, 0
	s_cbranch_execz .LBB3_706
	s_branch .LBB3_707
.LBB3_705:                              ;   in Loop: Header=BB3_672 Depth=1
                                        ; implicit-def: $sgpr22
.LBB3_706:                              ;   in Loop: Header=BB3_672 Depth=1
	global_load_dwordx2 v[19:20], v6, s[4:5]
	s_add_i32 s22, s23, -8
	s_add_u32 s4, s4, 8
	s_addc_u32 s5, s5, 0
.LBB3_707:                              ;   in Loop: Header=BB3_672 Depth=1
	s_cmp_gt_u32 s22, 7
	s_cbranch_scc1 .LBB3_712
; %bb.708:                              ;   in Loop: Header=BB3_672 Depth=1
	v_mov_b32_e32 v21, 0
	v_mov_b32_e32 v22, 0
	s_cmp_eq_u32 s22, 0
	s_cbranch_scc1 .LBB3_711
; %bb.709:                              ;   in Loop: Header=BB3_672 Depth=1
	s_mov_b64 s[18:19], 0
	s_mov_b64 s[20:21], 0
.LBB3_710:                              ;   Parent Loop BB3_672 Depth=1
                                        ; =>  This Inner Loop Header: Depth=2
	s_add_u32 s24, s4, s20
	s_addc_u32 s25, s5, s21
	s_add_u32 s20, s20, 1
	global_load_ubyte v4, v6, s[24:25]
	s_addc_u32 s21, s21, 0
	s_waitcnt vmcnt(0)
	v_and_b32_e32 v5, 0xffff, v4
	v_lshlrev_b64 v[4:5], s18, v[5:6]
	s_add_u32 s18, s18, 8
	s_addc_u32 s19, s19, 0
	s_cmp_lg_u32 s22, s20
	v_or_b32_e32 v21, v4, v21
	v_or_b32_e32 v22, v5, v22
	s_cbranch_scc1 .LBB3_710
.LBB3_711:                              ;   in Loop: Header=BB3_672 Depth=1
	s_mov_b32 s23, 0
	s_cbranch_execz .LBB3_713
	s_branch .LBB3_714
.LBB3_712:                              ;   in Loop: Header=BB3_672 Depth=1
                                        ; implicit-def: $vgpr21_vgpr22
                                        ; implicit-def: $sgpr23
.LBB3_713:                              ;   in Loop: Header=BB3_672 Depth=1
	global_load_dwordx2 v[21:22], v6, s[4:5]
	s_add_i32 s23, s22, -8
	s_add_u32 s4, s4, 8
	s_addc_u32 s5, s5, 0
.LBB3_714:                              ;   in Loop: Header=BB3_672 Depth=1
	s_cmp_gt_u32 s23, 7
	s_cbranch_scc1 .LBB3_719
; %bb.715:                              ;   in Loop: Header=BB3_672 Depth=1
	v_mov_b32_e32 v23, 0
	v_mov_b32_e32 v24, 0
	s_cmp_eq_u32 s23, 0
	s_cbranch_scc1 .LBB3_718
; %bb.716:                              ;   in Loop: Header=BB3_672 Depth=1
	s_mov_b64 s[18:19], 0
	s_mov_b64 s[20:21], s[4:5]
.LBB3_717:                              ;   Parent Loop BB3_672 Depth=1
                                        ; =>  This Inner Loop Header: Depth=2
	global_load_ubyte v4, v6, s[20:21]
	s_add_i32 s23, s23, -1
	s_waitcnt vmcnt(0)
	v_and_b32_e32 v5, 0xffff, v4
	v_lshlrev_b64 v[4:5], s18, v[5:6]
	s_add_u32 s18, s18, 8
	s_addc_u32 s19, s19, 0
	s_add_u32 s20, s20, 1
	s_addc_u32 s21, s21, 0
	s_cmp_lg_u32 s23, 0
	v_or_b32_e32 v23, v4, v23
	v_or_b32_e32 v24, v5, v24
	s_cbranch_scc1 .LBB3_717
.LBB3_718:                              ;   in Loop: Header=BB3_672 Depth=1
	s_cbranch_execz .LBB3_720
	s_branch .LBB3_721
.LBB3_719:                              ;   in Loop: Header=BB3_672 Depth=1
.LBB3_720:                              ;   in Loop: Header=BB3_672 Depth=1
	global_load_dwordx2 v[23:24], v6, s[4:5]
.LBB3_721:                              ;   in Loop: Header=BB3_672 Depth=1
	v_readfirstlane_b32 s4, v49
	s_waitcnt vmcnt(0)
	v_mov_b32_e32 v4, 0
	v_mov_b32_e32 v5, 0
	v_cmp_eq_u32_e64 s4, s4, v49
	s_and_saveexec_b32 s5, s4
	s_cbranch_execz .LBB3_727
; %bb.722:                              ;   in Loop: Header=BB3_672 Depth=1
	global_load_dwordx2 v[27:28], v6, s[26:27] offset:24 glc dlc
	s_waitcnt vmcnt(0)
	buffer_gl1_inv
	buffer_gl0_inv
	s_clause 0x1
	global_load_dwordx2 v[4:5], v6, s[26:27] offset:40
	global_load_dwordx2 v[9:10], v6, s[26:27]
	s_mov_b32 s18, exec_lo
	s_waitcnt vmcnt(1)
	v_and_b32_e32 v5, v5, v28
	v_and_b32_e32 v4, v4, v27
	v_mul_lo_u32 v5, v5, 24
	v_mul_hi_u32 v25, v4, 24
	v_mul_lo_u32 v4, v4, 24
	v_add_nc_u32_e32 v5, v25, v5
	s_waitcnt vmcnt(0)
	v_add_co_u32 v4, vcc_lo, v9, v4
	v_add_co_ci_u32_e32 v5, vcc_lo, v10, v5, vcc_lo
	global_load_dwordx2 v[25:26], v[4:5], off glc dlc
	s_waitcnt vmcnt(0)
	global_atomic_cmpswap_x2 v[4:5], v6, v[25:28], s[26:27] offset:24 glc
	s_waitcnt vmcnt(0)
	buffer_gl1_inv
	buffer_gl0_inv
	v_cmpx_ne_u64_e64 v[4:5], v[27:28]
	s_cbranch_execz .LBB3_726
; %bb.723:                              ;   in Loop: Header=BB3_672 Depth=1
	s_mov_b32 s19, 0
	.p2align	6
.LBB3_724:                              ;   Parent Loop BB3_672 Depth=1
                                        ; =>  This Inner Loop Header: Depth=2
	s_sleep 1
	s_clause 0x1
	global_load_dwordx2 v[9:10], v6, s[26:27] offset:40
	global_load_dwordx2 v[25:26], v6, s[26:27]
	v_mov_b32_e32 v28, v5
	v_mov_b32_e32 v27, v4
	s_waitcnt vmcnt(1)
	v_and_b32_e32 v4, v9, v27
	v_and_b32_e32 v9, v10, v28
	s_waitcnt vmcnt(0)
	v_mad_u64_u32 v[4:5], null, v4, 24, v[25:26]
	v_mad_u64_u32 v[9:10], null, v9, 24, v[5:6]
	v_mov_b32_e32 v5, v9
	global_load_dwordx2 v[25:26], v[4:5], off glc dlc
	s_waitcnt vmcnt(0)
	global_atomic_cmpswap_x2 v[4:5], v6, v[25:28], s[26:27] offset:24 glc
	s_waitcnt vmcnt(0)
	buffer_gl1_inv
	buffer_gl0_inv
	v_cmp_eq_u64_e32 vcc_lo, v[4:5], v[27:28]
	s_or_b32 s19, vcc_lo, s19
	s_andn2_b32 exec_lo, exec_lo, s19
	s_cbranch_execnz .LBB3_724
; %bb.725:                              ;   in Loop: Header=BB3_672 Depth=1
	s_or_b32 exec_lo, exec_lo, s19
.LBB3_726:                              ;   in Loop: Header=BB3_672 Depth=1
	s_or_b32 exec_lo, exec_lo, s18
.LBB3_727:                              ;   in Loop: Header=BB3_672 Depth=1
	s_or_b32 exec_lo, exec_lo, s5
	s_clause 0x1
	global_load_dwordx2 v[9:10], v6, s[26:27] offset:40
	global_load_dwordx4 v[25:28], v6, s[26:27]
	v_readfirstlane_b32 s18, v4
	v_readfirstlane_b32 s19, v5
	s_mov_b32 s5, exec_lo
	s_waitcnt vmcnt(1)
	v_readfirstlane_b32 s20, v9
	v_readfirstlane_b32 s21, v10
	s_and_b64 s[20:21], s[18:19], s[20:21]
	s_mul_i32 s22, s21, 24
	s_mul_hi_u32 s23, s20, 24
	s_mul_i32 s24, s20, 24
	s_add_i32 s23, s23, s22
	s_waitcnt vmcnt(0)
	v_add_co_u32 v29, vcc_lo, v25, s24
	v_add_co_ci_u32_e32 v30, vcc_lo, s23, v26, vcc_lo
	s_and_saveexec_b32 s22, s4
	s_cbranch_execz .LBB3_729
; %bb.728:                              ;   in Loop: Header=BB3_672 Depth=1
	v_mov_b32_e32 v5, s5
	global_store_dwordx4 v[29:30], v[5:8], off offset:8
.LBB3_729:                              ;   in Loop: Header=BB3_672 Depth=1
	s_or_b32 exec_lo, exec_lo, s22
	s_lshl_b64 s[20:21], s[20:21], 12
	v_cmp_gt_u64_e64 vcc_lo, s[10:11], 56
	v_or_b32_e32 v5, v2, v31
	v_add_co_u32 v27, s5, v27, s20
	v_add_co_ci_u32_e64 v28, s5, s21, v28, s5
	s_lshl_b32 s5, s16, 2
	v_or_b32_e32 v4, 0, v3
	v_cndmask_b32_e32 v2, v5, v2, vcc_lo
	s_add_i32 s5, s5, 28
	v_readfirstlane_b32 s20, v27
	s_and_b32 s5, s5, 0x1e0
	v_cndmask_b32_e32 v10, v4, v3, vcc_lo
	v_readfirstlane_b32 s21, v28
	v_and_or_b32 v9, 0xffffff1f, v2, s5
	global_store_dwordx4 v48, v[9:12], s[20:21]
	global_store_dwordx4 v48, v[13:16], s[20:21] offset:16
	global_store_dwordx4 v48, v[17:20], s[20:21] offset:32
	;; [unrolled: 1-line block ×3, first 2 shown]
	s_and_saveexec_b32 s5, s4
	s_cbranch_execz .LBB3_737
; %bb.730:                              ;   in Loop: Header=BB3_672 Depth=1
	s_clause 0x1
	global_load_dwordx2 v[13:14], v6, s[26:27] offset:32 glc dlc
	global_load_dwordx2 v[2:3], v6, s[26:27] offset:40
	v_mov_b32_e32 v11, s18
	v_mov_b32_e32 v12, s19
	s_waitcnt vmcnt(0)
	v_readfirstlane_b32 s20, v2
	v_readfirstlane_b32 s21, v3
	s_and_b64 s[20:21], s[20:21], s[18:19]
	s_mul_i32 s21, s21, 24
	s_mul_hi_u32 s22, s20, 24
	s_mul_i32 s20, s20, 24
	s_add_i32 s22, s22, s21
	v_add_co_u32 v9, vcc_lo, v25, s20
	v_add_co_ci_u32_e32 v10, vcc_lo, s22, v26, vcc_lo
	s_mov_b32 s20, exec_lo
	global_store_dwordx2 v[9:10], v[13:14], off
	s_waitcnt_vscnt null, 0x0
	global_atomic_cmpswap_x2 v[4:5], v6, v[11:14], s[26:27] offset:32 glc
	s_waitcnt vmcnt(0)
	v_cmpx_ne_u64_e64 v[4:5], v[13:14]
	s_cbranch_execz .LBB3_733
; %bb.731:                              ;   in Loop: Header=BB3_672 Depth=1
	s_mov_b32 s21, 0
.LBB3_732:                              ;   Parent Loop BB3_672 Depth=1
                                        ; =>  This Inner Loop Header: Depth=2
	v_mov_b32_e32 v2, s18
	v_mov_b32_e32 v3, s19
	s_sleep 1
	global_store_dwordx2 v[9:10], v[4:5], off
	s_waitcnt_vscnt null, 0x0
	global_atomic_cmpswap_x2 v[2:3], v6, v[2:5], s[26:27] offset:32 glc
	s_waitcnt vmcnt(0)
	v_cmp_eq_u64_e32 vcc_lo, v[2:3], v[4:5]
	v_mov_b32_e32 v5, v3
	v_mov_b32_e32 v4, v2
	s_or_b32 s21, vcc_lo, s21
	s_andn2_b32 exec_lo, exec_lo, s21
	s_cbranch_execnz .LBB3_732
.LBB3_733:                              ;   in Loop: Header=BB3_672 Depth=1
	s_or_b32 exec_lo, exec_lo, s20
	global_load_dwordx2 v[2:3], v6, s[26:27] offset:16
	s_mov_b32 s21, exec_lo
	s_mov_b32 s20, exec_lo
	v_mbcnt_lo_u32_b32 v4, s21, 0
	v_cmpx_eq_u32_e32 0, v4
	s_cbranch_execz .LBB3_735
; %bb.734:                              ;   in Loop: Header=BB3_672 Depth=1
	s_bcnt1_i32_b32 s21, s21
	v_mov_b32_e32 v5, s21
	s_waitcnt vmcnt(0)
	global_atomic_add_x2 v[2:3], v[5:6], off offset:8
.LBB3_735:                              ;   in Loop: Header=BB3_672 Depth=1
	s_or_b32 exec_lo, exec_lo, s20
	s_waitcnt vmcnt(0)
	global_load_dwordx2 v[9:10], v[2:3], off offset:16
	s_waitcnt vmcnt(0)
	v_cmp_eq_u64_e32 vcc_lo, 0, v[9:10]
	s_cbranch_vccnz .LBB3_737
; %bb.736:                              ;   in Loop: Header=BB3_672 Depth=1
	global_load_dword v5, v[2:3], off offset:24
	s_waitcnt vmcnt(0)
	v_and_b32_e32 v2, 0x7fffff, v5
	s_waitcnt_vscnt null, 0x0
	global_store_dwordx2 v[9:10], v[5:6], off
	v_readfirstlane_b32 m0, v2
	s_sendmsg sendmsg(MSG_INTERRUPT)
.LBB3_737:                              ;   in Loop: Header=BB3_672 Depth=1
	s_or_b32 exec_lo, exec_lo, s5
	v_add_co_u32 v2, vcc_lo, v27, v48
	v_add_co_ci_u32_e32 v3, vcc_lo, 0, v28, vcc_lo
	s_branch .LBB3_741
	.p2align	6
.LBB3_738:                              ;   in Loop: Header=BB3_741 Depth=2
	s_or_b32 exec_lo, exec_lo, s5
	v_readfirstlane_b32 s5, v4
	s_cmp_eq_u32 s5, 0
	s_cbranch_scc1 .LBB3_740
; %bb.739:                              ;   in Loop: Header=BB3_741 Depth=2
	s_sleep 1
	s_cbranch_execnz .LBB3_741
	s_branch .LBB3_743
	.p2align	6
.LBB3_740:                              ;   in Loop: Header=BB3_672 Depth=1
	s_branch .LBB3_743
.LBB3_741:                              ;   Parent Loop BB3_672 Depth=1
                                        ; =>  This Inner Loop Header: Depth=2
	v_mov_b32_e32 v4, 1
	s_and_saveexec_b32 s5, s4
	s_cbranch_execz .LBB3_738
; %bb.742:                              ;   in Loop: Header=BB3_741 Depth=2
	global_load_dword v4, v[29:30], off offset:20 glc dlc
	s_waitcnt vmcnt(0)
	buffer_gl1_inv
	buffer_gl0_inv
	v_and_b32_e32 v4, 1, v4
	s_branch .LBB3_738
.LBB3_743:                              ;   in Loop: Header=BB3_672 Depth=1
	global_load_dwordx4 v[2:5], v[2:3], off
	s_and_saveexec_b32 s5, s4
	s_cbranch_execz .LBB3_671
; %bb.744:                              ;   in Loop: Header=BB3_672 Depth=1
	s_clause 0x2
	global_load_dwordx2 v[4:5], v6, s[26:27] offset:40
	global_load_dwordx2 v[13:14], v6, s[26:27] offset:24 glc dlc
	global_load_dwordx2 v[11:12], v6, s[26:27]
	s_waitcnt vmcnt(2)
	v_add_co_u32 v15, vcc_lo, v4, 1
	v_add_co_ci_u32_e32 v16, vcc_lo, 0, v5, vcc_lo
	v_add_co_u32 v9, vcc_lo, v15, s18
	v_add_co_ci_u32_e32 v10, vcc_lo, s19, v16, vcc_lo
	v_cmp_eq_u64_e32 vcc_lo, 0, v[9:10]
	v_cndmask_b32_e32 v10, v10, v16, vcc_lo
	v_cndmask_b32_e32 v9, v9, v15, vcc_lo
	v_and_b32_e32 v5, v10, v5
	v_and_b32_e32 v4, v9, v4
	v_mul_lo_u32 v5, v5, 24
	v_mul_hi_u32 v15, v4, 24
	v_mul_lo_u32 v4, v4, 24
	v_add_nc_u32_e32 v5, v15, v5
	s_waitcnt vmcnt(0)
	v_add_co_u32 v4, vcc_lo, v11, v4
	v_mov_b32_e32 v11, v13
	v_add_co_ci_u32_e32 v5, vcc_lo, v12, v5, vcc_lo
	v_mov_b32_e32 v12, v14
	global_store_dwordx2 v[4:5], v[13:14], off
	s_waitcnt_vscnt null, 0x0
	global_atomic_cmpswap_x2 v[11:12], v6, v[9:12], s[26:27] offset:24 glc
	s_waitcnt vmcnt(0)
	v_cmp_ne_u64_e32 vcc_lo, v[11:12], v[13:14]
	s_and_b32 exec_lo, exec_lo, vcc_lo
	s_cbranch_execz .LBB3_671
; %bb.745:                              ;   in Loop: Header=BB3_672 Depth=1
	s_mov_b32 s4, 0
.LBB3_746:                              ;   Parent Loop BB3_672 Depth=1
                                        ; =>  This Inner Loop Header: Depth=2
	s_sleep 1
	global_store_dwordx2 v[4:5], v[11:12], off
	s_waitcnt_vscnt null, 0x0
	global_atomic_cmpswap_x2 v[13:14], v6, v[9:12], s[26:27] offset:24 glc
	s_waitcnt vmcnt(0)
	v_cmp_eq_u64_e32 vcc_lo, v[13:14], v[11:12]
	v_mov_b32_e32 v11, v13
	v_mov_b32_e32 v12, v14
	s_or_b32 s4, vcc_lo, s4
	s_andn2_b32 exec_lo, exec_lo, s4
	s_cbranch_execnz .LBB3_746
	s_branch .LBB3_671
.LBB3_747:
	s_branch .LBB3_776
.LBB3_748:
                                        ; implicit-def: $vgpr2_vgpr3
	s_cbranch_execz .LBB3_776
; %bb.749:
	v_readfirstlane_b32 s4, v49
	v_mov_b32_e32 v8, 0
	v_mov_b32_e32 v9, 0
	v_cmp_eq_u32_e64 s4, s4, v49
	s_and_saveexec_b32 s5, s4
	s_cbranch_execz .LBB3_755
; %bb.750:
	s_waitcnt vmcnt(0)
	v_mov_b32_e32 v2, 0
	s_mov_b32 s6, exec_lo
	global_load_dwordx2 v[5:6], v2, s[26:27] offset:24 glc dlc
	s_waitcnt vmcnt(0)
	buffer_gl1_inv
	buffer_gl0_inv
	s_clause 0x1
	global_load_dwordx2 v[3:4], v2, s[26:27] offset:40
	global_load_dwordx2 v[7:8], v2, s[26:27]
	s_waitcnt vmcnt(1)
	v_and_b32_e32 v4, v4, v6
	v_and_b32_e32 v3, v3, v5
	v_mul_lo_u32 v4, v4, 24
	v_mul_hi_u32 v9, v3, 24
	v_mul_lo_u32 v3, v3, 24
	v_add_nc_u32_e32 v4, v9, v4
	s_waitcnt vmcnt(0)
	v_add_co_u32 v3, vcc_lo, v7, v3
	v_add_co_ci_u32_e32 v4, vcc_lo, v8, v4, vcc_lo
	global_load_dwordx2 v[3:4], v[3:4], off glc dlc
	s_waitcnt vmcnt(0)
	global_atomic_cmpswap_x2 v[8:9], v2, v[3:6], s[26:27] offset:24 glc
	s_waitcnt vmcnt(0)
	buffer_gl1_inv
	buffer_gl0_inv
	v_cmpx_ne_u64_e64 v[8:9], v[5:6]
	s_cbranch_execz .LBB3_754
; %bb.751:
	s_mov_b32 s7, 0
	.p2align	6
.LBB3_752:                              ; =>This Inner Loop Header: Depth=1
	s_sleep 1
	s_clause 0x1
	global_load_dwordx2 v[3:4], v2, s[26:27] offset:40
	global_load_dwordx2 v[10:11], v2, s[26:27]
	v_mov_b32_e32 v5, v8
	v_mov_b32_e32 v6, v9
	s_waitcnt vmcnt(1)
	v_and_b32_e32 v3, v3, v5
	v_and_b32_e32 v4, v4, v6
	s_waitcnt vmcnt(0)
	v_mad_u64_u32 v[7:8], null, v3, 24, v[10:11]
	v_mov_b32_e32 v3, v8
	v_mad_u64_u32 v[3:4], null, v4, 24, v[3:4]
	v_mov_b32_e32 v8, v3
	global_load_dwordx2 v[3:4], v[7:8], off glc dlc
	s_waitcnt vmcnt(0)
	global_atomic_cmpswap_x2 v[8:9], v2, v[3:6], s[26:27] offset:24 glc
	s_waitcnt vmcnt(0)
	buffer_gl1_inv
	buffer_gl0_inv
	v_cmp_eq_u64_e32 vcc_lo, v[8:9], v[5:6]
	s_or_b32 s7, vcc_lo, s7
	s_andn2_b32 exec_lo, exec_lo, s7
	s_cbranch_execnz .LBB3_752
; %bb.753:
	s_or_b32 exec_lo, exec_lo, s7
.LBB3_754:
	s_or_b32 exec_lo, exec_lo, s6
.LBB3_755:
	s_or_b32 exec_lo, exec_lo, s5
	s_waitcnt vmcnt(0)
	v_mov_b32_e32 v2, 0
	v_readfirstlane_b32 s6, v8
	v_readfirstlane_b32 s7, v9
	s_mov_b32 s5, exec_lo
	s_clause 0x1
	global_load_dwordx2 v[10:11], v2, s[26:27] offset:40
	global_load_dwordx4 v[4:7], v2, s[26:27]
	s_waitcnt vmcnt(1)
	v_readfirstlane_b32 s10, v10
	v_readfirstlane_b32 s11, v11
	s_and_b64 s[10:11], s[6:7], s[10:11]
	s_mul_i32 s16, s11, 24
	s_mul_hi_u32 s17, s10, 24
	s_mul_i32 s18, s10, 24
	s_add_i32 s17, s17, s16
	s_waitcnt vmcnt(0)
	v_add_co_u32 v8, vcc_lo, v4, s18
	v_add_co_ci_u32_e32 v9, vcc_lo, s17, v5, vcc_lo
	s_and_saveexec_b32 s16, s4
	s_cbranch_execz .LBB3_757
; %bb.756:
	v_mov_b32_e32 v10, s5
	v_mov_b32_e32 v11, v2
	;; [unrolled: 1-line block ×4, first 2 shown]
	global_store_dwordx4 v[8:9], v[10:13], off offset:8
.LBB3_757:
	s_or_b32 exec_lo, exec_lo, s16
	s_lshl_b64 s[10:11], s[10:11], 12
	s_mov_b32 s16, 0
	v_add_co_u32 v6, vcc_lo, v6, s10
	v_add_co_ci_u32_e32 v7, vcc_lo, s11, v7, vcc_lo
	s_mov_b32 s17, s16
	v_readfirstlane_b32 s10, v6
	v_add_co_u32 v6, vcc_lo, v6, v48
	s_mov_b32 s18, s16
	s_mov_b32 s19, s16
	v_and_or_b32 v0, 0xffffff1f, v0, 32
	v_mov_b32_e32 v3, v2
	v_readfirstlane_b32 s11, v7
	v_mov_b32_e32 v10, s16
	v_add_co_ci_u32_e32 v7, vcc_lo, 0, v7, vcc_lo
	v_mov_b32_e32 v11, s17
	v_mov_b32_e32 v12, s18
	;; [unrolled: 1-line block ×3, first 2 shown]
	global_store_dwordx4 v48, v[0:3], s[10:11]
	global_store_dwordx4 v48, v[10:13], s[10:11] offset:16
	global_store_dwordx4 v48, v[10:13], s[10:11] offset:32
	;; [unrolled: 1-line block ×3, first 2 shown]
	s_and_saveexec_b32 s5, s4
	s_cbranch_execz .LBB3_765
; %bb.758:
	v_mov_b32_e32 v10, 0
	v_mov_b32_e32 v11, s6
	v_mov_b32_e32 v12, s7
	s_clause 0x1
	global_load_dwordx2 v[13:14], v10, s[26:27] offset:32 glc dlc
	global_load_dwordx2 v[0:1], v10, s[26:27] offset:40
	s_waitcnt vmcnt(0)
	v_readfirstlane_b32 s10, v0
	v_readfirstlane_b32 s11, v1
	s_and_b64 s[10:11], s[10:11], s[6:7]
	s_mul_i32 s11, s11, 24
	s_mul_hi_u32 s16, s10, 24
	s_mul_i32 s10, s10, 24
	s_add_i32 s16, s16, s11
	v_add_co_u32 v4, vcc_lo, v4, s10
	v_add_co_ci_u32_e32 v5, vcc_lo, s16, v5, vcc_lo
	s_mov_b32 s10, exec_lo
	global_store_dwordx2 v[4:5], v[13:14], off
	s_waitcnt_vscnt null, 0x0
	global_atomic_cmpswap_x2 v[2:3], v10, v[11:14], s[26:27] offset:32 glc
	s_waitcnt vmcnt(0)
	v_cmpx_ne_u64_e64 v[2:3], v[13:14]
	s_cbranch_execz .LBB3_761
; %bb.759:
	s_mov_b32 s11, 0
.LBB3_760:                              ; =>This Inner Loop Header: Depth=1
	v_mov_b32_e32 v0, s6
	v_mov_b32_e32 v1, s7
	s_sleep 1
	global_store_dwordx2 v[4:5], v[2:3], off
	s_waitcnt_vscnt null, 0x0
	global_atomic_cmpswap_x2 v[0:1], v10, v[0:3], s[26:27] offset:32 glc
	s_waitcnt vmcnt(0)
	v_cmp_eq_u64_e32 vcc_lo, v[0:1], v[2:3]
	v_mov_b32_e32 v3, v1
	v_mov_b32_e32 v2, v0
	s_or_b32 s11, vcc_lo, s11
	s_andn2_b32 exec_lo, exec_lo, s11
	s_cbranch_execnz .LBB3_760
.LBB3_761:
	s_or_b32 exec_lo, exec_lo, s10
	v_mov_b32_e32 v3, 0
	s_mov_b32 s11, exec_lo
	s_mov_b32 s10, exec_lo
	v_mbcnt_lo_u32_b32 v2, s11, 0
	global_load_dwordx2 v[0:1], v3, s[26:27] offset:16
	v_cmpx_eq_u32_e32 0, v2
	s_cbranch_execz .LBB3_763
; %bb.762:
	s_bcnt1_i32_b32 s11, s11
	v_mov_b32_e32 v2, s11
	s_waitcnt vmcnt(0)
	global_atomic_add_x2 v[0:1], v[2:3], off offset:8
.LBB3_763:
	s_or_b32 exec_lo, exec_lo, s10
	s_waitcnt vmcnt(0)
	global_load_dwordx2 v[2:3], v[0:1], off offset:16
	s_waitcnt vmcnt(0)
	v_cmp_eq_u64_e32 vcc_lo, 0, v[2:3]
	s_cbranch_vccnz .LBB3_765
; %bb.764:
	global_load_dword v0, v[0:1], off offset:24
	v_mov_b32_e32 v1, 0
	s_waitcnt vmcnt(0)
	v_and_b32_e32 v4, 0x7fffff, v0
	s_waitcnt_vscnt null, 0x0
	global_store_dwordx2 v[2:3], v[0:1], off
	v_readfirstlane_b32 m0, v4
	s_sendmsg sendmsg(MSG_INTERRUPT)
.LBB3_765:
	s_or_b32 exec_lo, exec_lo, s5
	s_branch .LBB3_769
	.p2align	6
.LBB3_766:                              ;   in Loop: Header=BB3_769 Depth=1
	s_or_b32 exec_lo, exec_lo, s5
	v_readfirstlane_b32 s5, v0
	s_cmp_eq_u32 s5, 0
	s_cbranch_scc1 .LBB3_768
; %bb.767:                              ;   in Loop: Header=BB3_769 Depth=1
	s_sleep 1
	s_cbranch_execnz .LBB3_769
	s_branch .LBB3_771
	.p2align	6
.LBB3_768:
	s_branch .LBB3_771
.LBB3_769:                              ; =>This Inner Loop Header: Depth=1
	v_mov_b32_e32 v0, 1
	s_and_saveexec_b32 s5, s4
	s_cbranch_execz .LBB3_766
; %bb.770:                              ;   in Loop: Header=BB3_769 Depth=1
	global_load_dword v0, v[8:9], off offset:20 glc dlc
	s_waitcnt vmcnt(0)
	buffer_gl1_inv
	buffer_gl0_inv
	v_and_b32_e32 v0, 1, v0
	s_branch .LBB3_766
.LBB3_771:
	global_load_dwordx2 v[2:3], v[6:7], off
	s_and_saveexec_b32 s5, s4
	s_cbranch_execz .LBB3_775
; %bb.772:
	v_mov_b32_e32 v8, 0
	s_clause 0x2
	global_load_dwordx2 v[0:1], v8, s[26:27] offset:40
	global_load_dwordx2 v[9:10], v8, s[26:27] offset:24 glc dlc
	global_load_dwordx2 v[6:7], v8, s[26:27]
	s_waitcnt vmcnt(2)
	v_add_co_u32 v11, vcc_lo, v0, 1
	v_add_co_ci_u32_e32 v12, vcc_lo, 0, v1, vcc_lo
	v_add_co_u32 v4, vcc_lo, v11, s6
	v_add_co_ci_u32_e32 v5, vcc_lo, s7, v12, vcc_lo
	v_cmp_eq_u64_e32 vcc_lo, 0, v[4:5]
	v_cndmask_b32_e32 v5, v5, v12, vcc_lo
	v_cndmask_b32_e32 v4, v4, v11, vcc_lo
	v_and_b32_e32 v1, v5, v1
	v_and_b32_e32 v0, v4, v0
	v_mul_lo_u32 v1, v1, 24
	v_mul_hi_u32 v11, v0, 24
	v_mul_lo_u32 v0, v0, 24
	v_add_nc_u32_e32 v1, v11, v1
	s_waitcnt vmcnt(0)
	v_add_co_u32 v0, vcc_lo, v6, v0
	v_mov_b32_e32 v6, v9
	v_add_co_ci_u32_e32 v1, vcc_lo, v7, v1, vcc_lo
	v_mov_b32_e32 v7, v10
	global_store_dwordx2 v[0:1], v[9:10], off
	s_waitcnt_vscnt null, 0x0
	global_atomic_cmpswap_x2 v[6:7], v8, v[4:7], s[26:27] offset:24 glc
	s_waitcnt vmcnt(0)
	v_cmp_ne_u64_e32 vcc_lo, v[6:7], v[9:10]
	s_and_b32 exec_lo, exec_lo, vcc_lo
	s_cbranch_execz .LBB3_775
; %bb.773:
	s_mov_b32 s4, 0
.LBB3_774:                              ; =>This Inner Loop Header: Depth=1
	s_sleep 1
	global_store_dwordx2 v[0:1], v[6:7], off
	s_waitcnt_vscnt null, 0x0
	global_atomic_cmpswap_x2 v[9:10], v8, v[4:7], s[26:27] offset:24 glc
	s_waitcnt vmcnt(0)
	v_cmp_eq_u64_e32 vcc_lo, v[9:10], v[6:7]
	v_mov_b32_e32 v6, v9
	v_mov_b32_e32 v7, v10
	s_or_b32 s4, vcc_lo, s4
	s_andn2_b32 exec_lo, exec_lo, s4
	s_cbranch_execnz .LBB3_774
.LBB3_775:
	s_or_b32 exec_lo, exec_lo, s5
.LBB3_776:
	v_readfirstlane_b32 s4, v49
	s_waitcnt vmcnt(0)
	v_mov_b32_e32 v0, 0
	v_mov_b32_e32 v1, 0
	v_cmp_eq_u32_e64 s4, s4, v49
	s_and_saveexec_b32 s5, s4
	s_cbranch_execz .LBB3_782
; %bb.777:
	v_mov_b32_e32 v4, 0
	s_mov_b32 s6, exec_lo
	global_load_dwordx2 v[7:8], v4, s[26:27] offset:24 glc dlc
	s_waitcnt vmcnt(0)
	buffer_gl1_inv
	buffer_gl0_inv
	s_clause 0x1
	global_load_dwordx2 v[0:1], v4, s[26:27] offset:40
	global_load_dwordx2 v[5:6], v4, s[26:27]
	s_waitcnt vmcnt(1)
	v_and_b32_e32 v1, v1, v8
	v_and_b32_e32 v0, v0, v7
	v_mul_lo_u32 v1, v1, 24
	v_mul_hi_u32 v9, v0, 24
	v_mul_lo_u32 v0, v0, 24
	v_add_nc_u32_e32 v1, v9, v1
	s_waitcnt vmcnt(0)
	v_add_co_u32 v0, vcc_lo, v5, v0
	v_add_co_ci_u32_e32 v1, vcc_lo, v6, v1, vcc_lo
	global_load_dwordx2 v[5:6], v[0:1], off glc dlc
	s_waitcnt vmcnt(0)
	global_atomic_cmpswap_x2 v[0:1], v4, v[5:8], s[26:27] offset:24 glc
	s_waitcnt vmcnt(0)
	buffer_gl1_inv
	buffer_gl0_inv
	v_cmpx_ne_u64_e64 v[0:1], v[7:8]
	s_cbranch_execz .LBB3_781
; %bb.778:
	s_mov_b32 s7, 0
	.p2align	6
.LBB3_779:                              ; =>This Inner Loop Header: Depth=1
	s_sleep 1
	s_clause 0x1
	global_load_dwordx2 v[5:6], v4, s[26:27] offset:40
	global_load_dwordx2 v[9:10], v4, s[26:27]
	v_mov_b32_e32 v8, v1
	v_mov_b32_e32 v7, v0
	s_waitcnt vmcnt(1)
	v_and_b32_e32 v0, v5, v7
	v_and_b32_e32 v5, v6, v8
	s_waitcnt vmcnt(0)
	v_mad_u64_u32 v[0:1], null, v0, 24, v[9:10]
	v_mad_u64_u32 v[5:6], null, v5, 24, v[1:2]
	v_mov_b32_e32 v1, v5
	global_load_dwordx2 v[5:6], v[0:1], off glc dlc
	s_waitcnt vmcnt(0)
	global_atomic_cmpswap_x2 v[0:1], v4, v[5:8], s[26:27] offset:24 glc
	s_waitcnt vmcnt(0)
	buffer_gl1_inv
	buffer_gl0_inv
	v_cmp_eq_u64_e32 vcc_lo, v[0:1], v[7:8]
	s_or_b32 s7, vcc_lo, s7
	s_andn2_b32 exec_lo, exec_lo, s7
	s_cbranch_execnz .LBB3_779
; %bb.780:
	s_or_b32 exec_lo, exec_lo, s7
.LBB3_781:
	s_or_b32 exec_lo, exec_lo, s6
.LBB3_782:
	s_or_b32 exec_lo, exec_lo, s5
	v_mov_b32_e32 v5, 0
	v_readfirstlane_b32 s6, v0
	v_readfirstlane_b32 s7, v1
	s_mov_b32 s5, exec_lo
	s_clause 0x1
	global_load_dwordx2 v[10:11], v5, s[26:27] offset:40
	global_load_dwordx4 v[6:9], v5, s[26:27]
	s_waitcnt vmcnt(1)
	v_readfirstlane_b32 s10, v10
	v_readfirstlane_b32 s11, v11
	s_and_b64 s[10:11], s[6:7], s[10:11]
	s_mul_i32 s16, s11, 24
	s_mul_hi_u32 s17, s10, 24
	s_mul_i32 s18, s10, 24
	s_add_i32 s17, s17, s16
	s_waitcnt vmcnt(0)
	v_add_co_u32 v10, vcc_lo, v6, s18
	v_add_co_ci_u32_e32 v11, vcc_lo, s17, v7, vcc_lo
	s_and_saveexec_b32 s16, s4
	s_cbranch_execz .LBB3_784
; %bb.783:
	v_mov_b32_e32 v4, s5
	v_mov_b32_e32 v13, v5
	;; [unrolled: 1-line block ×5, first 2 shown]
	global_store_dwordx4 v[10:11], v[12:15], off offset:8
.LBB3_784:
	s_or_b32 exec_lo, exec_lo, s16
	s_lshl_b64 s[10:11], s[10:11], 12
	s_mov_b32 s16, 0
	v_add_co_u32 v0, vcc_lo, v8, s10
	v_add_co_ci_u32_e32 v1, vcc_lo, s11, v9, vcc_lo
	s_mov_b32 s17, s16
	s_mov_b32 s18, s16
	;; [unrolled: 1-line block ×3, first 2 shown]
	v_and_or_b32 v2, 0xffffff1d, v2, 34
	v_mov_b32_e32 v4, 58
	v_readfirstlane_b32 s10, v0
	v_readfirstlane_b32 s11, v1
	v_mov_b32_e32 v12, s16
	v_mov_b32_e32 v13, s17
	;; [unrolled: 1-line block ×4, first 2 shown]
	global_store_dwordx4 v48, v[2:5], s[10:11]
	global_store_dwordx4 v48, v[12:15], s[10:11] offset:16
	global_store_dwordx4 v48, v[12:15], s[10:11] offset:32
	;; [unrolled: 1-line block ×3, first 2 shown]
	s_and_saveexec_b32 s5, s4
	s_cbranch_execz .LBB3_792
; %bb.785:
	v_mov_b32_e32 v8, 0
	v_mov_b32_e32 v12, s6
	;; [unrolled: 1-line block ×3, first 2 shown]
	s_clause 0x1
	global_load_dwordx2 v[14:15], v8, s[26:27] offset:32 glc dlc
	global_load_dwordx2 v[0:1], v8, s[26:27] offset:40
	s_waitcnt vmcnt(0)
	v_readfirstlane_b32 s10, v0
	v_readfirstlane_b32 s11, v1
	s_and_b64 s[10:11], s[10:11], s[6:7]
	s_mul_i32 s11, s11, 24
	s_mul_hi_u32 s16, s10, 24
	s_mul_i32 s10, s10, 24
	s_add_i32 s16, s16, s11
	v_add_co_u32 v4, vcc_lo, v6, s10
	v_add_co_ci_u32_e32 v5, vcc_lo, s16, v7, vcc_lo
	s_mov_b32 s10, exec_lo
	global_store_dwordx2 v[4:5], v[14:15], off
	s_waitcnt_vscnt null, 0x0
	global_atomic_cmpswap_x2 v[2:3], v8, v[12:15], s[26:27] offset:32 glc
	s_waitcnt vmcnt(0)
	v_cmpx_ne_u64_e64 v[2:3], v[14:15]
	s_cbranch_execz .LBB3_788
; %bb.786:
	s_mov_b32 s11, 0
.LBB3_787:                              ; =>This Inner Loop Header: Depth=1
	v_mov_b32_e32 v0, s6
	v_mov_b32_e32 v1, s7
	s_sleep 1
	global_store_dwordx2 v[4:5], v[2:3], off
	s_waitcnt_vscnt null, 0x0
	global_atomic_cmpswap_x2 v[0:1], v8, v[0:3], s[26:27] offset:32 glc
	s_waitcnt vmcnt(0)
	v_cmp_eq_u64_e32 vcc_lo, v[0:1], v[2:3]
	v_mov_b32_e32 v3, v1
	v_mov_b32_e32 v2, v0
	s_or_b32 s11, vcc_lo, s11
	s_andn2_b32 exec_lo, exec_lo, s11
	s_cbranch_execnz .LBB3_787
.LBB3_788:
	s_or_b32 exec_lo, exec_lo, s10
	v_mov_b32_e32 v3, 0
	s_mov_b32 s11, exec_lo
	s_mov_b32 s10, exec_lo
	v_mbcnt_lo_u32_b32 v2, s11, 0
	global_load_dwordx2 v[0:1], v3, s[26:27] offset:16
	v_cmpx_eq_u32_e32 0, v2
	s_cbranch_execz .LBB3_790
; %bb.789:
	s_bcnt1_i32_b32 s11, s11
	v_mov_b32_e32 v2, s11
	s_waitcnt vmcnt(0)
	global_atomic_add_x2 v[0:1], v[2:3], off offset:8
.LBB3_790:
	s_or_b32 exec_lo, exec_lo, s10
	s_waitcnt vmcnt(0)
	global_load_dwordx2 v[2:3], v[0:1], off offset:16
	s_waitcnt vmcnt(0)
	v_cmp_eq_u64_e32 vcc_lo, 0, v[2:3]
	s_cbranch_vccnz .LBB3_792
; %bb.791:
	global_load_dword v0, v[0:1], off offset:24
	v_mov_b32_e32 v1, 0
	s_waitcnt vmcnt(0)
	v_and_b32_e32 v4, 0x7fffff, v0
	s_waitcnt_vscnt null, 0x0
	global_store_dwordx2 v[2:3], v[0:1], off
	v_readfirstlane_b32 m0, v4
	s_sendmsg sendmsg(MSG_INTERRUPT)
.LBB3_792:
	s_or_b32 exec_lo, exec_lo, s5
	s_branch .LBB3_796
	.p2align	6
.LBB3_793:                              ;   in Loop: Header=BB3_796 Depth=1
	s_or_b32 exec_lo, exec_lo, s5
	v_readfirstlane_b32 s5, v0
	s_cmp_eq_u32 s5, 0
	s_cbranch_scc1 .LBB3_795
; %bb.794:                              ;   in Loop: Header=BB3_796 Depth=1
	s_sleep 1
	s_cbranch_execnz .LBB3_796
	s_branch .LBB3_798
	.p2align	6
.LBB3_795:
	s_branch .LBB3_798
.LBB3_796:                              ; =>This Inner Loop Header: Depth=1
	v_mov_b32_e32 v0, 1
	s_and_saveexec_b32 s5, s4
	s_cbranch_execz .LBB3_793
; %bb.797:                              ;   in Loop: Header=BB3_796 Depth=1
	global_load_dword v0, v[10:11], off offset:20 glc dlc
	s_waitcnt vmcnt(0)
	buffer_gl1_inv
	buffer_gl0_inv
	v_and_b32_e32 v0, 1, v0
	s_branch .LBB3_793
.LBB3_798:
	s_and_saveexec_b32 s5, s4
	s_cbranch_execz .LBB3_802
; %bb.799:
	v_mov_b32_e32 v6, 0
	s_clause 0x2
	global_load_dwordx2 v[2:3], v6, s[26:27] offset:40
	global_load_dwordx2 v[7:8], v6, s[26:27] offset:24 glc dlc
	global_load_dwordx2 v[4:5], v6, s[26:27]
	s_waitcnt vmcnt(2)
	v_add_co_u32 v9, vcc_lo, v2, 1
	v_add_co_ci_u32_e32 v10, vcc_lo, 0, v3, vcc_lo
	v_add_co_u32 v0, vcc_lo, v9, s6
	v_add_co_ci_u32_e32 v1, vcc_lo, s7, v10, vcc_lo
	v_cmp_eq_u64_e32 vcc_lo, 0, v[0:1]
	v_cndmask_b32_e32 v1, v1, v10, vcc_lo
	v_cndmask_b32_e32 v0, v0, v9, vcc_lo
	v_and_b32_e32 v3, v1, v3
	v_and_b32_e32 v2, v0, v2
	v_mul_lo_u32 v3, v3, 24
	v_mul_hi_u32 v9, v2, 24
	v_mul_lo_u32 v2, v2, 24
	v_add_nc_u32_e32 v3, v9, v3
	s_waitcnt vmcnt(0)
	v_add_co_u32 v4, vcc_lo, v4, v2
	v_mov_b32_e32 v2, v7
	v_add_co_ci_u32_e32 v5, vcc_lo, v5, v3, vcc_lo
	v_mov_b32_e32 v3, v8
	global_store_dwordx2 v[4:5], v[7:8], off
	s_waitcnt_vscnt null, 0x0
	global_atomic_cmpswap_x2 v[2:3], v6, v[0:3], s[26:27] offset:24 glc
	s_waitcnt vmcnt(0)
	v_cmp_ne_u64_e32 vcc_lo, v[2:3], v[7:8]
	s_and_b32 exec_lo, exec_lo, vcc_lo
	s_cbranch_execz .LBB3_802
; %bb.800:
	s_mov_b32 s4, 0
.LBB3_801:                              ; =>This Inner Loop Header: Depth=1
	s_sleep 1
	global_store_dwordx2 v[4:5], v[2:3], off
	s_waitcnt_vscnt null, 0x0
	global_atomic_cmpswap_x2 v[7:8], v6, v[0:3], s[26:27] offset:24 glc
	s_waitcnt vmcnt(0)
	v_cmp_eq_u64_e32 vcc_lo, v[7:8], v[2:3]
	v_mov_b32_e32 v2, v7
	v_mov_b32_e32 v3, v8
	s_or_b32 s4, vcc_lo, s4
	s_andn2_b32 exec_lo, exec_lo, s4
	s_cbranch_execnz .LBB3_801
.LBB3_802:
	s_or_b32 exec_lo, exec_lo, s5
	v_readfirstlane_b32 s4, v49
	v_mov_b32_e32 v6, 0
	v_mov_b32_e32 v7, 0
	v_cmp_eq_u32_e64 s4, s4, v49
	s_and_saveexec_b32 s5, s4
	s_cbranch_execz .LBB3_808
; %bb.803:
	v_mov_b32_e32 v0, 0
	s_mov_b32 s6, exec_lo
	global_load_dwordx2 v[3:4], v0, s[26:27] offset:24 glc dlc
	s_waitcnt vmcnt(0)
	buffer_gl1_inv
	buffer_gl0_inv
	s_clause 0x1
	global_load_dwordx2 v[1:2], v0, s[26:27] offset:40
	global_load_dwordx2 v[5:6], v0, s[26:27]
	s_waitcnt vmcnt(1)
	v_and_b32_e32 v2, v2, v4
	v_and_b32_e32 v1, v1, v3
	v_mul_lo_u32 v2, v2, 24
	v_mul_hi_u32 v7, v1, 24
	v_mul_lo_u32 v1, v1, 24
	v_add_nc_u32_e32 v2, v7, v2
	s_waitcnt vmcnt(0)
	v_add_co_u32 v1, vcc_lo, v5, v1
	v_add_co_ci_u32_e32 v2, vcc_lo, v6, v2, vcc_lo
	global_load_dwordx2 v[1:2], v[1:2], off glc dlc
	s_waitcnt vmcnt(0)
	global_atomic_cmpswap_x2 v[6:7], v0, v[1:4], s[26:27] offset:24 glc
	s_waitcnt vmcnt(0)
	buffer_gl1_inv
	buffer_gl0_inv
	v_cmpx_ne_u64_e64 v[6:7], v[3:4]
	s_cbranch_execz .LBB3_807
; %bb.804:
	s_mov_b32 s7, 0
	.p2align	6
.LBB3_805:                              ; =>This Inner Loop Header: Depth=1
	s_sleep 1
	s_clause 0x1
	global_load_dwordx2 v[1:2], v0, s[26:27] offset:40
	global_load_dwordx2 v[8:9], v0, s[26:27]
	v_mov_b32_e32 v3, v6
	v_mov_b32_e32 v4, v7
	s_waitcnt vmcnt(1)
	v_and_b32_e32 v1, v1, v3
	v_and_b32_e32 v2, v2, v4
	s_waitcnt vmcnt(0)
	v_mad_u64_u32 v[5:6], null, v1, 24, v[8:9]
	v_mov_b32_e32 v1, v6
	v_mad_u64_u32 v[1:2], null, v2, 24, v[1:2]
	v_mov_b32_e32 v6, v1
	global_load_dwordx2 v[1:2], v[5:6], off glc dlc
	s_waitcnt vmcnt(0)
	global_atomic_cmpswap_x2 v[6:7], v0, v[1:4], s[26:27] offset:24 glc
	s_waitcnt vmcnt(0)
	buffer_gl1_inv
	buffer_gl0_inv
	v_cmp_eq_u64_e32 vcc_lo, v[6:7], v[3:4]
	s_or_b32 s7, vcc_lo, s7
	s_andn2_b32 exec_lo, exec_lo, s7
	s_cbranch_execnz .LBB3_805
; %bb.806:
	s_or_b32 exec_lo, exec_lo, s7
.LBB3_807:
	s_or_b32 exec_lo, exec_lo, s6
.LBB3_808:
	s_or_b32 exec_lo, exec_lo, s5
	v_mov_b32_e32 v5, 0
	v_readfirstlane_b32 s6, v6
	v_readfirstlane_b32 s7, v7
	s_mov_b32 s5, exec_lo
	s_clause 0x1
	global_load_dwordx2 v[8:9], v5, s[26:27] offset:40
	global_load_dwordx4 v[0:3], v5, s[26:27]
	s_waitcnt vmcnt(1)
	v_readfirstlane_b32 s10, v8
	v_readfirstlane_b32 s11, v9
	s_and_b64 s[10:11], s[6:7], s[10:11]
	s_mul_i32 s16, s11, 24
	s_mul_hi_u32 s17, s10, 24
	s_mul_i32 s18, s10, 24
	s_add_i32 s17, s17, s16
	s_waitcnt vmcnt(0)
	v_add_co_u32 v8, vcc_lo, v0, s18
	v_add_co_ci_u32_e32 v9, vcc_lo, s17, v1, vcc_lo
	s_and_saveexec_b32 s16, s4
	s_cbranch_execz .LBB3_810
; %bb.809:
	v_mov_b32_e32 v4, s5
	v_mov_b32_e32 v6, 2
	;; [unrolled: 1-line block ×3, first 2 shown]
	global_store_dwordx4 v[8:9], v[4:7], off offset:8
.LBB3_810:
	s_or_b32 exec_lo, exec_lo, s16
	s_lshl_b64 s[10:11], s[10:11], 12
	s_mov_b32 s16, 0
	v_add_co_u32 v2, vcc_lo, v2, s10
	v_add_co_ci_u32_e32 v3, vcc_lo, s11, v3, vcc_lo
	s_mov_b32 s17, s16
	v_add_co_u32 v10, vcc_lo, v2, v48
	s_mov_b32 s18, s16
	s_mov_b32 s19, s16
	v_mov_b32_e32 v4, 33
	v_mov_b32_e32 v6, v5
	;; [unrolled: 1-line block ×3, first 2 shown]
	v_readfirstlane_b32 s10, v2
	v_readfirstlane_b32 s11, v3
	v_mov_b32_e32 v12, s16
	v_add_co_ci_u32_e32 v11, vcc_lo, 0, v3, vcc_lo
	v_mov_b32_e32 v13, s17
	v_mov_b32_e32 v14, s18
	;; [unrolled: 1-line block ×3, first 2 shown]
	global_store_dwordx4 v48, v[4:7], s[10:11]
	global_store_dwordx4 v48, v[12:15], s[10:11] offset:16
	global_store_dwordx4 v48, v[12:15], s[10:11] offset:32
	;; [unrolled: 1-line block ×3, first 2 shown]
	s_and_saveexec_b32 s5, s4
	s_cbranch_execz .LBB3_818
; %bb.811:
	v_mov_b32_e32 v6, 0
	v_mov_b32_e32 v12, s6
	;; [unrolled: 1-line block ×3, first 2 shown]
	s_clause 0x1
	global_load_dwordx2 v[14:15], v6, s[26:27] offset:32 glc dlc
	global_load_dwordx2 v[2:3], v6, s[26:27] offset:40
	s_waitcnt vmcnt(0)
	v_readfirstlane_b32 s10, v2
	v_readfirstlane_b32 s11, v3
	s_and_b64 s[10:11], s[10:11], s[6:7]
	s_mul_i32 s11, s11, 24
	s_mul_hi_u32 s16, s10, 24
	s_mul_i32 s10, s10, 24
	s_add_i32 s16, s16, s11
	v_add_co_u32 v4, vcc_lo, v0, s10
	v_add_co_ci_u32_e32 v5, vcc_lo, s16, v1, vcc_lo
	s_mov_b32 s10, exec_lo
	global_store_dwordx2 v[4:5], v[14:15], off
	s_waitcnt_vscnt null, 0x0
	global_atomic_cmpswap_x2 v[2:3], v6, v[12:15], s[26:27] offset:32 glc
	s_waitcnt vmcnt(0)
	v_cmpx_ne_u64_e64 v[2:3], v[14:15]
	s_cbranch_execz .LBB3_814
; %bb.812:
	s_mov_b32 s11, 0
.LBB3_813:                              ; =>This Inner Loop Header: Depth=1
	v_mov_b32_e32 v0, s6
	v_mov_b32_e32 v1, s7
	s_sleep 1
	global_store_dwordx2 v[4:5], v[2:3], off
	s_waitcnt_vscnt null, 0x0
	global_atomic_cmpswap_x2 v[0:1], v6, v[0:3], s[26:27] offset:32 glc
	s_waitcnt vmcnt(0)
	v_cmp_eq_u64_e32 vcc_lo, v[0:1], v[2:3]
	v_mov_b32_e32 v3, v1
	v_mov_b32_e32 v2, v0
	s_or_b32 s11, vcc_lo, s11
	s_andn2_b32 exec_lo, exec_lo, s11
	s_cbranch_execnz .LBB3_813
.LBB3_814:
	s_or_b32 exec_lo, exec_lo, s10
	v_mov_b32_e32 v3, 0
	s_mov_b32 s11, exec_lo
	s_mov_b32 s10, exec_lo
	v_mbcnt_lo_u32_b32 v2, s11, 0
	global_load_dwordx2 v[0:1], v3, s[26:27] offset:16
	v_cmpx_eq_u32_e32 0, v2
	s_cbranch_execz .LBB3_816
; %bb.815:
	s_bcnt1_i32_b32 s11, s11
	v_mov_b32_e32 v2, s11
	s_waitcnt vmcnt(0)
	global_atomic_add_x2 v[0:1], v[2:3], off offset:8
.LBB3_816:
	s_or_b32 exec_lo, exec_lo, s10
	s_waitcnt vmcnt(0)
	global_load_dwordx2 v[2:3], v[0:1], off offset:16
	s_waitcnt vmcnt(0)
	v_cmp_eq_u64_e32 vcc_lo, 0, v[2:3]
	s_cbranch_vccnz .LBB3_818
; %bb.817:
	global_load_dword v0, v[0:1], off offset:24
	v_mov_b32_e32 v1, 0
	s_waitcnt vmcnt(0)
	v_and_b32_e32 v4, 0x7fffff, v0
	s_waitcnt_vscnt null, 0x0
	global_store_dwordx2 v[2:3], v[0:1], off
	v_readfirstlane_b32 m0, v4
	s_sendmsg sendmsg(MSG_INTERRUPT)
.LBB3_818:
	s_or_b32 exec_lo, exec_lo, s5
	s_branch .LBB3_822
	.p2align	6
.LBB3_819:                              ;   in Loop: Header=BB3_822 Depth=1
	s_or_b32 exec_lo, exec_lo, s5
	v_readfirstlane_b32 s5, v0
	s_cmp_eq_u32 s5, 0
	s_cbranch_scc1 .LBB3_821
; %bb.820:                              ;   in Loop: Header=BB3_822 Depth=1
	s_sleep 1
	s_cbranch_execnz .LBB3_822
	s_branch .LBB3_824
	.p2align	6
.LBB3_821:
	s_branch .LBB3_824
.LBB3_822:                              ; =>This Inner Loop Header: Depth=1
	v_mov_b32_e32 v0, 1
	s_and_saveexec_b32 s5, s4
	s_cbranch_execz .LBB3_819
; %bb.823:                              ;   in Loop: Header=BB3_822 Depth=1
	global_load_dword v0, v[8:9], off offset:20 glc dlc
	s_waitcnt vmcnt(0)
	buffer_gl1_inv
	buffer_gl0_inv
	v_and_b32_e32 v0, 1, v0
	s_branch .LBB3_819
.LBB3_824:
	global_load_dwordx2 v[0:1], v[10:11], off
	s_and_saveexec_b32 s5, s4
	s_cbranch_execz .LBB3_828
; %bb.825:
	v_mov_b32_e32 v8, 0
	s_clause 0x2
	global_load_dwordx2 v[4:5], v8, s[26:27] offset:40
	global_load_dwordx2 v[9:10], v8, s[26:27] offset:24 glc dlc
	global_load_dwordx2 v[6:7], v8, s[26:27]
	s_waitcnt vmcnt(2)
	v_add_co_u32 v11, vcc_lo, v4, 1
	v_add_co_ci_u32_e32 v12, vcc_lo, 0, v5, vcc_lo
	v_add_co_u32 v2, vcc_lo, v11, s6
	v_add_co_ci_u32_e32 v3, vcc_lo, s7, v12, vcc_lo
	v_cmp_eq_u64_e32 vcc_lo, 0, v[2:3]
	v_cndmask_b32_e32 v3, v3, v12, vcc_lo
	v_cndmask_b32_e32 v2, v2, v11, vcc_lo
	v_and_b32_e32 v5, v3, v5
	v_and_b32_e32 v4, v2, v4
	v_mul_lo_u32 v5, v5, 24
	v_mul_hi_u32 v11, v4, 24
	v_mul_lo_u32 v4, v4, 24
	v_add_nc_u32_e32 v5, v11, v5
	s_waitcnt vmcnt(0)
	v_add_co_u32 v6, vcc_lo, v6, v4
	v_mov_b32_e32 v4, v9
	v_add_co_ci_u32_e32 v7, vcc_lo, v7, v5, vcc_lo
	v_mov_b32_e32 v5, v10
	global_store_dwordx2 v[6:7], v[9:10], off
	s_waitcnt_vscnt null, 0x0
	global_atomic_cmpswap_x2 v[4:5], v8, v[2:5], s[26:27] offset:24 glc
	s_waitcnt vmcnt(0)
	v_cmp_ne_u64_e32 vcc_lo, v[4:5], v[9:10]
	s_and_b32 exec_lo, exec_lo, vcc_lo
	s_cbranch_execz .LBB3_828
; %bb.826:
	s_mov_b32 s4, 0
.LBB3_827:                              ; =>This Inner Loop Header: Depth=1
	s_sleep 1
	global_store_dwordx2 v[6:7], v[4:5], off
	s_waitcnt_vscnt null, 0x0
	global_atomic_cmpswap_x2 v[9:10], v8, v[2:5], s[26:27] offset:24 glc
	s_waitcnt vmcnt(0)
	v_cmp_eq_u64_e32 vcc_lo, v[9:10], v[4:5]
	v_mov_b32_e32 v4, v9
	v_mov_b32_e32 v5, v10
	s_or_b32 s4, vcc_lo, s4
	s_andn2_b32 exec_lo, exec_lo, s4
	s_cbranch_execnz .LBB3_827
.LBB3_828:
	s_or_b32 exec_lo, exec_lo, s5
	s_getpc_b64 s[6:7]
	s_add_u32 s6, s6, .str.7@rel32@lo+4
	s_addc_u32 s7, s7, .str.7@rel32@hi+12
	s_cmp_lg_u64 s[6:7], 0
	s_cbranch_scc0 .LBB3_907
; %bb.829:
	s_waitcnt vmcnt(0)
	v_and_b32_e32 v31, 2, v0
	v_mov_b32_e32 v6, 0
	v_and_b32_e32 v2, -3, v0
	v_mov_b32_e32 v3, v1
	v_mov_b32_e32 v7, 2
	;; [unrolled: 1-line block ×3, first 2 shown]
	s_mov_b64 s[10:11], 4
	s_branch .LBB3_831
.LBB3_830:                              ;   in Loop: Header=BB3_831 Depth=1
	s_or_b32 exec_lo, exec_lo, s5
	s_sub_u32 s10, s10, s16
	s_subb_u32 s11, s11, s17
	s_add_u32 s6, s6, s16
	s_addc_u32 s7, s7, s17
	s_cmp_lg_u64 s[10:11], 0
	s_cbranch_scc0 .LBB3_906
.LBB3_831:                              ; =>This Loop Header: Depth=1
                                        ;     Child Loop BB3_840 Depth 2
                                        ;     Child Loop BB3_836 Depth 2
                                        ;     Child Loop BB3_848 Depth 2
                                        ;     Child Loop BB3_855 Depth 2
                                        ;     Child Loop BB3_862 Depth 2
                                        ;     Child Loop BB3_869 Depth 2
                                        ;     Child Loop BB3_876 Depth 2
                                        ;     Child Loop BB3_883 Depth 2
                                        ;     Child Loop BB3_891 Depth 2
                                        ;     Child Loop BB3_900 Depth 2
                                        ;     Child Loop BB3_905 Depth 2
	v_cmp_lt_u64_e64 s4, s[10:11], 56
	v_cmp_gt_u64_e64 s5, s[10:11], 7
                                        ; implicit-def: $vgpr11_vgpr12
                                        ; implicit-def: $sgpr22
	s_and_b32 s4, s4, exec_lo
	s_cselect_b32 s17, s11, 0
	s_cselect_b32 s16, s10, 56
	s_and_b32 vcc_lo, exec_lo, s5
	s_mov_b32 s4, -1
	s_cbranch_vccz .LBB3_838
; %bb.832:                              ;   in Loop: Header=BB3_831 Depth=1
	s_andn2_b32 vcc_lo, exec_lo, s4
	s_mov_b64 s[4:5], s[6:7]
	s_cbranch_vccz .LBB3_842
.LBB3_833:                              ;   in Loop: Header=BB3_831 Depth=1
	s_cmp_gt_u32 s22, 7
	s_cbranch_scc1 .LBB3_843
.LBB3_834:                              ;   in Loop: Header=BB3_831 Depth=1
	v_mov_b32_e32 v13, 0
	v_mov_b32_e32 v14, 0
	s_cmp_eq_u32 s22, 0
	s_cbranch_scc1 .LBB3_837
; %bb.835:                              ;   in Loop: Header=BB3_831 Depth=1
	s_mov_b64 s[18:19], 0
	s_mov_b64 s[20:21], 0
.LBB3_836:                              ;   Parent Loop BB3_831 Depth=1
                                        ; =>  This Inner Loop Header: Depth=2
	s_add_u32 s24, s4, s20
	s_addc_u32 s25, s5, s21
	s_add_u32 s20, s20, 1
	global_load_ubyte v4, v6, s[24:25]
	s_addc_u32 s21, s21, 0
	s_waitcnt vmcnt(0)
	v_and_b32_e32 v5, 0xffff, v4
	v_lshlrev_b64 v[4:5], s18, v[5:6]
	s_add_u32 s18, s18, 8
	s_addc_u32 s19, s19, 0
	s_cmp_lg_u32 s22, s20
	v_or_b32_e32 v13, v4, v13
	v_or_b32_e32 v14, v5, v14
	s_cbranch_scc1 .LBB3_836
.LBB3_837:                              ;   in Loop: Header=BB3_831 Depth=1
	s_mov_b32 s23, 0
	s_cbranch_execz .LBB3_844
	s_branch .LBB3_845
.LBB3_838:                              ;   in Loop: Header=BB3_831 Depth=1
	v_mov_b32_e32 v11, 0
	v_mov_b32_e32 v12, 0
	s_cmp_eq_u64 s[10:11], 0
	s_mov_b64 s[4:5], 0
	s_cbranch_scc1 .LBB3_841
; %bb.839:                              ;   in Loop: Header=BB3_831 Depth=1
	v_mov_b32_e32 v11, 0
	v_mov_b32_e32 v12, 0
	s_lshl_b64 s[18:19], s[16:17], 3
	s_mov_b64 s[20:21], s[6:7]
.LBB3_840:                              ;   Parent Loop BB3_831 Depth=1
                                        ; =>  This Inner Loop Header: Depth=2
	global_load_ubyte v4, v6, s[20:21]
	s_waitcnt vmcnt(0)
	v_and_b32_e32 v5, 0xffff, v4
	v_lshlrev_b64 v[4:5], s4, v[5:6]
	s_add_u32 s4, s4, 8
	s_addc_u32 s5, s5, 0
	s_add_u32 s20, s20, 1
	s_addc_u32 s21, s21, 0
	s_cmp_lg_u32 s18, s4
	v_or_b32_e32 v11, v4, v11
	v_or_b32_e32 v12, v5, v12
	s_cbranch_scc1 .LBB3_840
.LBB3_841:                              ;   in Loop: Header=BB3_831 Depth=1
	s_mov_b32 s22, 0
	s_mov_b64 s[4:5], s[6:7]
	s_cbranch_execnz .LBB3_833
.LBB3_842:                              ;   in Loop: Header=BB3_831 Depth=1
	global_load_dwordx2 v[11:12], v6, s[6:7]
	s_add_i32 s22, s16, -8
	s_add_u32 s4, s6, 8
	s_addc_u32 s5, s7, 0
	s_cmp_gt_u32 s22, 7
	s_cbranch_scc0 .LBB3_834
.LBB3_843:                              ;   in Loop: Header=BB3_831 Depth=1
                                        ; implicit-def: $vgpr13_vgpr14
                                        ; implicit-def: $sgpr23
.LBB3_844:                              ;   in Loop: Header=BB3_831 Depth=1
	global_load_dwordx2 v[13:14], v6, s[4:5]
	s_add_i32 s23, s22, -8
	s_add_u32 s4, s4, 8
	s_addc_u32 s5, s5, 0
.LBB3_845:                              ;   in Loop: Header=BB3_831 Depth=1
	s_cmp_gt_u32 s23, 7
	s_cbranch_scc1 .LBB3_850
; %bb.846:                              ;   in Loop: Header=BB3_831 Depth=1
	v_mov_b32_e32 v15, 0
	v_mov_b32_e32 v16, 0
	s_cmp_eq_u32 s23, 0
	s_cbranch_scc1 .LBB3_849
; %bb.847:                              ;   in Loop: Header=BB3_831 Depth=1
	s_mov_b64 s[18:19], 0
	s_mov_b64 s[20:21], 0
.LBB3_848:                              ;   Parent Loop BB3_831 Depth=1
                                        ; =>  This Inner Loop Header: Depth=2
	s_add_u32 s24, s4, s20
	s_addc_u32 s25, s5, s21
	s_add_u32 s20, s20, 1
	global_load_ubyte v4, v6, s[24:25]
	s_addc_u32 s21, s21, 0
	s_waitcnt vmcnt(0)
	v_and_b32_e32 v5, 0xffff, v4
	v_lshlrev_b64 v[4:5], s18, v[5:6]
	s_add_u32 s18, s18, 8
	s_addc_u32 s19, s19, 0
	s_cmp_lg_u32 s23, s20
	v_or_b32_e32 v15, v4, v15
	v_or_b32_e32 v16, v5, v16
	s_cbranch_scc1 .LBB3_848
.LBB3_849:                              ;   in Loop: Header=BB3_831 Depth=1
	s_mov_b32 s22, 0
	s_cbranch_execz .LBB3_851
	s_branch .LBB3_852
.LBB3_850:                              ;   in Loop: Header=BB3_831 Depth=1
                                        ; implicit-def: $sgpr22
.LBB3_851:                              ;   in Loop: Header=BB3_831 Depth=1
	global_load_dwordx2 v[15:16], v6, s[4:5]
	s_add_i32 s22, s23, -8
	s_add_u32 s4, s4, 8
	s_addc_u32 s5, s5, 0
.LBB3_852:                              ;   in Loop: Header=BB3_831 Depth=1
	s_cmp_gt_u32 s22, 7
	s_cbranch_scc1 .LBB3_857
; %bb.853:                              ;   in Loop: Header=BB3_831 Depth=1
	v_mov_b32_e32 v17, 0
	v_mov_b32_e32 v18, 0
	s_cmp_eq_u32 s22, 0
	s_cbranch_scc1 .LBB3_856
; %bb.854:                              ;   in Loop: Header=BB3_831 Depth=1
	s_mov_b64 s[18:19], 0
	s_mov_b64 s[20:21], 0
.LBB3_855:                              ;   Parent Loop BB3_831 Depth=1
                                        ; =>  This Inner Loop Header: Depth=2
	s_add_u32 s24, s4, s20
	s_addc_u32 s25, s5, s21
	s_add_u32 s20, s20, 1
	global_load_ubyte v4, v6, s[24:25]
	s_addc_u32 s21, s21, 0
	s_waitcnt vmcnt(0)
	v_and_b32_e32 v5, 0xffff, v4
	v_lshlrev_b64 v[4:5], s18, v[5:6]
	s_add_u32 s18, s18, 8
	s_addc_u32 s19, s19, 0
	s_cmp_lg_u32 s22, s20
	v_or_b32_e32 v17, v4, v17
	v_or_b32_e32 v18, v5, v18
	s_cbranch_scc1 .LBB3_855
.LBB3_856:                              ;   in Loop: Header=BB3_831 Depth=1
	s_mov_b32 s23, 0
	s_cbranch_execz .LBB3_858
	s_branch .LBB3_859
.LBB3_857:                              ;   in Loop: Header=BB3_831 Depth=1
                                        ; implicit-def: $vgpr17_vgpr18
                                        ; implicit-def: $sgpr23
.LBB3_858:                              ;   in Loop: Header=BB3_831 Depth=1
	global_load_dwordx2 v[17:18], v6, s[4:5]
	s_add_i32 s23, s22, -8
	s_add_u32 s4, s4, 8
	s_addc_u32 s5, s5, 0
.LBB3_859:                              ;   in Loop: Header=BB3_831 Depth=1
	s_cmp_gt_u32 s23, 7
	s_cbranch_scc1 .LBB3_864
; %bb.860:                              ;   in Loop: Header=BB3_831 Depth=1
	v_mov_b32_e32 v19, 0
	v_mov_b32_e32 v20, 0
	s_cmp_eq_u32 s23, 0
	s_cbranch_scc1 .LBB3_863
; %bb.861:                              ;   in Loop: Header=BB3_831 Depth=1
	s_mov_b64 s[18:19], 0
	s_mov_b64 s[20:21], 0
.LBB3_862:                              ;   Parent Loop BB3_831 Depth=1
                                        ; =>  This Inner Loop Header: Depth=2
	s_add_u32 s24, s4, s20
	s_addc_u32 s25, s5, s21
	s_add_u32 s20, s20, 1
	global_load_ubyte v4, v6, s[24:25]
	s_addc_u32 s21, s21, 0
	s_waitcnt vmcnt(0)
	v_and_b32_e32 v5, 0xffff, v4
	v_lshlrev_b64 v[4:5], s18, v[5:6]
	s_add_u32 s18, s18, 8
	s_addc_u32 s19, s19, 0
	s_cmp_lg_u32 s23, s20
	v_or_b32_e32 v19, v4, v19
	v_or_b32_e32 v20, v5, v20
	s_cbranch_scc1 .LBB3_862
.LBB3_863:                              ;   in Loop: Header=BB3_831 Depth=1
	s_mov_b32 s22, 0
	s_cbranch_execz .LBB3_865
	s_branch .LBB3_866
.LBB3_864:                              ;   in Loop: Header=BB3_831 Depth=1
                                        ; implicit-def: $sgpr22
.LBB3_865:                              ;   in Loop: Header=BB3_831 Depth=1
	global_load_dwordx2 v[19:20], v6, s[4:5]
	s_add_i32 s22, s23, -8
	s_add_u32 s4, s4, 8
	s_addc_u32 s5, s5, 0
.LBB3_866:                              ;   in Loop: Header=BB3_831 Depth=1
	s_cmp_gt_u32 s22, 7
	s_cbranch_scc1 .LBB3_871
; %bb.867:                              ;   in Loop: Header=BB3_831 Depth=1
	v_mov_b32_e32 v21, 0
	v_mov_b32_e32 v22, 0
	s_cmp_eq_u32 s22, 0
	s_cbranch_scc1 .LBB3_870
; %bb.868:                              ;   in Loop: Header=BB3_831 Depth=1
	s_mov_b64 s[18:19], 0
	s_mov_b64 s[20:21], 0
.LBB3_869:                              ;   Parent Loop BB3_831 Depth=1
                                        ; =>  This Inner Loop Header: Depth=2
	s_add_u32 s24, s4, s20
	s_addc_u32 s25, s5, s21
	s_add_u32 s20, s20, 1
	global_load_ubyte v4, v6, s[24:25]
	s_addc_u32 s21, s21, 0
	s_waitcnt vmcnt(0)
	v_and_b32_e32 v5, 0xffff, v4
	v_lshlrev_b64 v[4:5], s18, v[5:6]
	s_add_u32 s18, s18, 8
	s_addc_u32 s19, s19, 0
	s_cmp_lg_u32 s22, s20
	v_or_b32_e32 v21, v4, v21
	v_or_b32_e32 v22, v5, v22
	s_cbranch_scc1 .LBB3_869
.LBB3_870:                              ;   in Loop: Header=BB3_831 Depth=1
	s_mov_b32 s23, 0
	s_cbranch_execz .LBB3_872
	s_branch .LBB3_873
.LBB3_871:                              ;   in Loop: Header=BB3_831 Depth=1
                                        ; implicit-def: $vgpr21_vgpr22
                                        ; implicit-def: $sgpr23
.LBB3_872:                              ;   in Loop: Header=BB3_831 Depth=1
	global_load_dwordx2 v[21:22], v6, s[4:5]
	s_add_i32 s23, s22, -8
	s_add_u32 s4, s4, 8
	s_addc_u32 s5, s5, 0
.LBB3_873:                              ;   in Loop: Header=BB3_831 Depth=1
	s_cmp_gt_u32 s23, 7
	s_cbranch_scc1 .LBB3_878
; %bb.874:                              ;   in Loop: Header=BB3_831 Depth=1
	v_mov_b32_e32 v23, 0
	v_mov_b32_e32 v24, 0
	s_cmp_eq_u32 s23, 0
	s_cbranch_scc1 .LBB3_877
; %bb.875:                              ;   in Loop: Header=BB3_831 Depth=1
	s_mov_b64 s[18:19], 0
	s_mov_b64 s[20:21], s[4:5]
.LBB3_876:                              ;   Parent Loop BB3_831 Depth=1
                                        ; =>  This Inner Loop Header: Depth=2
	global_load_ubyte v4, v6, s[20:21]
	s_add_i32 s23, s23, -1
	s_waitcnt vmcnt(0)
	v_and_b32_e32 v5, 0xffff, v4
	v_lshlrev_b64 v[4:5], s18, v[5:6]
	s_add_u32 s18, s18, 8
	s_addc_u32 s19, s19, 0
	s_add_u32 s20, s20, 1
	s_addc_u32 s21, s21, 0
	s_cmp_lg_u32 s23, 0
	v_or_b32_e32 v23, v4, v23
	v_or_b32_e32 v24, v5, v24
	s_cbranch_scc1 .LBB3_876
.LBB3_877:                              ;   in Loop: Header=BB3_831 Depth=1
	s_cbranch_execz .LBB3_879
	s_branch .LBB3_880
.LBB3_878:                              ;   in Loop: Header=BB3_831 Depth=1
.LBB3_879:                              ;   in Loop: Header=BB3_831 Depth=1
	global_load_dwordx2 v[23:24], v6, s[4:5]
.LBB3_880:                              ;   in Loop: Header=BB3_831 Depth=1
	v_readfirstlane_b32 s4, v49
	s_waitcnt vmcnt(0)
	v_mov_b32_e32 v4, 0
	v_mov_b32_e32 v5, 0
	v_cmp_eq_u32_e64 s4, s4, v49
	s_and_saveexec_b32 s5, s4
	s_cbranch_execz .LBB3_886
; %bb.881:                              ;   in Loop: Header=BB3_831 Depth=1
	global_load_dwordx2 v[27:28], v6, s[26:27] offset:24 glc dlc
	s_waitcnt vmcnt(0)
	buffer_gl1_inv
	buffer_gl0_inv
	s_clause 0x1
	global_load_dwordx2 v[4:5], v6, s[26:27] offset:40
	global_load_dwordx2 v[9:10], v6, s[26:27]
	s_mov_b32 s18, exec_lo
	s_waitcnt vmcnt(1)
	v_and_b32_e32 v5, v5, v28
	v_and_b32_e32 v4, v4, v27
	v_mul_lo_u32 v5, v5, 24
	v_mul_hi_u32 v25, v4, 24
	v_mul_lo_u32 v4, v4, 24
	v_add_nc_u32_e32 v5, v25, v5
	s_waitcnt vmcnt(0)
	v_add_co_u32 v4, vcc_lo, v9, v4
	v_add_co_ci_u32_e32 v5, vcc_lo, v10, v5, vcc_lo
	global_load_dwordx2 v[25:26], v[4:5], off glc dlc
	s_waitcnt vmcnt(0)
	global_atomic_cmpswap_x2 v[4:5], v6, v[25:28], s[26:27] offset:24 glc
	s_waitcnt vmcnt(0)
	buffer_gl1_inv
	buffer_gl0_inv
	v_cmpx_ne_u64_e64 v[4:5], v[27:28]
	s_cbranch_execz .LBB3_885
; %bb.882:                              ;   in Loop: Header=BB3_831 Depth=1
	s_mov_b32 s19, 0
	.p2align	6
.LBB3_883:                              ;   Parent Loop BB3_831 Depth=1
                                        ; =>  This Inner Loop Header: Depth=2
	s_sleep 1
	s_clause 0x1
	global_load_dwordx2 v[9:10], v6, s[26:27] offset:40
	global_load_dwordx2 v[25:26], v6, s[26:27]
	v_mov_b32_e32 v28, v5
	v_mov_b32_e32 v27, v4
	s_waitcnt vmcnt(1)
	v_and_b32_e32 v4, v9, v27
	v_and_b32_e32 v9, v10, v28
	s_waitcnt vmcnt(0)
	v_mad_u64_u32 v[4:5], null, v4, 24, v[25:26]
	v_mad_u64_u32 v[9:10], null, v9, 24, v[5:6]
	v_mov_b32_e32 v5, v9
	global_load_dwordx2 v[25:26], v[4:5], off glc dlc
	s_waitcnt vmcnt(0)
	global_atomic_cmpswap_x2 v[4:5], v6, v[25:28], s[26:27] offset:24 glc
	s_waitcnt vmcnt(0)
	buffer_gl1_inv
	buffer_gl0_inv
	v_cmp_eq_u64_e32 vcc_lo, v[4:5], v[27:28]
	s_or_b32 s19, vcc_lo, s19
	s_andn2_b32 exec_lo, exec_lo, s19
	s_cbranch_execnz .LBB3_883
; %bb.884:                              ;   in Loop: Header=BB3_831 Depth=1
	s_or_b32 exec_lo, exec_lo, s19
.LBB3_885:                              ;   in Loop: Header=BB3_831 Depth=1
	s_or_b32 exec_lo, exec_lo, s18
.LBB3_886:                              ;   in Loop: Header=BB3_831 Depth=1
	s_or_b32 exec_lo, exec_lo, s5
	s_clause 0x1
	global_load_dwordx2 v[9:10], v6, s[26:27] offset:40
	global_load_dwordx4 v[25:28], v6, s[26:27]
	v_readfirstlane_b32 s18, v4
	v_readfirstlane_b32 s19, v5
	s_mov_b32 s5, exec_lo
	s_waitcnt vmcnt(1)
	v_readfirstlane_b32 s20, v9
	v_readfirstlane_b32 s21, v10
	s_and_b64 s[20:21], s[18:19], s[20:21]
	s_mul_i32 s22, s21, 24
	s_mul_hi_u32 s23, s20, 24
	s_mul_i32 s24, s20, 24
	s_add_i32 s23, s23, s22
	s_waitcnt vmcnt(0)
	v_add_co_u32 v29, vcc_lo, v25, s24
	v_add_co_ci_u32_e32 v30, vcc_lo, s23, v26, vcc_lo
	s_and_saveexec_b32 s22, s4
	s_cbranch_execz .LBB3_888
; %bb.887:                              ;   in Loop: Header=BB3_831 Depth=1
	v_mov_b32_e32 v5, s5
	global_store_dwordx4 v[29:30], v[5:8], off offset:8
.LBB3_888:                              ;   in Loop: Header=BB3_831 Depth=1
	s_or_b32 exec_lo, exec_lo, s22
	s_lshl_b64 s[20:21], s[20:21], 12
	v_cmp_gt_u64_e64 vcc_lo, s[10:11], 56
	v_or_b32_e32 v5, v2, v31
	v_add_co_u32 v27, s5, v27, s20
	v_add_co_ci_u32_e64 v28, s5, s21, v28, s5
	s_lshl_b32 s5, s16, 2
	v_or_b32_e32 v4, 0, v3
	v_cndmask_b32_e32 v2, v5, v2, vcc_lo
	s_add_i32 s5, s5, 28
	v_readfirstlane_b32 s20, v27
	s_and_b32 s5, s5, 0x1e0
	v_cndmask_b32_e32 v10, v4, v3, vcc_lo
	v_readfirstlane_b32 s21, v28
	v_and_or_b32 v9, 0xffffff1f, v2, s5
	global_store_dwordx4 v48, v[9:12], s[20:21]
	global_store_dwordx4 v48, v[13:16], s[20:21] offset:16
	global_store_dwordx4 v48, v[17:20], s[20:21] offset:32
	;; [unrolled: 1-line block ×3, first 2 shown]
	s_and_saveexec_b32 s5, s4
	s_cbranch_execz .LBB3_896
; %bb.889:                              ;   in Loop: Header=BB3_831 Depth=1
	s_clause 0x1
	global_load_dwordx2 v[13:14], v6, s[26:27] offset:32 glc dlc
	global_load_dwordx2 v[2:3], v6, s[26:27] offset:40
	v_mov_b32_e32 v11, s18
	v_mov_b32_e32 v12, s19
	s_waitcnt vmcnt(0)
	v_readfirstlane_b32 s20, v2
	v_readfirstlane_b32 s21, v3
	s_and_b64 s[20:21], s[20:21], s[18:19]
	s_mul_i32 s21, s21, 24
	s_mul_hi_u32 s22, s20, 24
	s_mul_i32 s20, s20, 24
	s_add_i32 s22, s22, s21
	v_add_co_u32 v9, vcc_lo, v25, s20
	v_add_co_ci_u32_e32 v10, vcc_lo, s22, v26, vcc_lo
	s_mov_b32 s20, exec_lo
	global_store_dwordx2 v[9:10], v[13:14], off
	s_waitcnt_vscnt null, 0x0
	global_atomic_cmpswap_x2 v[4:5], v6, v[11:14], s[26:27] offset:32 glc
	s_waitcnt vmcnt(0)
	v_cmpx_ne_u64_e64 v[4:5], v[13:14]
	s_cbranch_execz .LBB3_892
; %bb.890:                              ;   in Loop: Header=BB3_831 Depth=1
	s_mov_b32 s21, 0
.LBB3_891:                              ;   Parent Loop BB3_831 Depth=1
                                        ; =>  This Inner Loop Header: Depth=2
	v_mov_b32_e32 v2, s18
	v_mov_b32_e32 v3, s19
	s_sleep 1
	global_store_dwordx2 v[9:10], v[4:5], off
	s_waitcnt_vscnt null, 0x0
	global_atomic_cmpswap_x2 v[2:3], v6, v[2:5], s[26:27] offset:32 glc
	s_waitcnt vmcnt(0)
	v_cmp_eq_u64_e32 vcc_lo, v[2:3], v[4:5]
	v_mov_b32_e32 v5, v3
	v_mov_b32_e32 v4, v2
	s_or_b32 s21, vcc_lo, s21
	s_andn2_b32 exec_lo, exec_lo, s21
	s_cbranch_execnz .LBB3_891
.LBB3_892:                              ;   in Loop: Header=BB3_831 Depth=1
	s_or_b32 exec_lo, exec_lo, s20
	global_load_dwordx2 v[2:3], v6, s[26:27] offset:16
	s_mov_b32 s21, exec_lo
	s_mov_b32 s20, exec_lo
	v_mbcnt_lo_u32_b32 v4, s21, 0
	v_cmpx_eq_u32_e32 0, v4
	s_cbranch_execz .LBB3_894
; %bb.893:                              ;   in Loop: Header=BB3_831 Depth=1
	s_bcnt1_i32_b32 s21, s21
	v_mov_b32_e32 v5, s21
	s_waitcnt vmcnt(0)
	global_atomic_add_x2 v[2:3], v[5:6], off offset:8
.LBB3_894:                              ;   in Loop: Header=BB3_831 Depth=1
	s_or_b32 exec_lo, exec_lo, s20
	s_waitcnt vmcnt(0)
	global_load_dwordx2 v[9:10], v[2:3], off offset:16
	s_waitcnt vmcnt(0)
	v_cmp_eq_u64_e32 vcc_lo, 0, v[9:10]
	s_cbranch_vccnz .LBB3_896
; %bb.895:                              ;   in Loop: Header=BB3_831 Depth=1
	global_load_dword v5, v[2:3], off offset:24
	s_waitcnt vmcnt(0)
	v_and_b32_e32 v2, 0x7fffff, v5
	s_waitcnt_vscnt null, 0x0
	global_store_dwordx2 v[9:10], v[5:6], off
	v_readfirstlane_b32 m0, v2
	s_sendmsg sendmsg(MSG_INTERRUPT)
.LBB3_896:                              ;   in Loop: Header=BB3_831 Depth=1
	s_or_b32 exec_lo, exec_lo, s5
	v_add_co_u32 v2, vcc_lo, v27, v48
	v_add_co_ci_u32_e32 v3, vcc_lo, 0, v28, vcc_lo
	s_branch .LBB3_900
	.p2align	6
.LBB3_897:                              ;   in Loop: Header=BB3_900 Depth=2
	s_or_b32 exec_lo, exec_lo, s5
	v_readfirstlane_b32 s5, v4
	s_cmp_eq_u32 s5, 0
	s_cbranch_scc1 .LBB3_899
; %bb.898:                              ;   in Loop: Header=BB3_900 Depth=2
	s_sleep 1
	s_cbranch_execnz .LBB3_900
	s_branch .LBB3_902
	.p2align	6
.LBB3_899:                              ;   in Loop: Header=BB3_831 Depth=1
	s_branch .LBB3_902
.LBB3_900:                              ;   Parent Loop BB3_831 Depth=1
                                        ; =>  This Inner Loop Header: Depth=2
	v_mov_b32_e32 v4, 1
	s_and_saveexec_b32 s5, s4
	s_cbranch_execz .LBB3_897
; %bb.901:                              ;   in Loop: Header=BB3_900 Depth=2
	global_load_dword v4, v[29:30], off offset:20 glc dlc
	s_waitcnt vmcnt(0)
	buffer_gl1_inv
	buffer_gl0_inv
	v_and_b32_e32 v4, 1, v4
	s_branch .LBB3_897
.LBB3_902:                              ;   in Loop: Header=BB3_831 Depth=1
	global_load_dwordx4 v[2:5], v[2:3], off
	s_and_saveexec_b32 s5, s4
	s_cbranch_execz .LBB3_830
; %bb.903:                              ;   in Loop: Header=BB3_831 Depth=1
	s_clause 0x2
	global_load_dwordx2 v[4:5], v6, s[26:27] offset:40
	global_load_dwordx2 v[13:14], v6, s[26:27] offset:24 glc dlc
	global_load_dwordx2 v[11:12], v6, s[26:27]
	s_waitcnt vmcnt(2)
	v_add_co_u32 v15, vcc_lo, v4, 1
	v_add_co_ci_u32_e32 v16, vcc_lo, 0, v5, vcc_lo
	v_add_co_u32 v9, vcc_lo, v15, s18
	v_add_co_ci_u32_e32 v10, vcc_lo, s19, v16, vcc_lo
	v_cmp_eq_u64_e32 vcc_lo, 0, v[9:10]
	v_cndmask_b32_e32 v10, v10, v16, vcc_lo
	v_cndmask_b32_e32 v9, v9, v15, vcc_lo
	v_and_b32_e32 v5, v10, v5
	v_and_b32_e32 v4, v9, v4
	v_mul_lo_u32 v5, v5, 24
	v_mul_hi_u32 v15, v4, 24
	v_mul_lo_u32 v4, v4, 24
	v_add_nc_u32_e32 v5, v15, v5
	s_waitcnt vmcnt(0)
	v_add_co_u32 v4, vcc_lo, v11, v4
	v_mov_b32_e32 v11, v13
	v_add_co_ci_u32_e32 v5, vcc_lo, v12, v5, vcc_lo
	v_mov_b32_e32 v12, v14
	global_store_dwordx2 v[4:5], v[13:14], off
	s_waitcnt_vscnt null, 0x0
	global_atomic_cmpswap_x2 v[11:12], v6, v[9:12], s[26:27] offset:24 glc
	s_waitcnt vmcnt(0)
	v_cmp_ne_u64_e32 vcc_lo, v[11:12], v[13:14]
	s_and_b32 exec_lo, exec_lo, vcc_lo
	s_cbranch_execz .LBB3_830
; %bb.904:                              ;   in Loop: Header=BB3_831 Depth=1
	s_mov_b32 s4, 0
.LBB3_905:                              ;   Parent Loop BB3_831 Depth=1
                                        ; =>  This Inner Loop Header: Depth=2
	s_sleep 1
	global_store_dwordx2 v[4:5], v[11:12], off
	s_waitcnt_vscnt null, 0x0
	global_atomic_cmpswap_x2 v[13:14], v6, v[9:12], s[26:27] offset:24 glc
	s_waitcnt vmcnt(0)
	v_cmp_eq_u64_e32 vcc_lo, v[13:14], v[11:12]
	v_mov_b32_e32 v11, v13
	v_mov_b32_e32 v12, v14
	s_or_b32 s4, vcc_lo, s4
	s_andn2_b32 exec_lo, exec_lo, s4
	s_cbranch_execnz .LBB3_905
	s_branch .LBB3_830
.LBB3_906:
	s_branch .LBB3_935
.LBB3_907:
                                        ; implicit-def: $vgpr2_vgpr3
	s_cbranch_execz .LBB3_935
; %bb.908:
	v_readfirstlane_b32 s4, v49
	v_mov_b32_e32 v8, 0
	v_mov_b32_e32 v9, 0
	v_cmp_eq_u32_e64 s4, s4, v49
	s_and_saveexec_b32 s5, s4
	s_cbranch_execz .LBB3_914
; %bb.909:
	s_waitcnt vmcnt(0)
	v_mov_b32_e32 v2, 0
	s_mov_b32 s6, exec_lo
	global_load_dwordx2 v[5:6], v2, s[26:27] offset:24 glc dlc
	s_waitcnt vmcnt(0)
	buffer_gl1_inv
	buffer_gl0_inv
	s_clause 0x1
	global_load_dwordx2 v[3:4], v2, s[26:27] offset:40
	global_load_dwordx2 v[7:8], v2, s[26:27]
	s_waitcnt vmcnt(1)
	v_and_b32_e32 v4, v4, v6
	v_and_b32_e32 v3, v3, v5
	v_mul_lo_u32 v4, v4, 24
	v_mul_hi_u32 v9, v3, 24
	v_mul_lo_u32 v3, v3, 24
	v_add_nc_u32_e32 v4, v9, v4
	s_waitcnt vmcnt(0)
	v_add_co_u32 v3, vcc_lo, v7, v3
	v_add_co_ci_u32_e32 v4, vcc_lo, v8, v4, vcc_lo
	global_load_dwordx2 v[3:4], v[3:4], off glc dlc
	s_waitcnt vmcnt(0)
	global_atomic_cmpswap_x2 v[8:9], v2, v[3:6], s[26:27] offset:24 glc
	s_waitcnt vmcnt(0)
	buffer_gl1_inv
	buffer_gl0_inv
	v_cmpx_ne_u64_e64 v[8:9], v[5:6]
	s_cbranch_execz .LBB3_913
; %bb.910:
	s_mov_b32 s7, 0
	.p2align	6
.LBB3_911:                              ; =>This Inner Loop Header: Depth=1
	s_sleep 1
	s_clause 0x1
	global_load_dwordx2 v[3:4], v2, s[26:27] offset:40
	global_load_dwordx2 v[10:11], v2, s[26:27]
	v_mov_b32_e32 v5, v8
	v_mov_b32_e32 v6, v9
	s_waitcnt vmcnt(1)
	v_and_b32_e32 v3, v3, v5
	v_and_b32_e32 v4, v4, v6
	s_waitcnt vmcnt(0)
	v_mad_u64_u32 v[7:8], null, v3, 24, v[10:11]
	v_mov_b32_e32 v3, v8
	v_mad_u64_u32 v[3:4], null, v4, 24, v[3:4]
	v_mov_b32_e32 v8, v3
	global_load_dwordx2 v[3:4], v[7:8], off glc dlc
	s_waitcnt vmcnt(0)
	global_atomic_cmpswap_x2 v[8:9], v2, v[3:6], s[26:27] offset:24 glc
	s_waitcnt vmcnt(0)
	buffer_gl1_inv
	buffer_gl0_inv
	v_cmp_eq_u64_e32 vcc_lo, v[8:9], v[5:6]
	s_or_b32 s7, vcc_lo, s7
	s_andn2_b32 exec_lo, exec_lo, s7
	s_cbranch_execnz .LBB3_911
; %bb.912:
	s_or_b32 exec_lo, exec_lo, s7
.LBB3_913:
	s_or_b32 exec_lo, exec_lo, s6
.LBB3_914:
	s_or_b32 exec_lo, exec_lo, s5
	s_waitcnt vmcnt(0)
	v_mov_b32_e32 v2, 0
	v_readfirstlane_b32 s6, v8
	v_readfirstlane_b32 s7, v9
	s_mov_b32 s5, exec_lo
	s_clause 0x1
	global_load_dwordx2 v[10:11], v2, s[26:27] offset:40
	global_load_dwordx4 v[4:7], v2, s[26:27]
	s_waitcnt vmcnt(1)
	v_readfirstlane_b32 s10, v10
	v_readfirstlane_b32 s11, v11
	s_and_b64 s[10:11], s[6:7], s[10:11]
	s_mul_i32 s16, s11, 24
	s_mul_hi_u32 s17, s10, 24
	s_mul_i32 s18, s10, 24
	s_add_i32 s17, s17, s16
	s_waitcnt vmcnt(0)
	v_add_co_u32 v8, vcc_lo, v4, s18
	v_add_co_ci_u32_e32 v9, vcc_lo, s17, v5, vcc_lo
	s_and_saveexec_b32 s16, s4
	s_cbranch_execz .LBB3_916
; %bb.915:
	v_mov_b32_e32 v10, s5
	v_mov_b32_e32 v11, v2
	;; [unrolled: 1-line block ×4, first 2 shown]
	global_store_dwordx4 v[8:9], v[10:13], off offset:8
.LBB3_916:
	s_or_b32 exec_lo, exec_lo, s16
	s_lshl_b64 s[10:11], s[10:11], 12
	s_mov_b32 s16, 0
	v_add_co_u32 v6, vcc_lo, v6, s10
	v_add_co_ci_u32_e32 v7, vcc_lo, s11, v7, vcc_lo
	s_mov_b32 s17, s16
	v_readfirstlane_b32 s10, v6
	v_add_co_u32 v6, vcc_lo, v6, v48
	s_mov_b32 s18, s16
	s_mov_b32 s19, s16
	v_and_or_b32 v0, 0xffffff1f, v0, 32
	v_mov_b32_e32 v3, v2
	v_readfirstlane_b32 s11, v7
	v_mov_b32_e32 v10, s16
	v_add_co_ci_u32_e32 v7, vcc_lo, 0, v7, vcc_lo
	v_mov_b32_e32 v11, s17
	v_mov_b32_e32 v12, s18
	;; [unrolled: 1-line block ×3, first 2 shown]
	global_store_dwordx4 v48, v[0:3], s[10:11]
	global_store_dwordx4 v48, v[10:13], s[10:11] offset:16
	global_store_dwordx4 v48, v[10:13], s[10:11] offset:32
	;; [unrolled: 1-line block ×3, first 2 shown]
	s_and_saveexec_b32 s5, s4
	s_cbranch_execz .LBB3_924
; %bb.917:
	v_mov_b32_e32 v10, 0
	v_mov_b32_e32 v11, s6
	;; [unrolled: 1-line block ×3, first 2 shown]
	s_clause 0x1
	global_load_dwordx2 v[13:14], v10, s[26:27] offset:32 glc dlc
	global_load_dwordx2 v[0:1], v10, s[26:27] offset:40
	s_waitcnt vmcnt(0)
	v_readfirstlane_b32 s10, v0
	v_readfirstlane_b32 s11, v1
	s_and_b64 s[10:11], s[10:11], s[6:7]
	s_mul_i32 s11, s11, 24
	s_mul_hi_u32 s16, s10, 24
	s_mul_i32 s10, s10, 24
	s_add_i32 s16, s16, s11
	v_add_co_u32 v4, vcc_lo, v4, s10
	v_add_co_ci_u32_e32 v5, vcc_lo, s16, v5, vcc_lo
	s_mov_b32 s10, exec_lo
	global_store_dwordx2 v[4:5], v[13:14], off
	s_waitcnt_vscnt null, 0x0
	global_atomic_cmpswap_x2 v[2:3], v10, v[11:14], s[26:27] offset:32 glc
	s_waitcnt vmcnt(0)
	v_cmpx_ne_u64_e64 v[2:3], v[13:14]
	s_cbranch_execz .LBB3_920
; %bb.918:
	s_mov_b32 s11, 0
.LBB3_919:                              ; =>This Inner Loop Header: Depth=1
	v_mov_b32_e32 v0, s6
	v_mov_b32_e32 v1, s7
	s_sleep 1
	global_store_dwordx2 v[4:5], v[2:3], off
	s_waitcnt_vscnt null, 0x0
	global_atomic_cmpswap_x2 v[0:1], v10, v[0:3], s[26:27] offset:32 glc
	s_waitcnt vmcnt(0)
	v_cmp_eq_u64_e32 vcc_lo, v[0:1], v[2:3]
	v_mov_b32_e32 v3, v1
	v_mov_b32_e32 v2, v0
	s_or_b32 s11, vcc_lo, s11
	s_andn2_b32 exec_lo, exec_lo, s11
	s_cbranch_execnz .LBB3_919
.LBB3_920:
	s_or_b32 exec_lo, exec_lo, s10
	v_mov_b32_e32 v3, 0
	s_mov_b32 s11, exec_lo
	s_mov_b32 s10, exec_lo
	v_mbcnt_lo_u32_b32 v2, s11, 0
	global_load_dwordx2 v[0:1], v3, s[26:27] offset:16
	v_cmpx_eq_u32_e32 0, v2
	s_cbranch_execz .LBB3_922
; %bb.921:
	s_bcnt1_i32_b32 s11, s11
	v_mov_b32_e32 v2, s11
	s_waitcnt vmcnt(0)
	global_atomic_add_x2 v[0:1], v[2:3], off offset:8
.LBB3_922:
	s_or_b32 exec_lo, exec_lo, s10
	s_waitcnt vmcnt(0)
	global_load_dwordx2 v[2:3], v[0:1], off offset:16
	s_waitcnt vmcnt(0)
	v_cmp_eq_u64_e32 vcc_lo, 0, v[2:3]
	s_cbranch_vccnz .LBB3_924
; %bb.923:
	global_load_dword v0, v[0:1], off offset:24
	v_mov_b32_e32 v1, 0
	s_waitcnt vmcnt(0)
	v_and_b32_e32 v4, 0x7fffff, v0
	s_waitcnt_vscnt null, 0x0
	global_store_dwordx2 v[2:3], v[0:1], off
	v_readfirstlane_b32 m0, v4
	s_sendmsg sendmsg(MSG_INTERRUPT)
.LBB3_924:
	s_or_b32 exec_lo, exec_lo, s5
	s_branch .LBB3_928
	.p2align	6
.LBB3_925:                              ;   in Loop: Header=BB3_928 Depth=1
	s_or_b32 exec_lo, exec_lo, s5
	v_readfirstlane_b32 s5, v0
	s_cmp_eq_u32 s5, 0
	s_cbranch_scc1 .LBB3_927
; %bb.926:                              ;   in Loop: Header=BB3_928 Depth=1
	s_sleep 1
	s_cbranch_execnz .LBB3_928
	s_branch .LBB3_930
	.p2align	6
.LBB3_927:
	s_branch .LBB3_930
.LBB3_928:                              ; =>This Inner Loop Header: Depth=1
	v_mov_b32_e32 v0, 1
	s_and_saveexec_b32 s5, s4
	s_cbranch_execz .LBB3_925
; %bb.929:                              ;   in Loop: Header=BB3_928 Depth=1
	global_load_dword v0, v[8:9], off offset:20 glc dlc
	s_waitcnt vmcnt(0)
	buffer_gl1_inv
	buffer_gl0_inv
	v_and_b32_e32 v0, 1, v0
	s_branch .LBB3_925
.LBB3_930:
	global_load_dwordx2 v[2:3], v[6:7], off
	s_and_saveexec_b32 s5, s4
	s_cbranch_execz .LBB3_934
; %bb.931:
	v_mov_b32_e32 v8, 0
	s_clause 0x2
	global_load_dwordx2 v[0:1], v8, s[26:27] offset:40
	global_load_dwordx2 v[9:10], v8, s[26:27] offset:24 glc dlc
	global_load_dwordx2 v[6:7], v8, s[26:27]
	s_waitcnt vmcnt(2)
	v_add_co_u32 v11, vcc_lo, v0, 1
	v_add_co_ci_u32_e32 v12, vcc_lo, 0, v1, vcc_lo
	v_add_co_u32 v4, vcc_lo, v11, s6
	v_add_co_ci_u32_e32 v5, vcc_lo, s7, v12, vcc_lo
	v_cmp_eq_u64_e32 vcc_lo, 0, v[4:5]
	v_cndmask_b32_e32 v5, v5, v12, vcc_lo
	v_cndmask_b32_e32 v4, v4, v11, vcc_lo
	v_and_b32_e32 v1, v5, v1
	v_and_b32_e32 v0, v4, v0
	v_mul_lo_u32 v1, v1, 24
	v_mul_hi_u32 v11, v0, 24
	v_mul_lo_u32 v0, v0, 24
	v_add_nc_u32_e32 v1, v11, v1
	s_waitcnt vmcnt(0)
	v_add_co_u32 v0, vcc_lo, v6, v0
	v_mov_b32_e32 v6, v9
	v_add_co_ci_u32_e32 v1, vcc_lo, v7, v1, vcc_lo
	v_mov_b32_e32 v7, v10
	global_store_dwordx2 v[0:1], v[9:10], off
	s_waitcnt_vscnt null, 0x0
	global_atomic_cmpswap_x2 v[6:7], v8, v[4:7], s[26:27] offset:24 glc
	s_waitcnt vmcnt(0)
	v_cmp_ne_u64_e32 vcc_lo, v[6:7], v[9:10]
	s_and_b32 exec_lo, exec_lo, vcc_lo
	s_cbranch_execz .LBB3_934
; %bb.932:
	s_mov_b32 s4, 0
.LBB3_933:                              ; =>This Inner Loop Header: Depth=1
	s_sleep 1
	global_store_dwordx2 v[0:1], v[6:7], off
	s_waitcnt_vscnt null, 0x0
	global_atomic_cmpswap_x2 v[9:10], v8, v[4:7], s[26:27] offset:24 glc
	s_waitcnt vmcnt(0)
	v_cmp_eq_u64_e32 vcc_lo, v[9:10], v[6:7]
	v_mov_b32_e32 v6, v9
	v_mov_b32_e32 v7, v10
	s_or_b32 s4, vcc_lo, s4
	s_andn2_b32 exec_lo, exec_lo, s4
	s_cbranch_execnz .LBB3_933
.LBB3_934:
	s_or_b32 exec_lo, exec_lo, s5
.LBB3_935:
	v_readfirstlane_b32 s4, v49
	s_waitcnt vmcnt(0)
	v_mov_b32_e32 v0, 0
	v_mov_b32_e32 v1, 0
	v_cmp_eq_u32_e64 s4, s4, v49
	s_and_saveexec_b32 s5, s4
	s_cbranch_execz .LBB3_941
; %bb.936:
	v_mov_b32_e32 v4, 0
	s_mov_b32 s6, exec_lo
	global_load_dwordx2 v[7:8], v4, s[26:27] offset:24 glc dlc
	s_waitcnt vmcnt(0)
	buffer_gl1_inv
	buffer_gl0_inv
	s_clause 0x1
	global_load_dwordx2 v[0:1], v4, s[26:27] offset:40
	global_load_dwordx2 v[5:6], v4, s[26:27]
	s_waitcnt vmcnt(1)
	v_and_b32_e32 v1, v1, v8
	v_and_b32_e32 v0, v0, v7
	v_mul_lo_u32 v1, v1, 24
	v_mul_hi_u32 v9, v0, 24
	v_mul_lo_u32 v0, v0, 24
	v_add_nc_u32_e32 v1, v9, v1
	s_waitcnt vmcnt(0)
	v_add_co_u32 v0, vcc_lo, v5, v0
	v_add_co_ci_u32_e32 v1, vcc_lo, v6, v1, vcc_lo
	global_load_dwordx2 v[5:6], v[0:1], off glc dlc
	s_waitcnt vmcnt(0)
	global_atomic_cmpswap_x2 v[0:1], v4, v[5:8], s[26:27] offset:24 glc
	s_waitcnt vmcnt(0)
	buffer_gl1_inv
	buffer_gl0_inv
	v_cmpx_ne_u64_e64 v[0:1], v[7:8]
	s_cbranch_execz .LBB3_940
; %bb.937:
	s_mov_b32 s7, 0
	.p2align	6
.LBB3_938:                              ; =>This Inner Loop Header: Depth=1
	s_sleep 1
	s_clause 0x1
	global_load_dwordx2 v[5:6], v4, s[26:27] offset:40
	global_load_dwordx2 v[9:10], v4, s[26:27]
	v_mov_b32_e32 v8, v1
	v_mov_b32_e32 v7, v0
	s_waitcnt vmcnt(1)
	v_and_b32_e32 v0, v5, v7
	v_and_b32_e32 v5, v6, v8
	s_waitcnt vmcnt(0)
	v_mad_u64_u32 v[0:1], null, v0, 24, v[9:10]
	v_mad_u64_u32 v[5:6], null, v5, 24, v[1:2]
	v_mov_b32_e32 v1, v5
	global_load_dwordx2 v[5:6], v[0:1], off glc dlc
	s_waitcnt vmcnt(0)
	global_atomic_cmpswap_x2 v[0:1], v4, v[5:8], s[26:27] offset:24 glc
	s_waitcnt vmcnt(0)
	buffer_gl1_inv
	buffer_gl0_inv
	v_cmp_eq_u64_e32 vcc_lo, v[0:1], v[7:8]
	s_or_b32 s7, vcc_lo, s7
	s_andn2_b32 exec_lo, exec_lo, s7
	s_cbranch_execnz .LBB3_938
; %bb.939:
	s_or_b32 exec_lo, exec_lo, s7
.LBB3_940:
	s_or_b32 exec_lo, exec_lo, s6
.LBB3_941:
	s_or_b32 exec_lo, exec_lo, s5
	v_mov_b32_e32 v5, 0
	v_readfirstlane_b32 s6, v0
	v_readfirstlane_b32 s7, v1
	s_mov_b32 s5, exec_lo
	s_clause 0x1
	global_load_dwordx2 v[10:11], v5, s[26:27] offset:40
	global_load_dwordx4 v[6:9], v5, s[26:27]
	s_waitcnt vmcnt(1)
	v_readfirstlane_b32 s10, v10
	v_readfirstlane_b32 s11, v11
	s_and_b64 s[10:11], s[6:7], s[10:11]
	s_mul_i32 s16, s11, 24
	s_mul_hi_u32 s17, s10, 24
	s_mul_i32 s18, s10, 24
	s_add_i32 s17, s17, s16
	s_waitcnt vmcnt(0)
	v_add_co_u32 v10, vcc_lo, v6, s18
	v_add_co_ci_u32_e32 v11, vcc_lo, s17, v7, vcc_lo
	s_and_saveexec_b32 s16, s4
	s_cbranch_execz .LBB3_943
; %bb.942:
	v_mov_b32_e32 v4, s5
	v_mov_b32_e32 v13, v5
	;; [unrolled: 1-line block ×5, first 2 shown]
	global_store_dwordx4 v[10:11], v[12:15], off offset:8
.LBB3_943:
	s_or_b32 exec_lo, exec_lo, s16
	s_lshl_b64 s[10:11], s[10:11], 12
	s_mov_b32 s16, 0
	v_add_co_u32 v0, vcc_lo, v8, s10
	v_add_co_ci_u32_e32 v1, vcc_lo, s11, v9, vcc_lo
	s_mov_b32 s17, s16
	s_mov_b32 s18, s16
	;; [unrolled: 1-line block ×3, first 2 shown]
	v_and_or_b32 v2, 0xffffff1d, v2, 34
	v_mov_b32_e32 v4, 0x312
	v_readfirstlane_b32 s10, v0
	v_readfirstlane_b32 s11, v1
	v_mov_b32_e32 v12, s16
	v_mov_b32_e32 v13, s17
	v_mov_b32_e32 v14, s18
	v_mov_b32_e32 v15, s19
	global_store_dwordx4 v48, v[2:5], s[10:11]
	global_store_dwordx4 v48, v[12:15], s[10:11] offset:16
	global_store_dwordx4 v48, v[12:15], s[10:11] offset:32
	;; [unrolled: 1-line block ×3, first 2 shown]
	s_and_saveexec_b32 s5, s4
	s_cbranch_execz .LBB3_951
; %bb.944:
	v_mov_b32_e32 v8, 0
	v_mov_b32_e32 v12, s6
	;; [unrolled: 1-line block ×3, first 2 shown]
	s_clause 0x1
	global_load_dwordx2 v[14:15], v8, s[26:27] offset:32 glc dlc
	global_load_dwordx2 v[0:1], v8, s[26:27] offset:40
	s_waitcnt vmcnt(0)
	v_readfirstlane_b32 s10, v0
	v_readfirstlane_b32 s11, v1
	s_and_b64 s[10:11], s[10:11], s[6:7]
	s_mul_i32 s11, s11, 24
	s_mul_hi_u32 s16, s10, 24
	s_mul_i32 s10, s10, 24
	s_add_i32 s16, s16, s11
	v_add_co_u32 v4, vcc_lo, v6, s10
	v_add_co_ci_u32_e32 v5, vcc_lo, s16, v7, vcc_lo
	s_mov_b32 s10, exec_lo
	global_store_dwordx2 v[4:5], v[14:15], off
	s_waitcnt_vscnt null, 0x0
	global_atomic_cmpswap_x2 v[2:3], v8, v[12:15], s[26:27] offset:32 glc
	s_waitcnt vmcnt(0)
	v_cmpx_ne_u64_e64 v[2:3], v[14:15]
	s_cbranch_execz .LBB3_947
; %bb.945:
	s_mov_b32 s11, 0
.LBB3_946:                              ; =>This Inner Loop Header: Depth=1
	v_mov_b32_e32 v0, s6
	v_mov_b32_e32 v1, s7
	s_sleep 1
	global_store_dwordx2 v[4:5], v[2:3], off
	s_waitcnt_vscnt null, 0x0
	global_atomic_cmpswap_x2 v[0:1], v8, v[0:3], s[26:27] offset:32 glc
	s_waitcnt vmcnt(0)
	v_cmp_eq_u64_e32 vcc_lo, v[0:1], v[2:3]
	v_mov_b32_e32 v3, v1
	v_mov_b32_e32 v2, v0
	s_or_b32 s11, vcc_lo, s11
	s_andn2_b32 exec_lo, exec_lo, s11
	s_cbranch_execnz .LBB3_946
.LBB3_947:
	s_or_b32 exec_lo, exec_lo, s10
	v_mov_b32_e32 v3, 0
	s_mov_b32 s11, exec_lo
	s_mov_b32 s10, exec_lo
	v_mbcnt_lo_u32_b32 v2, s11, 0
	global_load_dwordx2 v[0:1], v3, s[26:27] offset:16
	v_cmpx_eq_u32_e32 0, v2
	s_cbranch_execz .LBB3_949
; %bb.948:
	s_bcnt1_i32_b32 s11, s11
	v_mov_b32_e32 v2, s11
	s_waitcnt vmcnt(0)
	global_atomic_add_x2 v[0:1], v[2:3], off offset:8
.LBB3_949:
	s_or_b32 exec_lo, exec_lo, s10
	s_waitcnt vmcnt(0)
	global_load_dwordx2 v[2:3], v[0:1], off offset:16
	s_waitcnt vmcnt(0)
	v_cmp_eq_u64_e32 vcc_lo, 0, v[2:3]
	s_cbranch_vccnz .LBB3_951
; %bb.950:
	global_load_dword v0, v[0:1], off offset:24
	v_mov_b32_e32 v1, 0
	s_waitcnt vmcnt(0)
	v_and_b32_e32 v4, 0x7fffff, v0
	s_waitcnt_vscnt null, 0x0
	global_store_dwordx2 v[2:3], v[0:1], off
	v_readfirstlane_b32 m0, v4
	s_sendmsg sendmsg(MSG_INTERRUPT)
.LBB3_951:
	s_or_b32 exec_lo, exec_lo, s5
	s_branch .LBB3_955
	.p2align	6
.LBB3_952:                              ;   in Loop: Header=BB3_955 Depth=1
	s_or_b32 exec_lo, exec_lo, s5
	v_readfirstlane_b32 s5, v0
	s_cmp_eq_u32 s5, 0
	s_cbranch_scc1 .LBB3_954
; %bb.953:                              ;   in Loop: Header=BB3_955 Depth=1
	s_sleep 1
	s_cbranch_execnz .LBB3_955
	s_branch .LBB3_957
	.p2align	6
.LBB3_954:
	s_branch .LBB3_957
.LBB3_955:                              ; =>This Inner Loop Header: Depth=1
	v_mov_b32_e32 v0, 1
	s_and_saveexec_b32 s5, s4
	s_cbranch_execz .LBB3_952
; %bb.956:                              ;   in Loop: Header=BB3_955 Depth=1
	global_load_dword v0, v[10:11], off offset:20 glc dlc
	s_waitcnt vmcnt(0)
	buffer_gl1_inv
	buffer_gl0_inv
	v_and_b32_e32 v0, 1, v0
	s_branch .LBB3_952
.LBB3_957:
	s_and_saveexec_b32 s5, s4
	s_cbranch_execz .LBB3_961
; %bb.958:
	v_mov_b32_e32 v6, 0
	s_clause 0x2
	global_load_dwordx2 v[2:3], v6, s[26:27] offset:40
	global_load_dwordx2 v[7:8], v6, s[26:27] offset:24 glc dlc
	global_load_dwordx2 v[4:5], v6, s[26:27]
	s_waitcnt vmcnt(2)
	v_add_co_u32 v9, vcc_lo, v2, 1
	v_add_co_ci_u32_e32 v10, vcc_lo, 0, v3, vcc_lo
	v_add_co_u32 v0, vcc_lo, v9, s6
	v_add_co_ci_u32_e32 v1, vcc_lo, s7, v10, vcc_lo
	v_cmp_eq_u64_e32 vcc_lo, 0, v[0:1]
	v_cndmask_b32_e32 v1, v1, v10, vcc_lo
	v_cndmask_b32_e32 v0, v0, v9, vcc_lo
	v_and_b32_e32 v3, v1, v3
	v_and_b32_e32 v2, v0, v2
	v_mul_lo_u32 v3, v3, 24
	v_mul_hi_u32 v9, v2, 24
	v_mul_lo_u32 v2, v2, 24
	v_add_nc_u32_e32 v3, v9, v3
	s_waitcnt vmcnt(0)
	v_add_co_u32 v4, vcc_lo, v4, v2
	v_mov_b32_e32 v2, v7
	v_add_co_ci_u32_e32 v5, vcc_lo, v5, v3, vcc_lo
	v_mov_b32_e32 v3, v8
	global_store_dwordx2 v[4:5], v[7:8], off
	s_waitcnt_vscnt null, 0x0
	global_atomic_cmpswap_x2 v[2:3], v6, v[0:3], s[26:27] offset:24 glc
	s_waitcnt vmcnt(0)
	v_cmp_ne_u64_e32 vcc_lo, v[2:3], v[7:8]
	s_and_b32 exec_lo, exec_lo, vcc_lo
	s_cbranch_execz .LBB3_961
; %bb.959:
	s_mov_b32 s4, 0
.LBB3_960:                              ; =>This Inner Loop Header: Depth=1
	s_sleep 1
	global_store_dwordx2 v[4:5], v[2:3], off
	s_waitcnt_vscnt null, 0x0
	global_atomic_cmpswap_x2 v[7:8], v6, v[0:3], s[26:27] offset:24 glc
	s_waitcnt vmcnt(0)
	v_cmp_eq_u64_e32 vcc_lo, v[7:8], v[2:3]
	v_mov_b32_e32 v2, v7
	v_mov_b32_e32 v3, v8
	s_or_b32 s4, vcc_lo, s4
	s_andn2_b32 exec_lo, exec_lo, s4
	s_cbranch_execnz .LBB3_960
.LBB3_961:
	s_or_b32 exec_lo, exec_lo, s5
	v_readfirstlane_b32 s4, v49
	v_mov_b32_e32 v6, 0
	v_mov_b32_e32 v7, 0
	v_cmp_eq_u32_e64 s4, s4, v49
	s_and_saveexec_b32 s5, s4
	s_cbranch_execz .LBB3_967
; %bb.962:
	v_mov_b32_e32 v0, 0
	s_mov_b32 s6, exec_lo
	global_load_dwordx2 v[3:4], v0, s[26:27] offset:24 glc dlc
	s_waitcnt vmcnt(0)
	buffer_gl1_inv
	buffer_gl0_inv
	s_clause 0x1
	global_load_dwordx2 v[1:2], v0, s[26:27] offset:40
	global_load_dwordx2 v[5:6], v0, s[26:27]
	s_waitcnt vmcnt(1)
	v_and_b32_e32 v2, v2, v4
	v_and_b32_e32 v1, v1, v3
	v_mul_lo_u32 v2, v2, 24
	v_mul_hi_u32 v7, v1, 24
	v_mul_lo_u32 v1, v1, 24
	v_add_nc_u32_e32 v2, v7, v2
	s_waitcnt vmcnt(0)
	v_add_co_u32 v1, vcc_lo, v5, v1
	v_add_co_ci_u32_e32 v2, vcc_lo, v6, v2, vcc_lo
	global_load_dwordx2 v[1:2], v[1:2], off glc dlc
	s_waitcnt vmcnt(0)
	global_atomic_cmpswap_x2 v[6:7], v0, v[1:4], s[26:27] offset:24 glc
	s_waitcnt vmcnt(0)
	buffer_gl1_inv
	buffer_gl0_inv
	v_cmpx_ne_u64_e64 v[6:7], v[3:4]
	s_cbranch_execz .LBB3_966
; %bb.963:
	s_mov_b32 s7, 0
	.p2align	6
.LBB3_964:                              ; =>This Inner Loop Header: Depth=1
	s_sleep 1
	s_clause 0x1
	global_load_dwordx2 v[1:2], v0, s[26:27] offset:40
	global_load_dwordx2 v[8:9], v0, s[26:27]
	v_mov_b32_e32 v3, v6
	v_mov_b32_e32 v4, v7
	s_waitcnt vmcnt(1)
	v_and_b32_e32 v1, v1, v3
	v_and_b32_e32 v2, v2, v4
	s_waitcnt vmcnt(0)
	v_mad_u64_u32 v[5:6], null, v1, 24, v[8:9]
	v_mov_b32_e32 v1, v6
	v_mad_u64_u32 v[1:2], null, v2, 24, v[1:2]
	v_mov_b32_e32 v6, v1
	global_load_dwordx2 v[1:2], v[5:6], off glc dlc
	s_waitcnt vmcnt(0)
	global_atomic_cmpswap_x2 v[6:7], v0, v[1:4], s[26:27] offset:24 glc
	s_waitcnt vmcnt(0)
	buffer_gl1_inv
	buffer_gl0_inv
	v_cmp_eq_u64_e32 vcc_lo, v[6:7], v[3:4]
	s_or_b32 s7, vcc_lo, s7
	s_andn2_b32 exec_lo, exec_lo, s7
	s_cbranch_execnz .LBB3_964
; %bb.965:
	s_or_b32 exec_lo, exec_lo, s7
.LBB3_966:
	s_or_b32 exec_lo, exec_lo, s6
.LBB3_967:
	s_or_b32 exec_lo, exec_lo, s5
	v_mov_b32_e32 v5, 0
	v_readfirstlane_b32 s6, v6
	v_readfirstlane_b32 s7, v7
	s_mov_b32 s5, exec_lo
	s_clause 0x1
	global_load_dwordx2 v[8:9], v5, s[26:27] offset:40
	global_load_dwordx4 v[0:3], v5, s[26:27]
	s_waitcnt vmcnt(1)
	v_readfirstlane_b32 s10, v8
	v_readfirstlane_b32 s11, v9
	s_and_b64 s[10:11], s[6:7], s[10:11]
	s_mul_i32 s16, s11, 24
	s_mul_hi_u32 s17, s10, 24
	s_mul_i32 s18, s10, 24
	s_add_i32 s17, s17, s16
	s_waitcnt vmcnt(0)
	v_add_co_u32 v8, vcc_lo, v0, s18
	v_add_co_ci_u32_e32 v9, vcc_lo, s17, v1, vcc_lo
	s_and_saveexec_b32 s16, s4
	s_cbranch_execz .LBB3_969
; %bb.968:
	v_mov_b32_e32 v4, s5
	v_mov_b32_e32 v6, 2
	v_mov_b32_e32 v7, 1
	global_store_dwordx4 v[8:9], v[4:7], off offset:8
.LBB3_969:
	s_or_b32 exec_lo, exec_lo, s16
	s_lshl_b64 s[10:11], s[10:11], 12
	s_mov_b32 s16, 0
	v_add_co_u32 v2, vcc_lo, v2, s10
	v_add_co_ci_u32_e32 v3, vcc_lo, s11, v3, vcc_lo
	s_mov_b32 s17, s16
	v_add_co_u32 v10, vcc_lo, v2, v48
	s_mov_b32 s18, s16
	s_mov_b32 s19, s16
	v_mov_b32_e32 v4, 33
	v_mov_b32_e32 v6, v5
	v_mov_b32_e32 v7, v5
	v_readfirstlane_b32 s10, v2
	v_readfirstlane_b32 s11, v3
	v_mov_b32_e32 v12, s16
	v_add_co_ci_u32_e32 v11, vcc_lo, 0, v3, vcc_lo
	v_mov_b32_e32 v13, s17
	v_mov_b32_e32 v14, s18
	;; [unrolled: 1-line block ×3, first 2 shown]
	global_store_dwordx4 v48, v[4:7], s[10:11]
	global_store_dwordx4 v48, v[12:15], s[10:11] offset:16
	global_store_dwordx4 v48, v[12:15], s[10:11] offset:32
	;; [unrolled: 1-line block ×3, first 2 shown]
	s_and_saveexec_b32 s5, s4
	s_cbranch_execz .LBB3_977
; %bb.970:
	v_mov_b32_e32 v6, 0
	v_mov_b32_e32 v12, s6
	;; [unrolled: 1-line block ×3, first 2 shown]
	s_clause 0x1
	global_load_dwordx2 v[14:15], v6, s[26:27] offset:32 glc dlc
	global_load_dwordx2 v[2:3], v6, s[26:27] offset:40
	s_waitcnt vmcnt(0)
	v_readfirstlane_b32 s10, v2
	v_readfirstlane_b32 s11, v3
	s_and_b64 s[10:11], s[10:11], s[6:7]
	s_mul_i32 s11, s11, 24
	s_mul_hi_u32 s16, s10, 24
	s_mul_i32 s10, s10, 24
	s_add_i32 s16, s16, s11
	v_add_co_u32 v4, vcc_lo, v0, s10
	v_add_co_ci_u32_e32 v5, vcc_lo, s16, v1, vcc_lo
	s_mov_b32 s10, exec_lo
	global_store_dwordx2 v[4:5], v[14:15], off
	s_waitcnt_vscnt null, 0x0
	global_atomic_cmpswap_x2 v[2:3], v6, v[12:15], s[26:27] offset:32 glc
	s_waitcnt vmcnt(0)
	v_cmpx_ne_u64_e64 v[2:3], v[14:15]
	s_cbranch_execz .LBB3_973
; %bb.971:
	s_mov_b32 s11, 0
.LBB3_972:                              ; =>This Inner Loop Header: Depth=1
	v_mov_b32_e32 v0, s6
	v_mov_b32_e32 v1, s7
	s_sleep 1
	global_store_dwordx2 v[4:5], v[2:3], off
	s_waitcnt_vscnt null, 0x0
	global_atomic_cmpswap_x2 v[0:1], v6, v[0:3], s[26:27] offset:32 glc
	s_waitcnt vmcnt(0)
	v_cmp_eq_u64_e32 vcc_lo, v[0:1], v[2:3]
	v_mov_b32_e32 v3, v1
	v_mov_b32_e32 v2, v0
	s_or_b32 s11, vcc_lo, s11
	s_andn2_b32 exec_lo, exec_lo, s11
	s_cbranch_execnz .LBB3_972
.LBB3_973:
	s_or_b32 exec_lo, exec_lo, s10
	v_mov_b32_e32 v3, 0
	s_mov_b32 s11, exec_lo
	s_mov_b32 s10, exec_lo
	v_mbcnt_lo_u32_b32 v2, s11, 0
	global_load_dwordx2 v[0:1], v3, s[26:27] offset:16
	v_cmpx_eq_u32_e32 0, v2
	s_cbranch_execz .LBB3_975
; %bb.974:
	s_bcnt1_i32_b32 s11, s11
	v_mov_b32_e32 v2, s11
	s_waitcnt vmcnt(0)
	global_atomic_add_x2 v[0:1], v[2:3], off offset:8
.LBB3_975:
	s_or_b32 exec_lo, exec_lo, s10
	s_waitcnt vmcnt(0)
	global_load_dwordx2 v[2:3], v[0:1], off offset:16
	s_waitcnt vmcnt(0)
	v_cmp_eq_u64_e32 vcc_lo, 0, v[2:3]
	s_cbranch_vccnz .LBB3_977
; %bb.976:
	global_load_dword v0, v[0:1], off offset:24
	v_mov_b32_e32 v1, 0
	s_waitcnt vmcnt(0)
	v_and_b32_e32 v4, 0x7fffff, v0
	s_waitcnt_vscnt null, 0x0
	global_store_dwordx2 v[2:3], v[0:1], off
	v_readfirstlane_b32 m0, v4
	s_sendmsg sendmsg(MSG_INTERRUPT)
.LBB3_977:
	s_or_b32 exec_lo, exec_lo, s5
	s_branch .LBB3_981
	.p2align	6
.LBB3_978:                              ;   in Loop: Header=BB3_981 Depth=1
	s_or_b32 exec_lo, exec_lo, s5
	v_readfirstlane_b32 s5, v0
	s_cmp_eq_u32 s5, 0
	s_cbranch_scc1 .LBB3_980
; %bb.979:                              ;   in Loop: Header=BB3_981 Depth=1
	s_sleep 1
	s_cbranch_execnz .LBB3_981
	s_branch .LBB3_983
	.p2align	6
.LBB3_980:
	s_branch .LBB3_983
.LBB3_981:                              ; =>This Inner Loop Header: Depth=1
	v_mov_b32_e32 v0, 1
	s_and_saveexec_b32 s5, s4
	s_cbranch_execz .LBB3_978
; %bb.982:                              ;   in Loop: Header=BB3_981 Depth=1
	global_load_dword v0, v[8:9], off offset:20 glc dlc
	s_waitcnt vmcnt(0)
	buffer_gl1_inv
	buffer_gl0_inv
	v_and_b32_e32 v0, 1, v0
	s_branch .LBB3_978
.LBB3_983:
	global_load_dwordx2 v[0:1], v[10:11], off
	s_and_saveexec_b32 s5, s4
	s_cbranch_execz .LBB3_987
; %bb.984:
	v_mov_b32_e32 v8, 0
	s_clause 0x2
	global_load_dwordx2 v[4:5], v8, s[26:27] offset:40
	global_load_dwordx2 v[9:10], v8, s[26:27] offset:24 glc dlc
	global_load_dwordx2 v[6:7], v8, s[26:27]
	s_waitcnt vmcnt(2)
	v_add_co_u32 v11, vcc_lo, v4, 1
	v_add_co_ci_u32_e32 v12, vcc_lo, 0, v5, vcc_lo
	v_add_co_u32 v2, vcc_lo, v11, s6
	v_add_co_ci_u32_e32 v3, vcc_lo, s7, v12, vcc_lo
	v_cmp_eq_u64_e32 vcc_lo, 0, v[2:3]
	v_cndmask_b32_e32 v3, v3, v12, vcc_lo
	v_cndmask_b32_e32 v2, v2, v11, vcc_lo
	v_and_b32_e32 v5, v3, v5
	v_and_b32_e32 v4, v2, v4
	v_mul_lo_u32 v5, v5, 24
	v_mul_hi_u32 v11, v4, 24
	v_mul_lo_u32 v4, v4, 24
	v_add_nc_u32_e32 v5, v11, v5
	s_waitcnt vmcnt(0)
	v_add_co_u32 v6, vcc_lo, v6, v4
	v_mov_b32_e32 v4, v9
	v_add_co_ci_u32_e32 v7, vcc_lo, v7, v5, vcc_lo
	v_mov_b32_e32 v5, v10
	global_store_dwordx2 v[6:7], v[9:10], off
	s_waitcnt_vscnt null, 0x0
	global_atomic_cmpswap_x2 v[4:5], v8, v[2:5], s[26:27] offset:24 glc
	s_waitcnt vmcnt(0)
	v_cmp_ne_u64_e32 vcc_lo, v[4:5], v[9:10]
	s_and_b32 exec_lo, exec_lo, vcc_lo
	s_cbranch_execz .LBB3_987
; %bb.985:
	s_mov_b32 s4, 0
.LBB3_986:                              ; =>This Inner Loop Header: Depth=1
	s_sleep 1
	global_store_dwordx2 v[6:7], v[4:5], off
	s_waitcnt_vscnt null, 0x0
	global_atomic_cmpswap_x2 v[9:10], v8, v[2:5], s[26:27] offset:24 glc
	s_waitcnt vmcnt(0)
	v_cmp_eq_u64_e32 vcc_lo, v[9:10], v[4:5]
	v_mov_b32_e32 v4, v9
	v_mov_b32_e32 v5, v10
	s_or_b32 s4, vcc_lo, s4
	s_andn2_b32 exec_lo, exec_lo, s4
	s_cbranch_execnz .LBB3_986
.LBB3_987:
	s_or_b32 exec_lo, exec_lo, s5
	s_and_b32 vcc_lo, exec_lo, s34
	s_cbranch_vccz .LBB3_1066
; %bb.988:
	s_waitcnt vmcnt(0)
	v_and_b32_e32 v31, 2, v0
	v_mov_b32_e32 v6, 0
	v_and_b32_e32 v2, -3, v0
	v_mov_b32_e32 v3, v1
	v_mov_b32_e32 v7, 2
	;; [unrolled: 1-line block ×3, first 2 shown]
	s_mov_b64 s[10:11], 3
	s_getpc_b64 s[6:7]
	s_add_u32 s6, s6, .str.6@rel32@lo+4
	s_addc_u32 s7, s7, .str.6@rel32@hi+12
	s_branch .LBB3_990
.LBB3_989:                              ;   in Loop: Header=BB3_990 Depth=1
	s_or_b32 exec_lo, exec_lo, s5
	s_sub_u32 s10, s10, s16
	s_subb_u32 s11, s11, s17
	s_add_u32 s6, s6, s16
	s_addc_u32 s7, s7, s17
	s_cmp_lg_u64 s[10:11], 0
	s_cbranch_scc0 .LBB3_1065
.LBB3_990:                              ; =>This Loop Header: Depth=1
                                        ;     Child Loop BB3_999 Depth 2
                                        ;     Child Loop BB3_995 Depth 2
	;; [unrolled: 1-line block ×11, first 2 shown]
	v_cmp_lt_u64_e64 s4, s[10:11], 56
	v_cmp_gt_u64_e64 s5, s[10:11], 7
                                        ; implicit-def: $vgpr11_vgpr12
                                        ; implicit-def: $sgpr22
	s_and_b32 s4, s4, exec_lo
	s_cselect_b32 s17, s11, 0
	s_cselect_b32 s16, s10, 56
	s_and_b32 vcc_lo, exec_lo, s5
	s_mov_b32 s4, -1
	s_cbranch_vccz .LBB3_997
; %bb.991:                              ;   in Loop: Header=BB3_990 Depth=1
	s_andn2_b32 vcc_lo, exec_lo, s4
	s_mov_b64 s[4:5], s[6:7]
	s_cbranch_vccz .LBB3_1001
.LBB3_992:                              ;   in Loop: Header=BB3_990 Depth=1
	s_cmp_gt_u32 s22, 7
	s_cbranch_scc1 .LBB3_1002
.LBB3_993:                              ;   in Loop: Header=BB3_990 Depth=1
	v_mov_b32_e32 v13, 0
	v_mov_b32_e32 v14, 0
	s_cmp_eq_u32 s22, 0
	s_cbranch_scc1 .LBB3_996
; %bb.994:                              ;   in Loop: Header=BB3_990 Depth=1
	s_mov_b64 s[18:19], 0
	s_mov_b64 s[20:21], 0
.LBB3_995:                              ;   Parent Loop BB3_990 Depth=1
                                        ; =>  This Inner Loop Header: Depth=2
	s_add_u32 s24, s4, s20
	s_addc_u32 s25, s5, s21
	s_add_u32 s20, s20, 1
	global_load_ubyte v4, v6, s[24:25]
	s_addc_u32 s21, s21, 0
	s_waitcnt vmcnt(0)
	v_and_b32_e32 v5, 0xffff, v4
	v_lshlrev_b64 v[4:5], s18, v[5:6]
	s_add_u32 s18, s18, 8
	s_addc_u32 s19, s19, 0
	s_cmp_lg_u32 s22, s20
	v_or_b32_e32 v13, v4, v13
	v_or_b32_e32 v14, v5, v14
	s_cbranch_scc1 .LBB3_995
.LBB3_996:                              ;   in Loop: Header=BB3_990 Depth=1
	s_mov_b32 s23, 0
	s_cbranch_execz .LBB3_1003
	s_branch .LBB3_1004
.LBB3_997:                              ;   in Loop: Header=BB3_990 Depth=1
	v_mov_b32_e32 v11, 0
	v_mov_b32_e32 v12, 0
	s_cmp_eq_u64 s[10:11], 0
	s_mov_b64 s[4:5], 0
	s_cbranch_scc1 .LBB3_1000
; %bb.998:                              ;   in Loop: Header=BB3_990 Depth=1
	v_mov_b32_e32 v11, 0
	v_mov_b32_e32 v12, 0
	s_lshl_b64 s[18:19], s[16:17], 3
	s_mov_b64 s[20:21], s[6:7]
.LBB3_999:                              ;   Parent Loop BB3_990 Depth=1
                                        ; =>  This Inner Loop Header: Depth=2
	global_load_ubyte v4, v6, s[20:21]
	s_waitcnt vmcnt(0)
	v_and_b32_e32 v5, 0xffff, v4
	v_lshlrev_b64 v[4:5], s4, v[5:6]
	s_add_u32 s4, s4, 8
	s_addc_u32 s5, s5, 0
	s_add_u32 s20, s20, 1
	s_addc_u32 s21, s21, 0
	s_cmp_lg_u32 s18, s4
	v_or_b32_e32 v11, v4, v11
	v_or_b32_e32 v12, v5, v12
	s_cbranch_scc1 .LBB3_999
.LBB3_1000:                             ;   in Loop: Header=BB3_990 Depth=1
	s_mov_b32 s22, 0
	s_mov_b64 s[4:5], s[6:7]
	s_cbranch_execnz .LBB3_992
.LBB3_1001:                             ;   in Loop: Header=BB3_990 Depth=1
	global_load_dwordx2 v[11:12], v6, s[6:7]
	s_add_i32 s22, s16, -8
	s_add_u32 s4, s6, 8
	s_addc_u32 s5, s7, 0
	s_cmp_gt_u32 s22, 7
	s_cbranch_scc0 .LBB3_993
.LBB3_1002:                             ;   in Loop: Header=BB3_990 Depth=1
                                        ; implicit-def: $vgpr13_vgpr14
                                        ; implicit-def: $sgpr23
.LBB3_1003:                             ;   in Loop: Header=BB3_990 Depth=1
	global_load_dwordx2 v[13:14], v6, s[4:5]
	s_add_i32 s23, s22, -8
	s_add_u32 s4, s4, 8
	s_addc_u32 s5, s5, 0
.LBB3_1004:                             ;   in Loop: Header=BB3_990 Depth=1
	s_cmp_gt_u32 s23, 7
	s_cbranch_scc1 .LBB3_1009
; %bb.1005:                             ;   in Loop: Header=BB3_990 Depth=1
	v_mov_b32_e32 v15, 0
	v_mov_b32_e32 v16, 0
	s_cmp_eq_u32 s23, 0
	s_cbranch_scc1 .LBB3_1008
; %bb.1006:                             ;   in Loop: Header=BB3_990 Depth=1
	s_mov_b64 s[18:19], 0
	s_mov_b64 s[20:21], 0
.LBB3_1007:                             ;   Parent Loop BB3_990 Depth=1
                                        ; =>  This Inner Loop Header: Depth=2
	s_add_u32 s24, s4, s20
	s_addc_u32 s25, s5, s21
	s_add_u32 s20, s20, 1
	global_load_ubyte v4, v6, s[24:25]
	s_addc_u32 s21, s21, 0
	s_waitcnt vmcnt(0)
	v_and_b32_e32 v5, 0xffff, v4
	v_lshlrev_b64 v[4:5], s18, v[5:6]
	s_add_u32 s18, s18, 8
	s_addc_u32 s19, s19, 0
	s_cmp_lg_u32 s23, s20
	v_or_b32_e32 v15, v4, v15
	v_or_b32_e32 v16, v5, v16
	s_cbranch_scc1 .LBB3_1007
.LBB3_1008:                             ;   in Loop: Header=BB3_990 Depth=1
	s_mov_b32 s22, 0
	s_cbranch_execz .LBB3_1010
	s_branch .LBB3_1011
.LBB3_1009:                             ;   in Loop: Header=BB3_990 Depth=1
                                        ; implicit-def: $sgpr22
.LBB3_1010:                             ;   in Loop: Header=BB3_990 Depth=1
	global_load_dwordx2 v[15:16], v6, s[4:5]
	s_add_i32 s22, s23, -8
	s_add_u32 s4, s4, 8
	s_addc_u32 s5, s5, 0
.LBB3_1011:                             ;   in Loop: Header=BB3_990 Depth=1
	s_cmp_gt_u32 s22, 7
	s_cbranch_scc1 .LBB3_1016
; %bb.1012:                             ;   in Loop: Header=BB3_990 Depth=1
	v_mov_b32_e32 v17, 0
	v_mov_b32_e32 v18, 0
	s_cmp_eq_u32 s22, 0
	s_cbranch_scc1 .LBB3_1015
; %bb.1013:                             ;   in Loop: Header=BB3_990 Depth=1
	s_mov_b64 s[18:19], 0
	s_mov_b64 s[20:21], 0
.LBB3_1014:                             ;   Parent Loop BB3_990 Depth=1
                                        ; =>  This Inner Loop Header: Depth=2
	s_add_u32 s24, s4, s20
	s_addc_u32 s25, s5, s21
	s_add_u32 s20, s20, 1
	global_load_ubyte v4, v6, s[24:25]
	s_addc_u32 s21, s21, 0
	s_waitcnt vmcnt(0)
	v_and_b32_e32 v5, 0xffff, v4
	v_lshlrev_b64 v[4:5], s18, v[5:6]
	s_add_u32 s18, s18, 8
	s_addc_u32 s19, s19, 0
	s_cmp_lg_u32 s22, s20
	v_or_b32_e32 v17, v4, v17
	v_or_b32_e32 v18, v5, v18
	s_cbranch_scc1 .LBB3_1014
.LBB3_1015:                             ;   in Loop: Header=BB3_990 Depth=1
	s_mov_b32 s23, 0
	s_cbranch_execz .LBB3_1017
	s_branch .LBB3_1018
.LBB3_1016:                             ;   in Loop: Header=BB3_990 Depth=1
                                        ; implicit-def: $vgpr17_vgpr18
                                        ; implicit-def: $sgpr23
.LBB3_1017:                             ;   in Loop: Header=BB3_990 Depth=1
	global_load_dwordx2 v[17:18], v6, s[4:5]
	s_add_i32 s23, s22, -8
	s_add_u32 s4, s4, 8
	s_addc_u32 s5, s5, 0
.LBB3_1018:                             ;   in Loop: Header=BB3_990 Depth=1
	s_cmp_gt_u32 s23, 7
	s_cbranch_scc1 .LBB3_1023
; %bb.1019:                             ;   in Loop: Header=BB3_990 Depth=1
	v_mov_b32_e32 v19, 0
	v_mov_b32_e32 v20, 0
	s_cmp_eq_u32 s23, 0
	s_cbranch_scc1 .LBB3_1022
; %bb.1020:                             ;   in Loop: Header=BB3_990 Depth=1
	s_mov_b64 s[18:19], 0
	s_mov_b64 s[20:21], 0
.LBB3_1021:                             ;   Parent Loop BB3_990 Depth=1
                                        ; =>  This Inner Loop Header: Depth=2
	s_add_u32 s24, s4, s20
	s_addc_u32 s25, s5, s21
	s_add_u32 s20, s20, 1
	global_load_ubyte v4, v6, s[24:25]
	s_addc_u32 s21, s21, 0
	s_waitcnt vmcnt(0)
	v_and_b32_e32 v5, 0xffff, v4
	v_lshlrev_b64 v[4:5], s18, v[5:6]
	s_add_u32 s18, s18, 8
	s_addc_u32 s19, s19, 0
	s_cmp_lg_u32 s23, s20
	v_or_b32_e32 v19, v4, v19
	v_or_b32_e32 v20, v5, v20
	s_cbranch_scc1 .LBB3_1021
.LBB3_1022:                             ;   in Loop: Header=BB3_990 Depth=1
	s_mov_b32 s22, 0
	s_cbranch_execz .LBB3_1024
	s_branch .LBB3_1025
.LBB3_1023:                             ;   in Loop: Header=BB3_990 Depth=1
                                        ; implicit-def: $sgpr22
.LBB3_1024:                             ;   in Loop: Header=BB3_990 Depth=1
	global_load_dwordx2 v[19:20], v6, s[4:5]
	s_add_i32 s22, s23, -8
	s_add_u32 s4, s4, 8
	s_addc_u32 s5, s5, 0
.LBB3_1025:                             ;   in Loop: Header=BB3_990 Depth=1
	s_cmp_gt_u32 s22, 7
	s_cbranch_scc1 .LBB3_1030
; %bb.1026:                             ;   in Loop: Header=BB3_990 Depth=1
	v_mov_b32_e32 v21, 0
	v_mov_b32_e32 v22, 0
	s_cmp_eq_u32 s22, 0
	s_cbranch_scc1 .LBB3_1029
; %bb.1027:                             ;   in Loop: Header=BB3_990 Depth=1
	s_mov_b64 s[18:19], 0
	s_mov_b64 s[20:21], 0
.LBB3_1028:                             ;   Parent Loop BB3_990 Depth=1
                                        ; =>  This Inner Loop Header: Depth=2
	s_add_u32 s24, s4, s20
	s_addc_u32 s25, s5, s21
	s_add_u32 s20, s20, 1
	global_load_ubyte v4, v6, s[24:25]
	s_addc_u32 s21, s21, 0
	s_waitcnt vmcnt(0)
	v_and_b32_e32 v5, 0xffff, v4
	v_lshlrev_b64 v[4:5], s18, v[5:6]
	s_add_u32 s18, s18, 8
	s_addc_u32 s19, s19, 0
	s_cmp_lg_u32 s22, s20
	v_or_b32_e32 v21, v4, v21
	v_or_b32_e32 v22, v5, v22
	s_cbranch_scc1 .LBB3_1028
.LBB3_1029:                             ;   in Loop: Header=BB3_990 Depth=1
	s_mov_b32 s23, 0
	s_cbranch_execz .LBB3_1031
	s_branch .LBB3_1032
.LBB3_1030:                             ;   in Loop: Header=BB3_990 Depth=1
                                        ; implicit-def: $vgpr21_vgpr22
                                        ; implicit-def: $sgpr23
.LBB3_1031:                             ;   in Loop: Header=BB3_990 Depth=1
	global_load_dwordx2 v[21:22], v6, s[4:5]
	s_add_i32 s23, s22, -8
	s_add_u32 s4, s4, 8
	s_addc_u32 s5, s5, 0
.LBB3_1032:                             ;   in Loop: Header=BB3_990 Depth=1
	s_cmp_gt_u32 s23, 7
	s_cbranch_scc1 .LBB3_1037
; %bb.1033:                             ;   in Loop: Header=BB3_990 Depth=1
	v_mov_b32_e32 v23, 0
	v_mov_b32_e32 v24, 0
	s_cmp_eq_u32 s23, 0
	s_cbranch_scc1 .LBB3_1036
; %bb.1034:                             ;   in Loop: Header=BB3_990 Depth=1
	s_mov_b64 s[18:19], 0
	s_mov_b64 s[20:21], s[4:5]
.LBB3_1035:                             ;   Parent Loop BB3_990 Depth=1
                                        ; =>  This Inner Loop Header: Depth=2
	global_load_ubyte v4, v6, s[20:21]
	s_add_i32 s23, s23, -1
	s_waitcnt vmcnt(0)
	v_and_b32_e32 v5, 0xffff, v4
	v_lshlrev_b64 v[4:5], s18, v[5:6]
	s_add_u32 s18, s18, 8
	s_addc_u32 s19, s19, 0
	s_add_u32 s20, s20, 1
	s_addc_u32 s21, s21, 0
	s_cmp_lg_u32 s23, 0
	v_or_b32_e32 v23, v4, v23
	v_or_b32_e32 v24, v5, v24
	s_cbranch_scc1 .LBB3_1035
.LBB3_1036:                             ;   in Loop: Header=BB3_990 Depth=1
	s_cbranch_execz .LBB3_1038
	s_branch .LBB3_1039
.LBB3_1037:                             ;   in Loop: Header=BB3_990 Depth=1
.LBB3_1038:                             ;   in Loop: Header=BB3_990 Depth=1
	global_load_dwordx2 v[23:24], v6, s[4:5]
.LBB3_1039:                             ;   in Loop: Header=BB3_990 Depth=1
	v_readfirstlane_b32 s4, v49
	s_waitcnt vmcnt(0)
	v_mov_b32_e32 v4, 0
	v_mov_b32_e32 v5, 0
	v_cmp_eq_u32_e64 s4, s4, v49
	s_and_saveexec_b32 s5, s4
	s_cbranch_execz .LBB3_1045
; %bb.1040:                             ;   in Loop: Header=BB3_990 Depth=1
	global_load_dwordx2 v[27:28], v6, s[26:27] offset:24 glc dlc
	s_waitcnt vmcnt(0)
	buffer_gl1_inv
	buffer_gl0_inv
	s_clause 0x1
	global_load_dwordx2 v[4:5], v6, s[26:27] offset:40
	global_load_dwordx2 v[9:10], v6, s[26:27]
	s_mov_b32 s18, exec_lo
	s_waitcnt vmcnt(1)
	v_and_b32_e32 v5, v5, v28
	v_and_b32_e32 v4, v4, v27
	v_mul_lo_u32 v5, v5, 24
	v_mul_hi_u32 v25, v4, 24
	v_mul_lo_u32 v4, v4, 24
	v_add_nc_u32_e32 v5, v25, v5
	s_waitcnt vmcnt(0)
	v_add_co_u32 v4, vcc_lo, v9, v4
	v_add_co_ci_u32_e32 v5, vcc_lo, v10, v5, vcc_lo
	global_load_dwordx2 v[25:26], v[4:5], off glc dlc
	s_waitcnt vmcnt(0)
	global_atomic_cmpswap_x2 v[4:5], v6, v[25:28], s[26:27] offset:24 glc
	s_waitcnt vmcnt(0)
	buffer_gl1_inv
	buffer_gl0_inv
	v_cmpx_ne_u64_e64 v[4:5], v[27:28]
	s_cbranch_execz .LBB3_1044
; %bb.1041:                             ;   in Loop: Header=BB3_990 Depth=1
	s_mov_b32 s19, 0
	.p2align	6
.LBB3_1042:                             ;   Parent Loop BB3_990 Depth=1
                                        ; =>  This Inner Loop Header: Depth=2
	s_sleep 1
	s_clause 0x1
	global_load_dwordx2 v[9:10], v6, s[26:27] offset:40
	global_load_dwordx2 v[25:26], v6, s[26:27]
	v_mov_b32_e32 v28, v5
	v_mov_b32_e32 v27, v4
	s_waitcnt vmcnt(1)
	v_and_b32_e32 v4, v9, v27
	v_and_b32_e32 v9, v10, v28
	s_waitcnt vmcnt(0)
	v_mad_u64_u32 v[4:5], null, v4, 24, v[25:26]
	v_mad_u64_u32 v[9:10], null, v9, 24, v[5:6]
	v_mov_b32_e32 v5, v9
	global_load_dwordx2 v[25:26], v[4:5], off glc dlc
	s_waitcnt vmcnt(0)
	global_atomic_cmpswap_x2 v[4:5], v6, v[25:28], s[26:27] offset:24 glc
	s_waitcnt vmcnt(0)
	buffer_gl1_inv
	buffer_gl0_inv
	v_cmp_eq_u64_e32 vcc_lo, v[4:5], v[27:28]
	s_or_b32 s19, vcc_lo, s19
	s_andn2_b32 exec_lo, exec_lo, s19
	s_cbranch_execnz .LBB3_1042
; %bb.1043:                             ;   in Loop: Header=BB3_990 Depth=1
	s_or_b32 exec_lo, exec_lo, s19
.LBB3_1044:                             ;   in Loop: Header=BB3_990 Depth=1
	s_or_b32 exec_lo, exec_lo, s18
.LBB3_1045:                             ;   in Loop: Header=BB3_990 Depth=1
	s_or_b32 exec_lo, exec_lo, s5
	s_clause 0x1
	global_load_dwordx2 v[9:10], v6, s[26:27] offset:40
	global_load_dwordx4 v[25:28], v6, s[26:27]
	v_readfirstlane_b32 s18, v4
	v_readfirstlane_b32 s19, v5
	s_mov_b32 s5, exec_lo
	s_waitcnt vmcnt(1)
	v_readfirstlane_b32 s20, v9
	v_readfirstlane_b32 s21, v10
	s_and_b64 s[20:21], s[18:19], s[20:21]
	s_mul_i32 s22, s21, 24
	s_mul_hi_u32 s23, s20, 24
	s_mul_i32 s24, s20, 24
	s_add_i32 s23, s23, s22
	s_waitcnt vmcnt(0)
	v_add_co_u32 v29, vcc_lo, v25, s24
	v_add_co_ci_u32_e32 v30, vcc_lo, s23, v26, vcc_lo
	s_and_saveexec_b32 s22, s4
	s_cbranch_execz .LBB3_1047
; %bb.1046:                             ;   in Loop: Header=BB3_990 Depth=1
	v_mov_b32_e32 v5, s5
	global_store_dwordx4 v[29:30], v[5:8], off offset:8
.LBB3_1047:                             ;   in Loop: Header=BB3_990 Depth=1
	s_or_b32 exec_lo, exec_lo, s22
	s_lshl_b64 s[20:21], s[20:21], 12
	v_cmp_gt_u64_e64 vcc_lo, s[10:11], 56
	v_or_b32_e32 v5, v2, v31
	v_add_co_u32 v27, s5, v27, s20
	v_add_co_ci_u32_e64 v28, s5, s21, v28, s5
	s_lshl_b32 s5, s16, 2
	v_or_b32_e32 v4, 0, v3
	v_cndmask_b32_e32 v2, v5, v2, vcc_lo
	s_add_i32 s5, s5, 28
	v_readfirstlane_b32 s20, v27
	s_and_b32 s5, s5, 0x1e0
	v_cndmask_b32_e32 v10, v4, v3, vcc_lo
	v_readfirstlane_b32 s21, v28
	v_and_or_b32 v9, 0xffffff1f, v2, s5
	global_store_dwordx4 v48, v[9:12], s[20:21]
	global_store_dwordx4 v48, v[13:16], s[20:21] offset:16
	global_store_dwordx4 v48, v[17:20], s[20:21] offset:32
	;; [unrolled: 1-line block ×3, first 2 shown]
	s_and_saveexec_b32 s5, s4
	s_cbranch_execz .LBB3_1055
; %bb.1048:                             ;   in Loop: Header=BB3_990 Depth=1
	s_clause 0x1
	global_load_dwordx2 v[13:14], v6, s[26:27] offset:32 glc dlc
	global_load_dwordx2 v[2:3], v6, s[26:27] offset:40
	v_mov_b32_e32 v11, s18
	v_mov_b32_e32 v12, s19
	s_waitcnt vmcnt(0)
	v_readfirstlane_b32 s20, v2
	v_readfirstlane_b32 s21, v3
	s_and_b64 s[20:21], s[20:21], s[18:19]
	s_mul_i32 s21, s21, 24
	s_mul_hi_u32 s22, s20, 24
	s_mul_i32 s20, s20, 24
	s_add_i32 s22, s22, s21
	v_add_co_u32 v9, vcc_lo, v25, s20
	v_add_co_ci_u32_e32 v10, vcc_lo, s22, v26, vcc_lo
	s_mov_b32 s20, exec_lo
	global_store_dwordx2 v[9:10], v[13:14], off
	s_waitcnt_vscnt null, 0x0
	global_atomic_cmpswap_x2 v[4:5], v6, v[11:14], s[26:27] offset:32 glc
	s_waitcnt vmcnt(0)
	v_cmpx_ne_u64_e64 v[4:5], v[13:14]
	s_cbranch_execz .LBB3_1051
; %bb.1049:                             ;   in Loop: Header=BB3_990 Depth=1
	s_mov_b32 s21, 0
.LBB3_1050:                             ;   Parent Loop BB3_990 Depth=1
                                        ; =>  This Inner Loop Header: Depth=2
	v_mov_b32_e32 v2, s18
	v_mov_b32_e32 v3, s19
	s_sleep 1
	global_store_dwordx2 v[9:10], v[4:5], off
	s_waitcnt_vscnt null, 0x0
	global_atomic_cmpswap_x2 v[2:3], v6, v[2:5], s[26:27] offset:32 glc
	s_waitcnt vmcnt(0)
	v_cmp_eq_u64_e32 vcc_lo, v[2:3], v[4:5]
	v_mov_b32_e32 v5, v3
	v_mov_b32_e32 v4, v2
	s_or_b32 s21, vcc_lo, s21
	s_andn2_b32 exec_lo, exec_lo, s21
	s_cbranch_execnz .LBB3_1050
.LBB3_1051:                             ;   in Loop: Header=BB3_990 Depth=1
	s_or_b32 exec_lo, exec_lo, s20
	global_load_dwordx2 v[2:3], v6, s[26:27] offset:16
	s_mov_b32 s21, exec_lo
	s_mov_b32 s20, exec_lo
	v_mbcnt_lo_u32_b32 v4, s21, 0
	v_cmpx_eq_u32_e32 0, v4
	s_cbranch_execz .LBB3_1053
; %bb.1052:                             ;   in Loop: Header=BB3_990 Depth=1
	s_bcnt1_i32_b32 s21, s21
	v_mov_b32_e32 v5, s21
	s_waitcnt vmcnt(0)
	global_atomic_add_x2 v[2:3], v[5:6], off offset:8
.LBB3_1053:                             ;   in Loop: Header=BB3_990 Depth=1
	s_or_b32 exec_lo, exec_lo, s20
	s_waitcnt vmcnt(0)
	global_load_dwordx2 v[9:10], v[2:3], off offset:16
	s_waitcnt vmcnt(0)
	v_cmp_eq_u64_e32 vcc_lo, 0, v[9:10]
	s_cbranch_vccnz .LBB3_1055
; %bb.1054:                             ;   in Loop: Header=BB3_990 Depth=1
	global_load_dword v5, v[2:3], off offset:24
	s_waitcnt vmcnt(0)
	v_and_b32_e32 v2, 0x7fffff, v5
	s_waitcnt_vscnt null, 0x0
	global_store_dwordx2 v[9:10], v[5:6], off
	v_readfirstlane_b32 m0, v2
	s_sendmsg sendmsg(MSG_INTERRUPT)
.LBB3_1055:                             ;   in Loop: Header=BB3_990 Depth=1
	s_or_b32 exec_lo, exec_lo, s5
	v_add_co_u32 v2, vcc_lo, v27, v48
	v_add_co_ci_u32_e32 v3, vcc_lo, 0, v28, vcc_lo
	s_branch .LBB3_1059
	.p2align	6
.LBB3_1056:                             ;   in Loop: Header=BB3_1059 Depth=2
	s_or_b32 exec_lo, exec_lo, s5
	v_readfirstlane_b32 s5, v4
	s_cmp_eq_u32 s5, 0
	s_cbranch_scc1 .LBB3_1058
; %bb.1057:                             ;   in Loop: Header=BB3_1059 Depth=2
	s_sleep 1
	s_cbranch_execnz .LBB3_1059
	s_branch .LBB3_1061
	.p2align	6
.LBB3_1058:                             ;   in Loop: Header=BB3_990 Depth=1
	s_branch .LBB3_1061
.LBB3_1059:                             ;   Parent Loop BB3_990 Depth=1
                                        ; =>  This Inner Loop Header: Depth=2
	v_mov_b32_e32 v4, 1
	s_and_saveexec_b32 s5, s4
	s_cbranch_execz .LBB3_1056
; %bb.1060:                             ;   in Loop: Header=BB3_1059 Depth=2
	global_load_dword v4, v[29:30], off offset:20 glc dlc
	s_waitcnt vmcnt(0)
	buffer_gl1_inv
	buffer_gl0_inv
	v_and_b32_e32 v4, 1, v4
	s_branch .LBB3_1056
.LBB3_1061:                             ;   in Loop: Header=BB3_990 Depth=1
	global_load_dwordx4 v[2:5], v[2:3], off
	s_and_saveexec_b32 s5, s4
	s_cbranch_execz .LBB3_989
; %bb.1062:                             ;   in Loop: Header=BB3_990 Depth=1
	s_clause 0x2
	global_load_dwordx2 v[4:5], v6, s[26:27] offset:40
	global_load_dwordx2 v[13:14], v6, s[26:27] offset:24 glc dlc
	global_load_dwordx2 v[11:12], v6, s[26:27]
	s_waitcnt vmcnt(2)
	v_add_co_u32 v15, vcc_lo, v4, 1
	v_add_co_ci_u32_e32 v16, vcc_lo, 0, v5, vcc_lo
	v_add_co_u32 v9, vcc_lo, v15, s18
	v_add_co_ci_u32_e32 v10, vcc_lo, s19, v16, vcc_lo
	v_cmp_eq_u64_e32 vcc_lo, 0, v[9:10]
	v_cndmask_b32_e32 v10, v10, v16, vcc_lo
	v_cndmask_b32_e32 v9, v9, v15, vcc_lo
	v_and_b32_e32 v5, v10, v5
	v_and_b32_e32 v4, v9, v4
	v_mul_lo_u32 v5, v5, 24
	v_mul_hi_u32 v15, v4, 24
	v_mul_lo_u32 v4, v4, 24
	v_add_nc_u32_e32 v5, v15, v5
	s_waitcnt vmcnt(0)
	v_add_co_u32 v4, vcc_lo, v11, v4
	v_mov_b32_e32 v11, v13
	v_add_co_ci_u32_e32 v5, vcc_lo, v12, v5, vcc_lo
	v_mov_b32_e32 v12, v14
	global_store_dwordx2 v[4:5], v[13:14], off
	s_waitcnt_vscnt null, 0x0
	global_atomic_cmpswap_x2 v[11:12], v6, v[9:12], s[26:27] offset:24 glc
	s_waitcnt vmcnt(0)
	v_cmp_ne_u64_e32 vcc_lo, v[11:12], v[13:14]
	s_and_b32 exec_lo, exec_lo, vcc_lo
	s_cbranch_execz .LBB3_989
; %bb.1063:                             ;   in Loop: Header=BB3_990 Depth=1
	s_mov_b32 s4, 0
.LBB3_1064:                             ;   Parent Loop BB3_990 Depth=1
                                        ; =>  This Inner Loop Header: Depth=2
	s_sleep 1
	global_store_dwordx2 v[4:5], v[11:12], off
	s_waitcnt_vscnt null, 0x0
	global_atomic_cmpswap_x2 v[13:14], v6, v[9:12], s[26:27] offset:24 glc
	s_waitcnt vmcnt(0)
	v_cmp_eq_u64_e32 vcc_lo, v[13:14], v[11:12]
	v_mov_b32_e32 v11, v13
	v_mov_b32_e32 v12, v14
	s_or_b32 s4, vcc_lo, s4
	s_andn2_b32 exec_lo, exec_lo, s4
	s_cbranch_execnz .LBB3_1064
	s_branch .LBB3_989
.LBB3_1065:
	s_branch .LBB3_1094
.LBB3_1066:
                                        ; implicit-def: $vgpr2_vgpr3
	s_cbranch_execz .LBB3_1094
; %bb.1067:
	v_readfirstlane_b32 s4, v49
	v_mov_b32_e32 v8, 0
	v_mov_b32_e32 v9, 0
	v_cmp_eq_u32_e64 s4, s4, v49
	s_and_saveexec_b32 s5, s4
	s_cbranch_execz .LBB3_1073
; %bb.1068:
	s_waitcnt vmcnt(0)
	v_mov_b32_e32 v2, 0
	s_mov_b32 s6, exec_lo
	global_load_dwordx2 v[5:6], v2, s[26:27] offset:24 glc dlc
	s_waitcnt vmcnt(0)
	buffer_gl1_inv
	buffer_gl0_inv
	s_clause 0x1
	global_load_dwordx2 v[3:4], v2, s[26:27] offset:40
	global_load_dwordx2 v[7:8], v2, s[26:27]
	s_waitcnt vmcnt(1)
	v_and_b32_e32 v4, v4, v6
	v_and_b32_e32 v3, v3, v5
	v_mul_lo_u32 v4, v4, 24
	v_mul_hi_u32 v9, v3, 24
	v_mul_lo_u32 v3, v3, 24
	v_add_nc_u32_e32 v4, v9, v4
	s_waitcnt vmcnt(0)
	v_add_co_u32 v3, vcc_lo, v7, v3
	v_add_co_ci_u32_e32 v4, vcc_lo, v8, v4, vcc_lo
	global_load_dwordx2 v[3:4], v[3:4], off glc dlc
	s_waitcnt vmcnt(0)
	global_atomic_cmpswap_x2 v[8:9], v2, v[3:6], s[26:27] offset:24 glc
	s_waitcnt vmcnt(0)
	buffer_gl1_inv
	buffer_gl0_inv
	v_cmpx_ne_u64_e64 v[8:9], v[5:6]
	s_cbranch_execz .LBB3_1072
; %bb.1069:
	s_mov_b32 s7, 0
	.p2align	6
.LBB3_1070:                             ; =>This Inner Loop Header: Depth=1
	s_sleep 1
	s_clause 0x1
	global_load_dwordx2 v[3:4], v2, s[26:27] offset:40
	global_load_dwordx2 v[10:11], v2, s[26:27]
	v_mov_b32_e32 v5, v8
	v_mov_b32_e32 v6, v9
	s_waitcnt vmcnt(1)
	v_and_b32_e32 v3, v3, v5
	v_and_b32_e32 v4, v4, v6
	s_waitcnt vmcnt(0)
	v_mad_u64_u32 v[7:8], null, v3, 24, v[10:11]
	v_mov_b32_e32 v3, v8
	v_mad_u64_u32 v[3:4], null, v4, 24, v[3:4]
	v_mov_b32_e32 v8, v3
	global_load_dwordx2 v[3:4], v[7:8], off glc dlc
	s_waitcnt vmcnt(0)
	global_atomic_cmpswap_x2 v[8:9], v2, v[3:6], s[26:27] offset:24 glc
	s_waitcnt vmcnt(0)
	buffer_gl1_inv
	buffer_gl0_inv
	v_cmp_eq_u64_e32 vcc_lo, v[8:9], v[5:6]
	s_or_b32 s7, vcc_lo, s7
	s_andn2_b32 exec_lo, exec_lo, s7
	s_cbranch_execnz .LBB3_1070
; %bb.1071:
	s_or_b32 exec_lo, exec_lo, s7
.LBB3_1072:
	s_or_b32 exec_lo, exec_lo, s6
.LBB3_1073:
	s_or_b32 exec_lo, exec_lo, s5
	s_waitcnt vmcnt(0)
	v_mov_b32_e32 v2, 0
	v_readfirstlane_b32 s6, v8
	v_readfirstlane_b32 s7, v9
	s_mov_b32 s5, exec_lo
	s_clause 0x1
	global_load_dwordx2 v[10:11], v2, s[26:27] offset:40
	global_load_dwordx4 v[4:7], v2, s[26:27]
	s_waitcnt vmcnt(1)
	v_readfirstlane_b32 s10, v10
	v_readfirstlane_b32 s11, v11
	s_and_b64 s[10:11], s[6:7], s[10:11]
	s_mul_i32 s16, s11, 24
	s_mul_hi_u32 s17, s10, 24
	s_mul_i32 s18, s10, 24
	s_add_i32 s17, s17, s16
	s_waitcnt vmcnt(0)
	v_add_co_u32 v8, vcc_lo, v4, s18
	v_add_co_ci_u32_e32 v9, vcc_lo, s17, v5, vcc_lo
	s_and_saveexec_b32 s16, s4
	s_cbranch_execz .LBB3_1075
; %bb.1074:
	v_mov_b32_e32 v10, s5
	v_mov_b32_e32 v11, v2
	;; [unrolled: 1-line block ×4, first 2 shown]
	global_store_dwordx4 v[8:9], v[10:13], off offset:8
.LBB3_1075:
	s_or_b32 exec_lo, exec_lo, s16
	s_lshl_b64 s[10:11], s[10:11], 12
	s_mov_b32 s16, 0
	v_add_co_u32 v6, vcc_lo, v6, s10
	v_add_co_ci_u32_e32 v7, vcc_lo, s11, v7, vcc_lo
	s_mov_b32 s17, s16
	v_readfirstlane_b32 s10, v6
	v_add_co_u32 v6, vcc_lo, v6, v48
	s_mov_b32 s18, s16
	s_mov_b32 s19, s16
	v_and_or_b32 v0, 0xffffff1f, v0, 32
	v_mov_b32_e32 v3, v2
	v_readfirstlane_b32 s11, v7
	v_mov_b32_e32 v10, s16
	v_add_co_ci_u32_e32 v7, vcc_lo, 0, v7, vcc_lo
	v_mov_b32_e32 v11, s17
	v_mov_b32_e32 v12, s18
	v_mov_b32_e32 v13, s19
	global_store_dwordx4 v48, v[0:3], s[10:11]
	global_store_dwordx4 v48, v[10:13], s[10:11] offset:16
	global_store_dwordx4 v48, v[10:13], s[10:11] offset:32
	;; [unrolled: 1-line block ×3, first 2 shown]
	s_and_saveexec_b32 s5, s4
	s_cbranch_execz .LBB3_1083
; %bb.1076:
	v_mov_b32_e32 v10, 0
	v_mov_b32_e32 v11, s6
	;; [unrolled: 1-line block ×3, first 2 shown]
	s_clause 0x1
	global_load_dwordx2 v[13:14], v10, s[26:27] offset:32 glc dlc
	global_load_dwordx2 v[0:1], v10, s[26:27] offset:40
	s_waitcnt vmcnt(0)
	v_readfirstlane_b32 s10, v0
	v_readfirstlane_b32 s11, v1
	s_and_b64 s[10:11], s[10:11], s[6:7]
	s_mul_i32 s11, s11, 24
	s_mul_hi_u32 s16, s10, 24
	s_mul_i32 s10, s10, 24
	s_add_i32 s16, s16, s11
	v_add_co_u32 v4, vcc_lo, v4, s10
	v_add_co_ci_u32_e32 v5, vcc_lo, s16, v5, vcc_lo
	s_mov_b32 s10, exec_lo
	global_store_dwordx2 v[4:5], v[13:14], off
	s_waitcnt_vscnt null, 0x0
	global_atomic_cmpswap_x2 v[2:3], v10, v[11:14], s[26:27] offset:32 glc
	s_waitcnt vmcnt(0)
	v_cmpx_ne_u64_e64 v[2:3], v[13:14]
	s_cbranch_execz .LBB3_1079
; %bb.1077:
	s_mov_b32 s11, 0
.LBB3_1078:                             ; =>This Inner Loop Header: Depth=1
	v_mov_b32_e32 v0, s6
	v_mov_b32_e32 v1, s7
	s_sleep 1
	global_store_dwordx2 v[4:5], v[2:3], off
	s_waitcnt_vscnt null, 0x0
	global_atomic_cmpswap_x2 v[0:1], v10, v[0:3], s[26:27] offset:32 glc
	s_waitcnt vmcnt(0)
	v_cmp_eq_u64_e32 vcc_lo, v[0:1], v[2:3]
	v_mov_b32_e32 v3, v1
	v_mov_b32_e32 v2, v0
	s_or_b32 s11, vcc_lo, s11
	s_andn2_b32 exec_lo, exec_lo, s11
	s_cbranch_execnz .LBB3_1078
.LBB3_1079:
	s_or_b32 exec_lo, exec_lo, s10
	v_mov_b32_e32 v3, 0
	s_mov_b32 s11, exec_lo
	s_mov_b32 s10, exec_lo
	v_mbcnt_lo_u32_b32 v2, s11, 0
	global_load_dwordx2 v[0:1], v3, s[26:27] offset:16
	v_cmpx_eq_u32_e32 0, v2
	s_cbranch_execz .LBB3_1081
; %bb.1080:
	s_bcnt1_i32_b32 s11, s11
	v_mov_b32_e32 v2, s11
	s_waitcnt vmcnt(0)
	global_atomic_add_x2 v[0:1], v[2:3], off offset:8
.LBB3_1081:
	s_or_b32 exec_lo, exec_lo, s10
	s_waitcnt vmcnt(0)
	global_load_dwordx2 v[2:3], v[0:1], off offset:16
	s_waitcnt vmcnt(0)
	v_cmp_eq_u64_e32 vcc_lo, 0, v[2:3]
	s_cbranch_vccnz .LBB3_1083
; %bb.1082:
	global_load_dword v0, v[0:1], off offset:24
	v_mov_b32_e32 v1, 0
	s_waitcnt vmcnt(0)
	v_and_b32_e32 v4, 0x7fffff, v0
	s_waitcnt_vscnt null, 0x0
	global_store_dwordx2 v[2:3], v[0:1], off
	v_readfirstlane_b32 m0, v4
	s_sendmsg sendmsg(MSG_INTERRUPT)
.LBB3_1083:
	s_or_b32 exec_lo, exec_lo, s5
	s_branch .LBB3_1087
	.p2align	6
.LBB3_1084:                             ;   in Loop: Header=BB3_1087 Depth=1
	s_or_b32 exec_lo, exec_lo, s5
	v_readfirstlane_b32 s5, v0
	s_cmp_eq_u32 s5, 0
	s_cbranch_scc1 .LBB3_1086
; %bb.1085:                             ;   in Loop: Header=BB3_1087 Depth=1
	s_sleep 1
	s_cbranch_execnz .LBB3_1087
	s_branch .LBB3_1089
	.p2align	6
.LBB3_1086:
	s_branch .LBB3_1089
.LBB3_1087:                             ; =>This Inner Loop Header: Depth=1
	v_mov_b32_e32 v0, 1
	s_and_saveexec_b32 s5, s4
	s_cbranch_execz .LBB3_1084
; %bb.1088:                             ;   in Loop: Header=BB3_1087 Depth=1
	global_load_dword v0, v[8:9], off offset:20 glc dlc
	s_waitcnt vmcnt(0)
	buffer_gl1_inv
	buffer_gl0_inv
	v_and_b32_e32 v0, 1, v0
	s_branch .LBB3_1084
.LBB3_1089:
	global_load_dwordx2 v[2:3], v[6:7], off
	s_and_saveexec_b32 s5, s4
	s_cbranch_execz .LBB3_1093
; %bb.1090:
	v_mov_b32_e32 v8, 0
	s_clause 0x2
	global_load_dwordx2 v[0:1], v8, s[26:27] offset:40
	global_load_dwordx2 v[9:10], v8, s[26:27] offset:24 glc dlc
	global_load_dwordx2 v[6:7], v8, s[26:27]
	s_waitcnt vmcnt(2)
	v_add_co_u32 v11, vcc_lo, v0, 1
	v_add_co_ci_u32_e32 v12, vcc_lo, 0, v1, vcc_lo
	v_add_co_u32 v4, vcc_lo, v11, s6
	v_add_co_ci_u32_e32 v5, vcc_lo, s7, v12, vcc_lo
	v_cmp_eq_u64_e32 vcc_lo, 0, v[4:5]
	v_cndmask_b32_e32 v5, v5, v12, vcc_lo
	v_cndmask_b32_e32 v4, v4, v11, vcc_lo
	v_and_b32_e32 v1, v5, v1
	v_and_b32_e32 v0, v4, v0
	v_mul_lo_u32 v1, v1, 24
	v_mul_hi_u32 v11, v0, 24
	v_mul_lo_u32 v0, v0, 24
	v_add_nc_u32_e32 v1, v11, v1
	s_waitcnt vmcnt(0)
	v_add_co_u32 v0, vcc_lo, v6, v0
	v_mov_b32_e32 v6, v9
	v_add_co_ci_u32_e32 v1, vcc_lo, v7, v1, vcc_lo
	v_mov_b32_e32 v7, v10
	global_store_dwordx2 v[0:1], v[9:10], off
	s_waitcnt_vscnt null, 0x0
	global_atomic_cmpswap_x2 v[6:7], v8, v[4:7], s[26:27] offset:24 glc
	s_waitcnt vmcnt(0)
	v_cmp_ne_u64_e32 vcc_lo, v[6:7], v[9:10]
	s_and_b32 exec_lo, exec_lo, vcc_lo
	s_cbranch_execz .LBB3_1093
; %bb.1091:
	s_mov_b32 s4, 0
.LBB3_1092:                             ; =>This Inner Loop Header: Depth=1
	s_sleep 1
	global_store_dwordx2 v[0:1], v[6:7], off
	s_waitcnt_vscnt null, 0x0
	global_atomic_cmpswap_x2 v[9:10], v8, v[4:7], s[26:27] offset:24 glc
	s_waitcnt vmcnt(0)
	v_cmp_eq_u64_e32 vcc_lo, v[9:10], v[6:7]
	v_mov_b32_e32 v6, v9
	v_mov_b32_e32 v7, v10
	s_or_b32 s4, vcc_lo, s4
	s_andn2_b32 exec_lo, exec_lo, s4
	s_cbranch_execnz .LBB3_1092
.LBB3_1093:
	s_or_b32 exec_lo, exec_lo, s5
.LBB3_1094:
	v_readfirstlane_b32 s4, v49
	s_waitcnt vmcnt(0)
	v_mov_b32_e32 v0, 0
	v_mov_b32_e32 v1, 0
	v_cmp_eq_u32_e64 s4, s4, v49
	s_and_saveexec_b32 s5, s4
	s_cbranch_execz .LBB3_1100
; %bb.1095:
	v_mov_b32_e32 v4, 0
	s_mov_b32 s6, exec_lo
	global_load_dwordx2 v[7:8], v4, s[26:27] offset:24 glc dlc
	s_waitcnt vmcnt(0)
	buffer_gl1_inv
	buffer_gl0_inv
	s_clause 0x1
	global_load_dwordx2 v[0:1], v4, s[26:27] offset:40
	global_load_dwordx2 v[5:6], v4, s[26:27]
	s_waitcnt vmcnt(1)
	v_and_b32_e32 v1, v1, v8
	v_and_b32_e32 v0, v0, v7
	v_mul_lo_u32 v1, v1, 24
	v_mul_hi_u32 v9, v0, 24
	v_mul_lo_u32 v0, v0, 24
	v_add_nc_u32_e32 v1, v9, v1
	s_waitcnt vmcnt(0)
	v_add_co_u32 v0, vcc_lo, v5, v0
	v_add_co_ci_u32_e32 v1, vcc_lo, v6, v1, vcc_lo
	global_load_dwordx2 v[5:6], v[0:1], off glc dlc
	s_waitcnt vmcnt(0)
	global_atomic_cmpswap_x2 v[0:1], v4, v[5:8], s[26:27] offset:24 glc
	s_waitcnt vmcnt(0)
	buffer_gl1_inv
	buffer_gl0_inv
	v_cmpx_ne_u64_e64 v[0:1], v[7:8]
	s_cbranch_execz .LBB3_1099
; %bb.1096:
	s_mov_b32 s7, 0
	.p2align	6
.LBB3_1097:                             ; =>This Inner Loop Header: Depth=1
	s_sleep 1
	s_clause 0x1
	global_load_dwordx2 v[5:6], v4, s[26:27] offset:40
	global_load_dwordx2 v[9:10], v4, s[26:27]
	v_mov_b32_e32 v8, v1
	v_mov_b32_e32 v7, v0
	s_waitcnt vmcnt(1)
	v_and_b32_e32 v0, v5, v7
	v_and_b32_e32 v5, v6, v8
	s_waitcnt vmcnt(0)
	v_mad_u64_u32 v[0:1], null, v0, 24, v[9:10]
	v_mad_u64_u32 v[5:6], null, v5, 24, v[1:2]
	v_mov_b32_e32 v1, v5
	global_load_dwordx2 v[5:6], v[0:1], off glc dlc
	s_waitcnt vmcnt(0)
	global_atomic_cmpswap_x2 v[0:1], v4, v[5:8], s[26:27] offset:24 glc
	s_waitcnt vmcnt(0)
	buffer_gl1_inv
	buffer_gl0_inv
	v_cmp_eq_u64_e32 vcc_lo, v[0:1], v[7:8]
	s_or_b32 s7, vcc_lo, s7
	s_andn2_b32 exec_lo, exec_lo, s7
	s_cbranch_execnz .LBB3_1097
; %bb.1098:
	s_or_b32 exec_lo, exec_lo, s7
.LBB3_1099:
	s_or_b32 exec_lo, exec_lo, s6
.LBB3_1100:
	s_or_b32 exec_lo, exec_lo, s5
	v_mov_b32_e32 v5, 0
	v_readfirstlane_b32 s6, v0
	v_readfirstlane_b32 s7, v1
	s_mov_b32 s5, exec_lo
	s_clause 0x1
	global_load_dwordx2 v[10:11], v5, s[26:27] offset:40
	global_load_dwordx4 v[6:9], v5, s[26:27]
	s_waitcnt vmcnt(1)
	v_readfirstlane_b32 s10, v10
	v_readfirstlane_b32 s11, v11
	s_and_b64 s[10:11], s[6:7], s[10:11]
	s_mul_i32 s16, s11, 24
	s_mul_hi_u32 s17, s10, 24
	s_mul_i32 s18, s10, 24
	s_add_i32 s17, s17, s16
	s_waitcnt vmcnt(0)
	v_add_co_u32 v10, vcc_lo, v6, s18
	v_add_co_ci_u32_e32 v11, vcc_lo, s17, v7, vcc_lo
	s_and_saveexec_b32 s16, s4
	s_cbranch_execz .LBB3_1102
; %bb.1101:
	v_mov_b32_e32 v4, s5
	v_mov_b32_e32 v13, v5
	;; [unrolled: 1-line block ×5, first 2 shown]
	global_store_dwordx4 v[10:11], v[12:15], off offset:8
.LBB3_1102:
	s_or_b32 exec_lo, exec_lo, s16
	s_lshl_b64 s[10:11], s[10:11], 12
	s_mov_b32 s16, 0
	v_add_co_u32 v0, vcc_lo, v8, s10
	v_add_co_ci_u32_e32 v1, vcc_lo, s11, v9, vcc_lo
	s_mov_b32 s17, s16
	s_mov_b32 s18, s16
	;; [unrolled: 1-line block ×3, first 2 shown]
	v_and_or_b32 v2, 0xffffff1d, v2, 34
	v_mov_b32_e32 v4, 58
	v_readfirstlane_b32 s10, v0
	v_readfirstlane_b32 s11, v1
	v_mov_b32_e32 v12, s16
	v_mov_b32_e32 v13, s17
	;; [unrolled: 1-line block ×4, first 2 shown]
	global_store_dwordx4 v48, v[2:5], s[10:11]
	global_store_dwordx4 v48, v[12:15], s[10:11] offset:16
	global_store_dwordx4 v48, v[12:15], s[10:11] offset:32
	;; [unrolled: 1-line block ×3, first 2 shown]
	s_and_saveexec_b32 s5, s4
	s_cbranch_execz .LBB3_1110
; %bb.1103:
	v_mov_b32_e32 v8, 0
	v_mov_b32_e32 v12, s6
	v_mov_b32_e32 v13, s7
	s_clause 0x1
	global_load_dwordx2 v[14:15], v8, s[26:27] offset:32 glc dlc
	global_load_dwordx2 v[0:1], v8, s[26:27] offset:40
	s_waitcnt vmcnt(0)
	v_readfirstlane_b32 s10, v0
	v_readfirstlane_b32 s11, v1
	s_and_b64 s[10:11], s[10:11], s[6:7]
	s_mul_i32 s11, s11, 24
	s_mul_hi_u32 s16, s10, 24
	s_mul_i32 s10, s10, 24
	s_add_i32 s16, s16, s11
	v_add_co_u32 v4, vcc_lo, v6, s10
	v_add_co_ci_u32_e32 v5, vcc_lo, s16, v7, vcc_lo
	s_mov_b32 s10, exec_lo
	global_store_dwordx2 v[4:5], v[14:15], off
	s_waitcnt_vscnt null, 0x0
	global_atomic_cmpswap_x2 v[2:3], v8, v[12:15], s[26:27] offset:32 glc
	s_waitcnt vmcnt(0)
	v_cmpx_ne_u64_e64 v[2:3], v[14:15]
	s_cbranch_execz .LBB3_1106
; %bb.1104:
	s_mov_b32 s11, 0
.LBB3_1105:                             ; =>This Inner Loop Header: Depth=1
	v_mov_b32_e32 v0, s6
	v_mov_b32_e32 v1, s7
	s_sleep 1
	global_store_dwordx2 v[4:5], v[2:3], off
	s_waitcnt_vscnt null, 0x0
	global_atomic_cmpswap_x2 v[0:1], v8, v[0:3], s[26:27] offset:32 glc
	s_waitcnt vmcnt(0)
	v_cmp_eq_u64_e32 vcc_lo, v[0:1], v[2:3]
	v_mov_b32_e32 v3, v1
	v_mov_b32_e32 v2, v0
	s_or_b32 s11, vcc_lo, s11
	s_andn2_b32 exec_lo, exec_lo, s11
	s_cbranch_execnz .LBB3_1105
.LBB3_1106:
	s_or_b32 exec_lo, exec_lo, s10
	v_mov_b32_e32 v3, 0
	s_mov_b32 s11, exec_lo
	s_mov_b32 s10, exec_lo
	v_mbcnt_lo_u32_b32 v2, s11, 0
	global_load_dwordx2 v[0:1], v3, s[26:27] offset:16
	v_cmpx_eq_u32_e32 0, v2
	s_cbranch_execz .LBB3_1108
; %bb.1107:
	s_bcnt1_i32_b32 s11, s11
	v_mov_b32_e32 v2, s11
	s_waitcnt vmcnt(0)
	global_atomic_add_x2 v[0:1], v[2:3], off offset:8
.LBB3_1108:
	s_or_b32 exec_lo, exec_lo, s10
	s_waitcnt vmcnt(0)
	global_load_dwordx2 v[2:3], v[0:1], off offset:16
	s_waitcnt vmcnt(0)
	v_cmp_eq_u64_e32 vcc_lo, 0, v[2:3]
	s_cbranch_vccnz .LBB3_1110
; %bb.1109:
	global_load_dword v0, v[0:1], off offset:24
	v_mov_b32_e32 v1, 0
	s_waitcnt vmcnt(0)
	v_and_b32_e32 v4, 0x7fffff, v0
	s_waitcnt_vscnt null, 0x0
	global_store_dwordx2 v[2:3], v[0:1], off
	v_readfirstlane_b32 m0, v4
	s_sendmsg sendmsg(MSG_INTERRUPT)
.LBB3_1110:
	s_or_b32 exec_lo, exec_lo, s5
	s_branch .LBB3_1114
	.p2align	6
.LBB3_1111:                             ;   in Loop: Header=BB3_1114 Depth=1
	s_or_b32 exec_lo, exec_lo, s5
	v_readfirstlane_b32 s5, v0
	s_cmp_eq_u32 s5, 0
	s_cbranch_scc1 .LBB3_1113
; %bb.1112:                             ;   in Loop: Header=BB3_1114 Depth=1
	s_sleep 1
	s_cbranch_execnz .LBB3_1114
	s_branch .LBB3_1116
	.p2align	6
.LBB3_1113:
	s_branch .LBB3_1116
.LBB3_1114:                             ; =>This Inner Loop Header: Depth=1
	v_mov_b32_e32 v0, 1
	s_and_saveexec_b32 s5, s4
	s_cbranch_execz .LBB3_1111
; %bb.1115:                             ;   in Loop: Header=BB3_1114 Depth=1
	global_load_dword v0, v[10:11], off offset:20 glc dlc
	s_waitcnt vmcnt(0)
	buffer_gl1_inv
	buffer_gl0_inv
	v_and_b32_e32 v0, 1, v0
	s_branch .LBB3_1111
.LBB3_1116:
	s_and_saveexec_b32 s5, s4
	s_cbranch_execz .LBB3_1120
; %bb.1117:
	v_mov_b32_e32 v6, 0
	s_clause 0x2
	global_load_dwordx2 v[2:3], v6, s[26:27] offset:40
	global_load_dwordx2 v[7:8], v6, s[26:27] offset:24 glc dlc
	global_load_dwordx2 v[4:5], v6, s[26:27]
	s_waitcnt vmcnt(2)
	v_add_co_u32 v9, vcc_lo, v2, 1
	v_add_co_ci_u32_e32 v10, vcc_lo, 0, v3, vcc_lo
	v_add_co_u32 v0, vcc_lo, v9, s6
	v_add_co_ci_u32_e32 v1, vcc_lo, s7, v10, vcc_lo
	v_cmp_eq_u64_e32 vcc_lo, 0, v[0:1]
	v_cndmask_b32_e32 v1, v1, v10, vcc_lo
	v_cndmask_b32_e32 v0, v0, v9, vcc_lo
	v_and_b32_e32 v3, v1, v3
	v_and_b32_e32 v2, v0, v2
	v_mul_lo_u32 v3, v3, 24
	v_mul_hi_u32 v9, v2, 24
	v_mul_lo_u32 v2, v2, 24
	v_add_nc_u32_e32 v3, v9, v3
	s_waitcnt vmcnt(0)
	v_add_co_u32 v4, vcc_lo, v4, v2
	v_mov_b32_e32 v2, v7
	v_add_co_ci_u32_e32 v5, vcc_lo, v5, v3, vcc_lo
	v_mov_b32_e32 v3, v8
	global_store_dwordx2 v[4:5], v[7:8], off
	s_waitcnt_vscnt null, 0x0
	global_atomic_cmpswap_x2 v[2:3], v6, v[0:3], s[26:27] offset:24 glc
	s_waitcnt vmcnt(0)
	v_cmp_ne_u64_e32 vcc_lo, v[2:3], v[7:8]
	s_and_b32 exec_lo, exec_lo, vcc_lo
	s_cbranch_execz .LBB3_1120
; %bb.1118:
	s_mov_b32 s4, 0
.LBB3_1119:                             ; =>This Inner Loop Header: Depth=1
	s_sleep 1
	global_store_dwordx2 v[4:5], v[2:3], off
	s_waitcnt_vscnt null, 0x0
	global_atomic_cmpswap_x2 v[7:8], v6, v[0:3], s[26:27] offset:24 glc
	s_waitcnt vmcnt(0)
	v_cmp_eq_u64_e32 vcc_lo, v[7:8], v[2:3]
	v_mov_b32_e32 v2, v7
	v_mov_b32_e32 v3, v8
	s_or_b32 s4, vcc_lo, s4
	s_andn2_b32 exec_lo, exec_lo, s4
	s_cbranch_execnz .LBB3_1119
.LBB3_1120:
	s_or_b32 exec_lo, exec_lo, s5
	v_readfirstlane_b32 s4, v49
	v_mov_b32_e32 v6, 0
	v_mov_b32_e32 v7, 0
	v_cmp_eq_u32_e64 s4, s4, v49
	s_and_saveexec_b32 s5, s4
	s_cbranch_execz .LBB3_1126
; %bb.1121:
	v_mov_b32_e32 v0, 0
	s_mov_b32 s6, exec_lo
	global_load_dwordx2 v[3:4], v0, s[26:27] offset:24 glc dlc
	s_waitcnt vmcnt(0)
	buffer_gl1_inv
	buffer_gl0_inv
	s_clause 0x1
	global_load_dwordx2 v[1:2], v0, s[26:27] offset:40
	global_load_dwordx2 v[5:6], v0, s[26:27]
	s_waitcnt vmcnt(1)
	v_and_b32_e32 v2, v2, v4
	v_and_b32_e32 v1, v1, v3
	v_mul_lo_u32 v2, v2, 24
	v_mul_hi_u32 v7, v1, 24
	v_mul_lo_u32 v1, v1, 24
	v_add_nc_u32_e32 v2, v7, v2
	s_waitcnt vmcnt(0)
	v_add_co_u32 v1, vcc_lo, v5, v1
	v_add_co_ci_u32_e32 v2, vcc_lo, v6, v2, vcc_lo
	global_load_dwordx2 v[1:2], v[1:2], off glc dlc
	s_waitcnt vmcnt(0)
	global_atomic_cmpswap_x2 v[6:7], v0, v[1:4], s[26:27] offset:24 glc
	s_waitcnt vmcnt(0)
	buffer_gl1_inv
	buffer_gl0_inv
	v_cmpx_ne_u64_e64 v[6:7], v[3:4]
	s_cbranch_execz .LBB3_1125
; %bb.1122:
	s_mov_b32 s7, 0
	.p2align	6
.LBB3_1123:                             ; =>This Inner Loop Header: Depth=1
	s_sleep 1
	s_clause 0x1
	global_load_dwordx2 v[1:2], v0, s[26:27] offset:40
	global_load_dwordx2 v[8:9], v0, s[26:27]
	v_mov_b32_e32 v3, v6
	v_mov_b32_e32 v4, v7
	s_waitcnt vmcnt(1)
	v_and_b32_e32 v1, v1, v3
	v_and_b32_e32 v2, v2, v4
	s_waitcnt vmcnt(0)
	v_mad_u64_u32 v[5:6], null, v1, 24, v[8:9]
	v_mov_b32_e32 v1, v6
	v_mad_u64_u32 v[1:2], null, v2, 24, v[1:2]
	v_mov_b32_e32 v6, v1
	global_load_dwordx2 v[1:2], v[5:6], off glc dlc
	s_waitcnt vmcnt(0)
	global_atomic_cmpswap_x2 v[6:7], v0, v[1:4], s[26:27] offset:24 glc
	s_waitcnt vmcnt(0)
	buffer_gl1_inv
	buffer_gl0_inv
	v_cmp_eq_u64_e32 vcc_lo, v[6:7], v[3:4]
	s_or_b32 s7, vcc_lo, s7
	s_andn2_b32 exec_lo, exec_lo, s7
	s_cbranch_execnz .LBB3_1123
; %bb.1124:
	s_or_b32 exec_lo, exec_lo, s7
.LBB3_1125:
	s_or_b32 exec_lo, exec_lo, s6
.LBB3_1126:
	s_or_b32 exec_lo, exec_lo, s5
	v_mov_b32_e32 v5, 0
	v_readfirstlane_b32 s6, v6
	v_readfirstlane_b32 s7, v7
	s_mov_b32 s5, exec_lo
	s_clause 0x1
	global_load_dwordx2 v[8:9], v5, s[26:27] offset:40
	global_load_dwordx4 v[0:3], v5, s[26:27]
	s_waitcnt vmcnt(1)
	v_readfirstlane_b32 s10, v8
	v_readfirstlane_b32 s11, v9
	s_and_b64 s[10:11], s[6:7], s[10:11]
	s_mul_i32 s16, s11, 24
	s_mul_hi_u32 s17, s10, 24
	s_mul_i32 s18, s10, 24
	s_add_i32 s17, s17, s16
	s_waitcnt vmcnt(0)
	v_add_co_u32 v8, vcc_lo, v0, s18
	v_add_co_ci_u32_e32 v9, vcc_lo, s17, v1, vcc_lo
	s_and_saveexec_b32 s16, s4
	s_cbranch_execz .LBB3_1128
; %bb.1127:
	v_mov_b32_e32 v4, s5
	v_mov_b32_e32 v6, 2
	v_mov_b32_e32 v7, 1
	global_store_dwordx4 v[8:9], v[4:7], off offset:8
.LBB3_1128:
	s_or_b32 exec_lo, exec_lo, s16
	s_lshl_b64 s[10:11], s[10:11], 12
	s_mov_b32 s16, 0
	v_add_co_u32 v2, vcc_lo, v2, s10
	v_add_co_ci_u32_e32 v3, vcc_lo, s11, v3, vcc_lo
	s_mov_b32 s17, s16
	v_add_co_u32 v10, vcc_lo, v2, v48
	s_mov_b32 s18, s16
	s_mov_b32 s19, s16
	v_mov_b32_e32 v4, 33
	v_mov_b32_e32 v6, v5
	;; [unrolled: 1-line block ×3, first 2 shown]
	v_readfirstlane_b32 s10, v2
	v_readfirstlane_b32 s11, v3
	v_mov_b32_e32 v12, s16
	v_add_co_ci_u32_e32 v11, vcc_lo, 0, v3, vcc_lo
	v_mov_b32_e32 v13, s17
	v_mov_b32_e32 v14, s18
	;; [unrolled: 1-line block ×3, first 2 shown]
	global_store_dwordx4 v48, v[4:7], s[10:11]
	global_store_dwordx4 v48, v[12:15], s[10:11] offset:16
	global_store_dwordx4 v48, v[12:15], s[10:11] offset:32
	;; [unrolled: 1-line block ×3, first 2 shown]
	s_and_saveexec_b32 s5, s4
	s_cbranch_execz .LBB3_1136
; %bb.1129:
	v_mov_b32_e32 v6, 0
	v_mov_b32_e32 v12, s6
	;; [unrolled: 1-line block ×3, first 2 shown]
	s_clause 0x1
	global_load_dwordx2 v[14:15], v6, s[26:27] offset:32 glc dlc
	global_load_dwordx2 v[2:3], v6, s[26:27] offset:40
	s_waitcnt vmcnt(0)
	v_readfirstlane_b32 s10, v2
	v_readfirstlane_b32 s11, v3
	s_and_b64 s[10:11], s[10:11], s[6:7]
	s_mul_i32 s11, s11, 24
	s_mul_hi_u32 s16, s10, 24
	s_mul_i32 s10, s10, 24
	s_add_i32 s16, s16, s11
	v_add_co_u32 v4, vcc_lo, v0, s10
	v_add_co_ci_u32_e32 v5, vcc_lo, s16, v1, vcc_lo
	s_mov_b32 s10, exec_lo
	global_store_dwordx2 v[4:5], v[14:15], off
	s_waitcnt_vscnt null, 0x0
	global_atomic_cmpswap_x2 v[2:3], v6, v[12:15], s[26:27] offset:32 glc
	s_waitcnt vmcnt(0)
	v_cmpx_ne_u64_e64 v[2:3], v[14:15]
	s_cbranch_execz .LBB3_1132
; %bb.1130:
	s_mov_b32 s11, 0
.LBB3_1131:                             ; =>This Inner Loop Header: Depth=1
	v_mov_b32_e32 v0, s6
	v_mov_b32_e32 v1, s7
	s_sleep 1
	global_store_dwordx2 v[4:5], v[2:3], off
	s_waitcnt_vscnt null, 0x0
	global_atomic_cmpswap_x2 v[0:1], v6, v[0:3], s[26:27] offset:32 glc
	s_waitcnt vmcnt(0)
	v_cmp_eq_u64_e32 vcc_lo, v[0:1], v[2:3]
	v_mov_b32_e32 v3, v1
	v_mov_b32_e32 v2, v0
	s_or_b32 s11, vcc_lo, s11
	s_andn2_b32 exec_lo, exec_lo, s11
	s_cbranch_execnz .LBB3_1131
.LBB3_1132:
	s_or_b32 exec_lo, exec_lo, s10
	v_mov_b32_e32 v3, 0
	s_mov_b32 s11, exec_lo
	s_mov_b32 s10, exec_lo
	v_mbcnt_lo_u32_b32 v2, s11, 0
	global_load_dwordx2 v[0:1], v3, s[26:27] offset:16
	v_cmpx_eq_u32_e32 0, v2
	s_cbranch_execz .LBB3_1134
; %bb.1133:
	s_bcnt1_i32_b32 s11, s11
	v_mov_b32_e32 v2, s11
	s_waitcnt vmcnt(0)
	global_atomic_add_x2 v[0:1], v[2:3], off offset:8
.LBB3_1134:
	s_or_b32 exec_lo, exec_lo, s10
	s_waitcnt vmcnt(0)
	global_load_dwordx2 v[2:3], v[0:1], off offset:16
	s_waitcnt vmcnt(0)
	v_cmp_eq_u64_e32 vcc_lo, 0, v[2:3]
	s_cbranch_vccnz .LBB3_1136
; %bb.1135:
	global_load_dword v0, v[0:1], off offset:24
	v_mov_b32_e32 v1, 0
	s_waitcnt vmcnt(0)
	v_and_b32_e32 v4, 0x7fffff, v0
	s_waitcnt_vscnt null, 0x0
	global_store_dwordx2 v[2:3], v[0:1], off
	v_readfirstlane_b32 m0, v4
	s_sendmsg sendmsg(MSG_INTERRUPT)
.LBB3_1136:
	s_or_b32 exec_lo, exec_lo, s5
	s_branch .LBB3_1140
	.p2align	6
.LBB3_1137:                             ;   in Loop: Header=BB3_1140 Depth=1
	s_or_b32 exec_lo, exec_lo, s5
	v_readfirstlane_b32 s5, v0
	s_cmp_eq_u32 s5, 0
	s_cbranch_scc1 .LBB3_1139
; %bb.1138:                             ;   in Loop: Header=BB3_1140 Depth=1
	s_sleep 1
	s_cbranch_execnz .LBB3_1140
	s_branch .LBB3_1142
	.p2align	6
.LBB3_1139:
	s_branch .LBB3_1142
.LBB3_1140:                             ; =>This Inner Loop Header: Depth=1
	v_mov_b32_e32 v0, 1
	s_and_saveexec_b32 s5, s4
	s_cbranch_execz .LBB3_1137
; %bb.1141:                             ;   in Loop: Header=BB3_1140 Depth=1
	global_load_dword v0, v[8:9], off offset:20 glc dlc
	s_waitcnt vmcnt(0)
	buffer_gl1_inv
	buffer_gl0_inv
	v_and_b32_e32 v0, 1, v0
	s_branch .LBB3_1137
.LBB3_1142:
	global_load_dwordx2 v[0:1], v[10:11], off
	s_and_saveexec_b32 s5, s4
	s_cbranch_execz .LBB3_1146
; %bb.1143:
	v_mov_b32_e32 v8, 0
	s_clause 0x2
	global_load_dwordx2 v[4:5], v8, s[26:27] offset:40
	global_load_dwordx2 v[9:10], v8, s[26:27] offset:24 glc dlc
	global_load_dwordx2 v[6:7], v8, s[26:27]
	s_waitcnt vmcnt(2)
	v_add_co_u32 v11, vcc_lo, v4, 1
	v_add_co_ci_u32_e32 v12, vcc_lo, 0, v5, vcc_lo
	v_add_co_u32 v2, vcc_lo, v11, s6
	v_add_co_ci_u32_e32 v3, vcc_lo, s7, v12, vcc_lo
	v_cmp_eq_u64_e32 vcc_lo, 0, v[2:3]
	v_cndmask_b32_e32 v3, v3, v12, vcc_lo
	v_cndmask_b32_e32 v2, v2, v11, vcc_lo
	v_and_b32_e32 v5, v3, v5
	v_and_b32_e32 v4, v2, v4
	v_mul_lo_u32 v5, v5, 24
	v_mul_hi_u32 v11, v4, 24
	v_mul_lo_u32 v4, v4, 24
	v_add_nc_u32_e32 v5, v11, v5
	s_waitcnt vmcnt(0)
	v_add_co_u32 v6, vcc_lo, v6, v4
	v_mov_b32_e32 v4, v9
	v_add_co_ci_u32_e32 v7, vcc_lo, v7, v5, vcc_lo
	v_mov_b32_e32 v5, v10
	global_store_dwordx2 v[6:7], v[9:10], off
	s_waitcnt_vscnt null, 0x0
	global_atomic_cmpswap_x2 v[4:5], v8, v[2:5], s[26:27] offset:24 glc
	s_waitcnt vmcnt(0)
	v_cmp_ne_u64_e32 vcc_lo, v[4:5], v[9:10]
	s_and_b32 exec_lo, exec_lo, vcc_lo
	s_cbranch_execz .LBB3_1146
; %bb.1144:
	s_mov_b32 s4, 0
.LBB3_1145:                             ; =>This Inner Loop Header: Depth=1
	s_sleep 1
	global_store_dwordx2 v[6:7], v[4:5], off
	s_waitcnt_vscnt null, 0x0
	global_atomic_cmpswap_x2 v[9:10], v8, v[2:5], s[26:27] offset:24 glc
	s_waitcnt vmcnt(0)
	v_cmp_eq_u64_e32 vcc_lo, v[9:10], v[4:5]
	v_mov_b32_e32 v4, v9
	v_mov_b32_e32 v5, v10
	s_or_b32 s4, vcc_lo, s4
	s_andn2_b32 exec_lo, exec_lo, s4
	s_cbranch_execnz .LBB3_1145
.LBB3_1146:
	s_or_b32 exec_lo, exec_lo, s5
	s_and_b32 vcc_lo, exec_lo, s34
	s_cbranch_vccz .LBB3_1225
; %bb.1147:
	s_waitcnt vmcnt(0)
	v_and_b32_e32 v31, 2, v0
	v_mov_b32_e32 v6, 0
	v_and_b32_e32 v2, -3, v0
	v_mov_b32_e32 v3, v1
	v_mov_b32_e32 v7, 2
	;; [unrolled: 1-line block ×3, first 2 shown]
	s_mov_b64 s[10:11], 3
	s_getpc_b64 s[6:7]
	s_add_u32 s6, s6, .str.6@rel32@lo+4
	s_addc_u32 s7, s7, .str.6@rel32@hi+12
	s_branch .LBB3_1149
.LBB3_1148:                             ;   in Loop: Header=BB3_1149 Depth=1
	s_or_b32 exec_lo, exec_lo, s5
	s_sub_u32 s10, s10, s16
	s_subb_u32 s11, s11, s17
	s_add_u32 s6, s6, s16
	s_addc_u32 s7, s7, s17
	s_cmp_lg_u64 s[10:11], 0
	s_cbranch_scc0 .LBB3_1224
.LBB3_1149:                             ; =>This Loop Header: Depth=1
                                        ;     Child Loop BB3_1158 Depth 2
                                        ;     Child Loop BB3_1154 Depth 2
	;; [unrolled: 1-line block ×11, first 2 shown]
	v_cmp_lt_u64_e64 s4, s[10:11], 56
	v_cmp_gt_u64_e64 s5, s[10:11], 7
                                        ; implicit-def: $vgpr11_vgpr12
                                        ; implicit-def: $sgpr22
	s_and_b32 s4, s4, exec_lo
	s_cselect_b32 s17, s11, 0
	s_cselect_b32 s16, s10, 56
	s_and_b32 vcc_lo, exec_lo, s5
	s_mov_b32 s4, -1
	s_cbranch_vccz .LBB3_1156
; %bb.1150:                             ;   in Loop: Header=BB3_1149 Depth=1
	s_andn2_b32 vcc_lo, exec_lo, s4
	s_mov_b64 s[4:5], s[6:7]
	s_cbranch_vccz .LBB3_1160
.LBB3_1151:                             ;   in Loop: Header=BB3_1149 Depth=1
	s_cmp_gt_u32 s22, 7
	s_cbranch_scc1 .LBB3_1161
.LBB3_1152:                             ;   in Loop: Header=BB3_1149 Depth=1
	v_mov_b32_e32 v13, 0
	v_mov_b32_e32 v14, 0
	s_cmp_eq_u32 s22, 0
	s_cbranch_scc1 .LBB3_1155
; %bb.1153:                             ;   in Loop: Header=BB3_1149 Depth=1
	s_mov_b64 s[18:19], 0
	s_mov_b64 s[20:21], 0
.LBB3_1154:                             ;   Parent Loop BB3_1149 Depth=1
                                        ; =>  This Inner Loop Header: Depth=2
	s_add_u32 s24, s4, s20
	s_addc_u32 s25, s5, s21
	s_add_u32 s20, s20, 1
	global_load_ubyte v4, v6, s[24:25]
	s_addc_u32 s21, s21, 0
	s_waitcnt vmcnt(0)
	v_and_b32_e32 v5, 0xffff, v4
	v_lshlrev_b64 v[4:5], s18, v[5:6]
	s_add_u32 s18, s18, 8
	s_addc_u32 s19, s19, 0
	s_cmp_lg_u32 s22, s20
	v_or_b32_e32 v13, v4, v13
	v_or_b32_e32 v14, v5, v14
	s_cbranch_scc1 .LBB3_1154
.LBB3_1155:                             ;   in Loop: Header=BB3_1149 Depth=1
	s_mov_b32 s23, 0
	s_cbranch_execz .LBB3_1162
	s_branch .LBB3_1163
.LBB3_1156:                             ;   in Loop: Header=BB3_1149 Depth=1
	v_mov_b32_e32 v11, 0
	v_mov_b32_e32 v12, 0
	s_cmp_eq_u64 s[10:11], 0
	s_mov_b64 s[4:5], 0
	s_cbranch_scc1 .LBB3_1159
; %bb.1157:                             ;   in Loop: Header=BB3_1149 Depth=1
	v_mov_b32_e32 v11, 0
	v_mov_b32_e32 v12, 0
	s_lshl_b64 s[18:19], s[16:17], 3
	s_mov_b64 s[20:21], s[6:7]
.LBB3_1158:                             ;   Parent Loop BB3_1149 Depth=1
                                        ; =>  This Inner Loop Header: Depth=2
	global_load_ubyte v4, v6, s[20:21]
	s_waitcnt vmcnt(0)
	v_and_b32_e32 v5, 0xffff, v4
	v_lshlrev_b64 v[4:5], s4, v[5:6]
	s_add_u32 s4, s4, 8
	s_addc_u32 s5, s5, 0
	s_add_u32 s20, s20, 1
	s_addc_u32 s21, s21, 0
	s_cmp_lg_u32 s18, s4
	v_or_b32_e32 v11, v4, v11
	v_or_b32_e32 v12, v5, v12
	s_cbranch_scc1 .LBB3_1158
.LBB3_1159:                             ;   in Loop: Header=BB3_1149 Depth=1
	s_mov_b32 s22, 0
	s_mov_b64 s[4:5], s[6:7]
	s_cbranch_execnz .LBB3_1151
.LBB3_1160:                             ;   in Loop: Header=BB3_1149 Depth=1
	global_load_dwordx2 v[11:12], v6, s[6:7]
	s_add_i32 s22, s16, -8
	s_add_u32 s4, s6, 8
	s_addc_u32 s5, s7, 0
	s_cmp_gt_u32 s22, 7
	s_cbranch_scc0 .LBB3_1152
.LBB3_1161:                             ;   in Loop: Header=BB3_1149 Depth=1
                                        ; implicit-def: $vgpr13_vgpr14
                                        ; implicit-def: $sgpr23
.LBB3_1162:                             ;   in Loop: Header=BB3_1149 Depth=1
	global_load_dwordx2 v[13:14], v6, s[4:5]
	s_add_i32 s23, s22, -8
	s_add_u32 s4, s4, 8
	s_addc_u32 s5, s5, 0
.LBB3_1163:                             ;   in Loop: Header=BB3_1149 Depth=1
	s_cmp_gt_u32 s23, 7
	s_cbranch_scc1 .LBB3_1168
; %bb.1164:                             ;   in Loop: Header=BB3_1149 Depth=1
	v_mov_b32_e32 v15, 0
	v_mov_b32_e32 v16, 0
	s_cmp_eq_u32 s23, 0
	s_cbranch_scc1 .LBB3_1167
; %bb.1165:                             ;   in Loop: Header=BB3_1149 Depth=1
	s_mov_b64 s[18:19], 0
	s_mov_b64 s[20:21], 0
.LBB3_1166:                             ;   Parent Loop BB3_1149 Depth=1
                                        ; =>  This Inner Loop Header: Depth=2
	s_add_u32 s24, s4, s20
	s_addc_u32 s25, s5, s21
	s_add_u32 s20, s20, 1
	global_load_ubyte v4, v6, s[24:25]
	s_addc_u32 s21, s21, 0
	s_waitcnt vmcnt(0)
	v_and_b32_e32 v5, 0xffff, v4
	v_lshlrev_b64 v[4:5], s18, v[5:6]
	s_add_u32 s18, s18, 8
	s_addc_u32 s19, s19, 0
	s_cmp_lg_u32 s23, s20
	v_or_b32_e32 v15, v4, v15
	v_or_b32_e32 v16, v5, v16
	s_cbranch_scc1 .LBB3_1166
.LBB3_1167:                             ;   in Loop: Header=BB3_1149 Depth=1
	s_mov_b32 s22, 0
	s_cbranch_execz .LBB3_1169
	s_branch .LBB3_1170
.LBB3_1168:                             ;   in Loop: Header=BB3_1149 Depth=1
                                        ; implicit-def: $sgpr22
.LBB3_1169:                             ;   in Loop: Header=BB3_1149 Depth=1
	global_load_dwordx2 v[15:16], v6, s[4:5]
	s_add_i32 s22, s23, -8
	s_add_u32 s4, s4, 8
	s_addc_u32 s5, s5, 0
.LBB3_1170:                             ;   in Loop: Header=BB3_1149 Depth=1
	s_cmp_gt_u32 s22, 7
	s_cbranch_scc1 .LBB3_1175
; %bb.1171:                             ;   in Loop: Header=BB3_1149 Depth=1
	v_mov_b32_e32 v17, 0
	v_mov_b32_e32 v18, 0
	s_cmp_eq_u32 s22, 0
	s_cbranch_scc1 .LBB3_1174
; %bb.1172:                             ;   in Loop: Header=BB3_1149 Depth=1
	s_mov_b64 s[18:19], 0
	s_mov_b64 s[20:21], 0
.LBB3_1173:                             ;   Parent Loop BB3_1149 Depth=1
                                        ; =>  This Inner Loop Header: Depth=2
	s_add_u32 s24, s4, s20
	s_addc_u32 s25, s5, s21
	s_add_u32 s20, s20, 1
	global_load_ubyte v4, v6, s[24:25]
	s_addc_u32 s21, s21, 0
	s_waitcnt vmcnt(0)
	v_and_b32_e32 v5, 0xffff, v4
	v_lshlrev_b64 v[4:5], s18, v[5:6]
	s_add_u32 s18, s18, 8
	s_addc_u32 s19, s19, 0
	s_cmp_lg_u32 s22, s20
	v_or_b32_e32 v17, v4, v17
	v_or_b32_e32 v18, v5, v18
	s_cbranch_scc1 .LBB3_1173
.LBB3_1174:                             ;   in Loop: Header=BB3_1149 Depth=1
	s_mov_b32 s23, 0
	s_cbranch_execz .LBB3_1176
	s_branch .LBB3_1177
.LBB3_1175:                             ;   in Loop: Header=BB3_1149 Depth=1
                                        ; implicit-def: $vgpr17_vgpr18
                                        ; implicit-def: $sgpr23
.LBB3_1176:                             ;   in Loop: Header=BB3_1149 Depth=1
	global_load_dwordx2 v[17:18], v6, s[4:5]
	s_add_i32 s23, s22, -8
	s_add_u32 s4, s4, 8
	s_addc_u32 s5, s5, 0
.LBB3_1177:                             ;   in Loop: Header=BB3_1149 Depth=1
	s_cmp_gt_u32 s23, 7
	s_cbranch_scc1 .LBB3_1182
; %bb.1178:                             ;   in Loop: Header=BB3_1149 Depth=1
	v_mov_b32_e32 v19, 0
	v_mov_b32_e32 v20, 0
	s_cmp_eq_u32 s23, 0
	s_cbranch_scc1 .LBB3_1181
; %bb.1179:                             ;   in Loop: Header=BB3_1149 Depth=1
	s_mov_b64 s[18:19], 0
	s_mov_b64 s[20:21], 0
.LBB3_1180:                             ;   Parent Loop BB3_1149 Depth=1
                                        ; =>  This Inner Loop Header: Depth=2
	s_add_u32 s24, s4, s20
	s_addc_u32 s25, s5, s21
	s_add_u32 s20, s20, 1
	global_load_ubyte v4, v6, s[24:25]
	s_addc_u32 s21, s21, 0
	s_waitcnt vmcnt(0)
	v_and_b32_e32 v5, 0xffff, v4
	v_lshlrev_b64 v[4:5], s18, v[5:6]
	s_add_u32 s18, s18, 8
	s_addc_u32 s19, s19, 0
	s_cmp_lg_u32 s23, s20
	v_or_b32_e32 v19, v4, v19
	v_or_b32_e32 v20, v5, v20
	s_cbranch_scc1 .LBB3_1180
.LBB3_1181:                             ;   in Loop: Header=BB3_1149 Depth=1
	s_mov_b32 s22, 0
	s_cbranch_execz .LBB3_1183
	s_branch .LBB3_1184
.LBB3_1182:                             ;   in Loop: Header=BB3_1149 Depth=1
                                        ; implicit-def: $sgpr22
.LBB3_1183:                             ;   in Loop: Header=BB3_1149 Depth=1
	global_load_dwordx2 v[19:20], v6, s[4:5]
	s_add_i32 s22, s23, -8
	s_add_u32 s4, s4, 8
	s_addc_u32 s5, s5, 0
.LBB3_1184:                             ;   in Loop: Header=BB3_1149 Depth=1
	s_cmp_gt_u32 s22, 7
	s_cbranch_scc1 .LBB3_1189
; %bb.1185:                             ;   in Loop: Header=BB3_1149 Depth=1
	v_mov_b32_e32 v21, 0
	v_mov_b32_e32 v22, 0
	s_cmp_eq_u32 s22, 0
	s_cbranch_scc1 .LBB3_1188
; %bb.1186:                             ;   in Loop: Header=BB3_1149 Depth=1
	s_mov_b64 s[18:19], 0
	s_mov_b64 s[20:21], 0
.LBB3_1187:                             ;   Parent Loop BB3_1149 Depth=1
                                        ; =>  This Inner Loop Header: Depth=2
	s_add_u32 s24, s4, s20
	s_addc_u32 s25, s5, s21
	s_add_u32 s20, s20, 1
	global_load_ubyte v4, v6, s[24:25]
	s_addc_u32 s21, s21, 0
	s_waitcnt vmcnt(0)
	v_and_b32_e32 v5, 0xffff, v4
	v_lshlrev_b64 v[4:5], s18, v[5:6]
	s_add_u32 s18, s18, 8
	s_addc_u32 s19, s19, 0
	s_cmp_lg_u32 s22, s20
	v_or_b32_e32 v21, v4, v21
	v_or_b32_e32 v22, v5, v22
	s_cbranch_scc1 .LBB3_1187
.LBB3_1188:                             ;   in Loop: Header=BB3_1149 Depth=1
	s_mov_b32 s23, 0
	s_cbranch_execz .LBB3_1190
	s_branch .LBB3_1191
.LBB3_1189:                             ;   in Loop: Header=BB3_1149 Depth=1
                                        ; implicit-def: $vgpr21_vgpr22
                                        ; implicit-def: $sgpr23
.LBB3_1190:                             ;   in Loop: Header=BB3_1149 Depth=1
	global_load_dwordx2 v[21:22], v6, s[4:5]
	s_add_i32 s23, s22, -8
	s_add_u32 s4, s4, 8
	s_addc_u32 s5, s5, 0
.LBB3_1191:                             ;   in Loop: Header=BB3_1149 Depth=1
	s_cmp_gt_u32 s23, 7
	s_cbranch_scc1 .LBB3_1196
; %bb.1192:                             ;   in Loop: Header=BB3_1149 Depth=1
	v_mov_b32_e32 v23, 0
	v_mov_b32_e32 v24, 0
	s_cmp_eq_u32 s23, 0
	s_cbranch_scc1 .LBB3_1195
; %bb.1193:                             ;   in Loop: Header=BB3_1149 Depth=1
	s_mov_b64 s[18:19], 0
	s_mov_b64 s[20:21], s[4:5]
.LBB3_1194:                             ;   Parent Loop BB3_1149 Depth=1
                                        ; =>  This Inner Loop Header: Depth=2
	global_load_ubyte v4, v6, s[20:21]
	s_add_i32 s23, s23, -1
	s_waitcnt vmcnt(0)
	v_and_b32_e32 v5, 0xffff, v4
	v_lshlrev_b64 v[4:5], s18, v[5:6]
	s_add_u32 s18, s18, 8
	s_addc_u32 s19, s19, 0
	s_add_u32 s20, s20, 1
	s_addc_u32 s21, s21, 0
	s_cmp_lg_u32 s23, 0
	v_or_b32_e32 v23, v4, v23
	v_or_b32_e32 v24, v5, v24
	s_cbranch_scc1 .LBB3_1194
.LBB3_1195:                             ;   in Loop: Header=BB3_1149 Depth=1
	s_cbranch_execz .LBB3_1197
	s_branch .LBB3_1198
.LBB3_1196:                             ;   in Loop: Header=BB3_1149 Depth=1
.LBB3_1197:                             ;   in Loop: Header=BB3_1149 Depth=1
	global_load_dwordx2 v[23:24], v6, s[4:5]
.LBB3_1198:                             ;   in Loop: Header=BB3_1149 Depth=1
	v_readfirstlane_b32 s4, v49
	s_waitcnt vmcnt(0)
	v_mov_b32_e32 v4, 0
	v_mov_b32_e32 v5, 0
	v_cmp_eq_u32_e64 s4, s4, v49
	s_and_saveexec_b32 s5, s4
	s_cbranch_execz .LBB3_1204
; %bb.1199:                             ;   in Loop: Header=BB3_1149 Depth=1
	global_load_dwordx2 v[27:28], v6, s[26:27] offset:24 glc dlc
	s_waitcnt vmcnt(0)
	buffer_gl1_inv
	buffer_gl0_inv
	s_clause 0x1
	global_load_dwordx2 v[4:5], v6, s[26:27] offset:40
	global_load_dwordx2 v[9:10], v6, s[26:27]
	s_mov_b32 s18, exec_lo
	s_waitcnt vmcnt(1)
	v_and_b32_e32 v5, v5, v28
	v_and_b32_e32 v4, v4, v27
	v_mul_lo_u32 v5, v5, 24
	v_mul_hi_u32 v25, v4, 24
	v_mul_lo_u32 v4, v4, 24
	v_add_nc_u32_e32 v5, v25, v5
	s_waitcnt vmcnt(0)
	v_add_co_u32 v4, vcc_lo, v9, v4
	v_add_co_ci_u32_e32 v5, vcc_lo, v10, v5, vcc_lo
	global_load_dwordx2 v[25:26], v[4:5], off glc dlc
	s_waitcnt vmcnt(0)
	global_atomic_cmpswap_x2 v[4:5], v6, v[25:28], s[26:27] offset:24 glc
	s_waitcnt vmcnt(0)
	buffer_gl1_inv
	buffer_gl0_inv
	v_cmpx_ne_u64_e64 v[4:5], v[27:28]
	s_cbranch_execz .LBB3_1203
; %bb.1200:                             ;   in Loop: Header=BB3_1149 Depth=1
	s_mov_b32 s19, 0
	.p2align	6
.LBB3_1201:                             ;   Parent Loop BB3_1149 Depth=1
                                        ; =>  This Inner Loop Header: Depth=2
	s_sleep 1
	s_clause 0x1
	global_load_dwordx2 v[9:10], v6, s[26:27] offset:40
	global_load_dwordx2 v[25:26], v6, s[26:27]
	v_mov_b32_e32 v28, v5
	v_mov_b32_e32 v27, v4
	s_waitcnt vmcnt(1)
	v_and_b32_e32 v4, v9, v27
	v_and_b32_e32 v9, v10, v28
	s_waitcnt vmcnt(0)
	v_mad_u64_u32 v[4:5], null, v4, 24, v[25:26]
	v_mad_u64_u32 v[9:10], null, v9, 24, v[5:6]
	v_mov_b32_e32 v5, v9
	global_load_dwordx2 v[25:26], v[4:5], off glc dlc
	s_waitcnt vmcnt(0)
	global_atomic_cmpswap_x2 v[4:5], v6, v[25:28], s[26:27] offset:24 glc
	s_waitcnt vmcnt(0)
	buffer_gl1_inv
	buffer_gl0_inv
	v_cmp_eq_u64_e32 vcc_lo, v[4:5], v[27:28]
	s_or_b32 s19, vcc_lo, s19
	s_andn2_b32 exec_lo, exec_lo, s19
	s_cbranch_execnz .LBB3_1201
; %bb.1202:                             ;   in Loop: Header=BB3_1149 Depth=1
	s_or_b32 exec_lo, exec_lo, s19
.LBB3_1203:                             ;   in Loop: Header=BB3_1149 Depth=1
	s_or_b32 exec_lo, exec_lo, s18
.LBB3_1204:                             ;   in Loop: Header=BB3_1149 Depth=1
	s_or_b32 exec_lo, exec_lo, s5
	s_clause 0x1
	global_load_dwordx2 v[9:10], v6, s[26:27] offset:40
	global_load_dwordx4 v[25:28], v6, s[26:27]
	v_readfirstlane_b32 s18, v4
	v_readfirstlane_b32 s19, v5
	s_mov_b32 s5, exec_lo
	s_waitcnt vmcnt(1)
	v_readfirstlane_b32 s20, v9
	v_readfirstlane_b32 s21, v10
	s_and_b64 s[20:21], s[18:19], s[20:21]
	s_mul_i32 s22, s21, 24
	s_mul_hi_u32 s23, s20, 24
	s_mul_i32 s24, s20, 24
	s_add_i32 s23, s23, s22
	s_waitcnt vmcnt(0)
	v_add_co_u32 v29, vcc_lo, v25, s24
	v_add_co_ci_u32_e32 v30, vcc_lo, s23, v26, vcc_lo
	s_and_saveexec_b32 s22, s4
	s_cbranch_execz .LBB3_1206
; %bb.1205:                             ;   in Loop: Header=BB3_1149 Depth=1
	v_mov_b32_e32 v5, s5
	global_store_dwordx4 v[29:30], v[5:8], off offset:8
.LBB3_1206:                             ;   in Loop: Header=BB3_1149 Depth=1
	s_or_b32 exec_lo, exec_lo, s22
	s_lshl_b64 s[20:21], s[20:21], 12
	v_cmp_gt_u64_e64 vcc_lo, s[10:11], 56
	v_or_b32_e32 v5, v2, v31
	v_add_co_u32 v27, s5, v27, s20
	v_add_co_ci_u32_e64 v28, s5, s21, v28, s5
	s_lshl_b32 s5, s16, 2
	v_or_b32_e32 v4, 0, v3
	v_cndmask_b32_e32 v2, v5, v2, vcc_lo
	s_add_i32 s5, s5, 28
	v_readfirstlane_b32 s20, v27
	s_and_b32 s5, s5, 0x1e0
	v_cndmask_b32_e32 v10, v4, v3, vcc_lo
	v_readfirstlane_b32 s21, v28
	v_and_or_b32 v9, 0xffffff1f, v2, s5
	global_store_dwordx4 v48, v[9:12], s[20:21]
	global_store_dwordx4 v48, v[13:16], s[20:21] offset:16
	global_store_dwordx4 v48, v[17:20], s[20:21] offset:32
	;; [unrolled: 1-line block ×3, first 2 shown]
	s_and_saveexec_b32 s5, s4
	s_cbranch_execz .LBB3_1214
; %bb.1207:                             ;   in Loop: Header=BB3_1149 Depth=1
	s_clause 0x1
	global_load_dwordx2 v[13:14], v6, s[26:27] offset:32 glc dlc
	global_load_dwordx2 v[2:3], v6, s[26:27] offset:40
	v_mov_b32_e32 v11, s18
	v_mov_b32_e32 v12, s19
	s_waitcnt vmcnt(0)
	v_readfirstlane_b32 s20, v2
	v_readfirstlane_b32 s21, v3
	s_and_b64 s[20:21], s[20:21], s[18:19]
	s_mul_i32 s21, s21, 24
	s_mul_hi_u32 s22, s20, 24
	s_mul_i32 s20, s20, 24
	s_add_i32 s22, s22, s21
	v_add_co_u32 v9, vcc_lo, v25, s20
	v_add_co_ci_u32_e32 v10, vcc_lo, s22, v26, vcc_lo
	s_mov_b32 s20, exec_lo
	global_store_dwordx2 v[9:10], v[13:14], off
	s_waitcnt_vscnt null, 0x0
	global_atomic_cmpswap_x2 v[4:5], v6, v[11:14], s[26:27] offset:32 glc
	s_waitcnt vmcnt(0)
	v_cmpx_ne_u64_e64 v[4:5], v[13:14]
	s_cbranch_execz .LBB3_1210
; %bb.1208:                             ;   in Loop: Header=BB3_1149 Depth=1
	s_mov_b32 s21, 0
.LBB3_1209:                             ;   Parent Loop BB3_1149 Depth=1
                                        ; =>  This Inner Loop Header: Depth=2
	v_mov_b32_e32 v2, s18
	v_mov_b32_e32 v3, s19
	s_sleep 1
	global_store_dwordx2 v[9:10], v[4:5], off
	s_waitcnt_vscnt null, 0x0
	global_atomic_cmpswap_x2 v[2:3], v6, v[2:5], s[26:27] offset:32 glc
	s_waitcnt vmcnt(0)
	v_cmp_eq_u64_e32 vcc_lo, v[2:3], v[4:5]
	v_mov_b32_e32 v5, v3
	v_mov_b32_e32 v4, v2
	s_or_b32 s21, vcc_lo, s21
	s_andn2_b32 exec_lo, exec_lo, s21
	s_cbranch_execnz .LBB3_1209
.LBB3_1210:                             ;   in Loop: Header=BB3_1149 Depth=1
	s_or_b32 exec_lo, exec_lo, s20
	global_load_dwordx2 v[2:3], v6, s[26:27] offset:16
	s_mov_b32 s21, exec_lo
	s_mov_b32 s20, exec_lo
	v_mbcnt_lo_u32_b32 v4, s21, 0
	v_cmpx_eq_u32_e32 0, v4
	s_cbranch_execz .LBB3_1212
; %bb.1211:                             ;   in Loop: Header=BB3_1149 Depth=1
	s_bcnt1_i32_b32 s21, s21
	v_mov_b32_e32 v5, s21
	s_waitcnt vmcnt(0)
	global_atomic_add_x2 v[2:3], v[5:6], off offset:8
.LBB3_1212:                             ;   in Loop: Header=BB3_1149 Depth=1
	s_or_b32 exec_lo, exec_lo, s20
	s_waitcnt vmcnt(0)
	global_load_dwordx2 v[9:10], v[2:3], off offset:16
	s_waitcnt vmcnt(0)
	v_cmp_eq_u64_e32 vcc_lo, 0, v[9:10]
	s_cbranch_vccnz .LBB3_1214
; %bb.1213:                             ;   in Loop: Header=BB3_1149 Depth=1
	global_load_dword v5, v[2:3], off offset:24
	s_waitcnt vmcnt(0)
	v_and_b32_e32 v2, 0x7fffff, v5
	s_waitcnt_vscnt null, 0x0
	global_store_dwordx2 v[9:10], v[5:6], off
	v_readfirstlane_b32 m0, v2
	s_sendmsg sendmsg(MSG_INTERRUPT)
.LBB3_1214:                             ;   in Loop: Header=BB3_1149 Depth=1
	s_or_b32 exec_lo, exec_lo, s5
	v_add_co_u32 v2, vcc_lo, v27, v48
	v_add_co_ci_u32_e32 v3, vcc_lo, 0, v28, vcc_lo
	s_branch .LBB3_1218
	.p2align	6
.LBB3_1215:                             ;   in Loop: Header=BB3_1218 Depth=2
	s_or_b32 exec_lo, exec_lo, s5
	v_readfirstlane_b32 s5, v4
	s_cmp_eq_u32 s5, 0
	s_cbranch_scc1 .LBB3_1217
; %bb.1216:                             ;   in Loop: Header=BB3_1218 Depth=2
	s_sleep 1
	s_cbranch_execnz .LBB3_1218
	s_branch .LBB3_1220
	.p2align	6
.LBB3_1217:                             ;   in Loop: Header=BB3_1149 Depth=1
	s_branch .LBB3_1220
.LBB3_1218:                             ;   Parent Loop BB3_1149 Depth=1
                                        ; =>  This Inner Loop Header: Depth=2
	v_mov_b32_e32 v4, 1
	s_and_saveexec_b32 s5, s4
	s_cbranch_execz .LBB3_1215
; %bb.1219:                             ;   in Loop: Header=BB3_1218 Depth=2
	global_load_dword v4, v[29:30], off offset:20 glc dlc
	s_waitcnt vmcnt(0)
	buffer_gl1_inv
	buffer_gl0_inv
	v_and_b32_e32 v4, 1, v4
	s_branch .LBB3_1215
.LBB3_1220:                             ;   in Loop: Header=BB3_1149 Depth=1
	global_load_dwordx4 v[2:5], v[2:3], off
	s_and_saveexec_b32 s5, s4
	s_cbranch_execz .LBB3_1148
; %bb.1221:                             ;   in Loop: Header=BB3_1149 Depth=1
	s_clause 0x2
	global_load_dwordx2 v[4:5], v6, s[26:27] offset:40
	global_load_dwordx2 v[13:14], v6, s[26:27] offset:24 glc dlc
	global_load_dwordx2 v[11:12], v6, s[26:27]
	s_waitcnt vmcnt(2)
	v_add_co_u32 v15, vcc_lo, v4, 1
	v_add_co_ci_u32_e32 v16, vcc_lo, 0, v5, vcc_lo
	v_add_co_u32 v9, vcc_lo, v15, s18
	v_add_co_ci_u32_e32 v10, vcc_lo, s19, v16, vcc_lo
	v_cmp_eq_u64_e32 vcc_lo, 0, v[9:10]
	v_cndmask_b32_e32 v10, v10, v16, vcc_lo
	v_cndmask_b32_e32 v9, v9, v15, vcc_lo
	v_and_b32_e32 v5, v10, v5
	v_and_b32_e32 v4, v9, v4
	v_mul_lo_u32 v5, v5, 24
	v_mul_hi_u32 v15, v4, 24
	v_mul_lo_u32 v4, v4, 24
	v_add_nc_u32_e32 v5, v15, v5
	s_waitcnt vmcnt(0)
	v_add_co_u32 v4, vcc_lo, v11, v4
	v_mov_b32_e32 v11, v13
	v_add_co_ci_u32_e32 v5, vcc_lo, v12, v5, vcc_lo
	v_mov_b32_e32 v12, v14
	global_store_dwordx2 v[4:5], v[13:14], off
	s_waitcnt_vscnt null, 0x0
	global_atomic_cmpswap_x2 v[11:12], v6, v[9:12], s[26:27] offset:24 glc
	s_waitcnt vmcnt(0)
	v_cmp_ne_u64_e32 vcc_lo, v[11:12], v[13:14]
	s_and_b32 exec_lo, exec_lo, vcc_lo
	s_cbranch_execz .LBB3_1148
; %bb.1222:                             ;   in Loop: Header=BB3_1149 Depth=1
	s_mov_b32 s4, 0
.LBB3_1223:                             ;   Parent Loop BB3_1149 Depth=1
                                        ; =>  This Inner Loop Header: Depth=2
	s_sleep 1
	global_store_dwordx2 v[4:5], v[11:12], off
	s_waitcnt_vscnt null, 0x0
	global_atomic_cmpswap_x2 v[13:14], v6, v[9:12], s[26:27] offset:24 glc
	s_waitcnt vmcnt(0)
	v_cmp_eq_u64_e32 vcc_lo, v[13:14], v[11:12]
	v_mov_b32_e32 v11, v13
	v_mov_b32_e32 v12, v14
	s_or_b32 s4, vcc_lo, s4
	s_andn2_b32 exec_lo, exec_lo, s4
	s_cbranch_execnz .LBB3_1223
	s_branch .LBB3_1148
.LBB3_1224:
	s_branch .LBB3_1253
.LBB3_1225:
                                        ; implicit-def: $vgpr2_vgpr3
	s_cbranch_execz .LBB3_1253
; %bb.1226:
	v_readfirstlane_b32 s4, v49
	v_mov_b32_e32 v8, 0
	v_mov_b32_e32 v9, 0
	v_cmp_eq_u32_e64 s4, s4, v49
	s_and_saveexec_b32 s5, s4
	s_cbranch_execz .LBB3_1232
; %bb.1227:
	s_waitcnt vmcnt(0)
	v_mov_b32_e32 v2, 0
	s_mov_b32 s6, exec_lo
	global_load_dwordx2 v[5:6], v2, s[26:27] offset:24 glc dlc
	s_waitcnt vmcnt(0)
	buffer_gl1_inv
	buffer_gl0_inv
	s_clause 0x1
	global_load_dwordx2 v[3:4], v2, s[26:27] offset:40
	global_load_dwordx2 v[7:8], v2, s[26:27]
	s_waitcnt vmcnt(1)
	v_and_b32_e32 v4, v4, v6
	v_and_b32_e32 v3, v3, v5
	v_mul_lo_u32 v4, v4, 24
	v_mul_hi_u32 v9, v3, 24
	v_mul_lo_u32 v3, v3, 24
	v_add_nc_u32_e32 v4, v9, v4
	s_waitcnt vmcnt(0)
	v_add_co_u32 v3, vcc_lo, v7, v3
	v_add_co_ci_u32_e32 v4, vcc_lo, v8, v4, vcc_lo
	global_load_dwordx2 v[3:4], v[3:4], off glc dlc
	s_waitcnt vmcnt(0)
	global_atomic_cmpswap_x2 v[8:9], v2, v[3:6], s[26:27] offset:24 glc
	s_waitcnt vmcnt(0)
	buffer_gl1_inv
	buffer_gl0_inv
	v_cmpx_ne_u64_e64 v[8:9], v[5:6]
	s_cbranch_execz .LBB3_1231
; %bb.1228:
	s_mov_b32 s7, 0
	.p2align	6
.LBB3_1229:                             ; =>This Inner Loop Header: Depth=1
	s_sleep 1
	s_clause 0x1
	global_load_dwordx2 v[3:4], v2, s[26:27] offset:40
	global_load_dwordx2 v[10:11], v2, s[26:27]
	v_mov_b32_e32 v5, v8
	v_mov_b32_e32 v6, v9
	s_waitcnt vmcnt(1)
	v_and_b32_e32 v3, v3, v5
	v_and_b32_e32 v4, v4, v6
	s_waitcnt vmcnt(0)
	v_mad_u64_u32 v[7:8], null, v3, 24, v[10:11]
	v_mov_b32_e32 v3, v8
	v_mad_u64_u32 v[3:4], null, v4, 24, v[3:4]
	v_mov_b32_e32 v8, v3
	global_load_dwordx2 v[3:4], v[7:8], off glc dlc
	s_waitcnt vmcnt(0)
	global_atomic_cmpswap_x2 v[8:9], v2, v[3:6], s[26:27] offset:24 glc
	s_waitcnt vmcnt(0)
	buffer_gl1_inv
	buffer_gl0_inv
	v_cmp_eq_u64_e32 vcc_lo, v[8:9], v[5:6]
	s_or_b32 s7, vcc_lo, s7
	s_andn2_b32 exec_lo, exec_lo, s7
	s_cbranch_execnz .LBB3_1229
; %bb.1230:
	s_or_b32 exec_lo, exec_lo, s7
.LBB3_1231:
	s_or_b32 exec_lo, exec_lo, s6
.LBB3_1232:
	s_or_b32 exec_lo, exec_lo, s5
	s_waitcnt vmcnt(0)
	v_mov_b32_e32 v2, 0
	v_readfirstlane_b32 s6, v8
	v_readfirstlane_b32 s7, v9
	s_mov_b32 s5, exec_lo
	s_clause 0x1
	global_load_dwordx2 v[10:11], v2, s[26:27] offset:40
	global_load_dwordx4 v[4:7], v2, s[26:27]
	s_waitcnt vmcnt(1)
	v_readfirstlane_b32 s10, v10
	v_readfirstlane_b32 s11, v11
	s_and_b64 s[10:11], s[6:7], s[10:11]
	s_mul_i32 s16, s11, 24
	s_mul_hi_u32 s17, s10, 24
	s_mul_i32 s18, s10, 24
	s_add_i32 s17, s17, s16
	s_waitcnt vmcnt(0)
	v_add_co_u32 v8, vcc_lo, v4, s18
	v_add_co_ci_u32_e32 v9, vcc_lo, s17, v5, vcc_lo
	s_and_saveexec_b32 s16, s4
	s_cbranch_execz .LBB3_1234
; %bb.1233:
	v_mov_b32_e32 v10, s5
	v_mov_b32_e32 v11, v2
	;; [unrolled: 1-line block ×4, first 2 shown]
	global_store_dwordx4 v[8:9], v[10:13], off offset:8
.LBB3_1234:
	s_or_b32 exec_lo, exec_lo, s16
	s_lshl_b64 s[10:11], s[10:11], 12
	s_mov_b32 s16, 0
	v_add_co_u32 v6, vcc_lo, v6, s10
	v_add_co_ci_u32_e32 v7, vcc_lo, s11, v7, vcc_lo
	s_mov_b32 s17, s16
	v_readfirstlane_b32 s10, v6
	v_add_co_u32 v6, vcc_lo, v6, v48
	s_mov_b32 s18, s16
	s_mov_b32 s19, s16
	v_and_or_b32 v0, 0xffffff1f, v0, 32
	v_mov_b32_e32 v3, v2
	v_readfirstlane_b32 s11, v7
	v_mov_b32_e32 v10, s16
	v_add_co_ci_u32_e32 v7, vcc_lo, 0, v7, vcc_lo
	v_mov_b32_e32 v11, s17
	v_mov_b32_e32 v12, s18
	;; [unrolled: 1-line block ×3, first 2 shown]
	global_store_dwordx4 v48, v[0:3], s[10:11]
	global_store_dwordx4 v48, v[10:13], s[10:11] offset:16
	global_store_dwordx4 v48, v[10:13], s[10:11] offset:32
	;; [unrolled: 1-line block ×3, first 2 shown]
	s_and_saveexec_b32 s5, s4
	s_cbranch_execz .LBB3_1242
; %bb.1235:
	v_mov_b32_e32 v10, 0
	v_mov_b32_e32 v11, s6
	;; [unrolled: 1-line block ×3, first 2 shown]
	s_clause 0x1
	global_load_dwordx2 v[13:14], v10, s[26:27] offset:32 glc dlc
	global_load_dwordx2 v[0:1], v10, s[26:27] offset:40
	s_waitcnt vmcnt(0)
	v_readfirstlane_b32 s10, v0
	v_readfirstlane_b32 s11, v1
	s_and_b64 s[10:11], s[10:11], s[6:7]
	s_mul_i32 s11, s11, 24
	s_mul_hi_u32 s16, s10, 24
	s_mul_i32 s10, s10, 24
	s_add_i32 s16, s16, s11
	v_add_co_u32 v4, vcc_lo, v4, s10
	v_add_co_ci_u32_e32 v5, vcc_lo, s16, v5, vcc_lo
	s_mov_b32 s10, exec_lo
	global_store_dwordx2 v[4:5], v[13:14], off
	s_waitcnt_vscnt null, 0x0
	global_atomic_cmpswap_x2 v[2:3], v10, v[11:14], s[26:27] offset:32 glc
	s_waitcnt vmcnt(0)
	v_cmpx_ne_u64_e64 v[2:3], v[13:14]
	s_cbranch_execz .LBB3_1238
; %bb.1236:
	s_mov_b32 s11, 0
.LBB3_1237:                             ; =>This Inner Loop Header: Depth=1
	v_mov_b32_e32 v0, s6
	v_mov_b32_e32 v1, s7
	s_sleep 1
	global_store_dwordx2 v[4:5], v[2:3], off
	s_waitcnt_vscnt null, 0x0
	global_atomic_cmpswap_x2 v[0:1], v10, v[0:3], s[26:27] offset:32 glc
	s_waitcnt vmcnt(0)
	v_cmp_eq_u64_e32 vcc_lo, v[0:1], v[2:3]
	v_mov_b32_e32 v3, v1
	v_mov_b32_e32 v2, v0
	s_or_b32 s11, vcc_lo, s11
	s_andn2_b32 exec_lo, exec_lo, s11
	s_cbranch_execnz .LBB3_1237
.LBB3_1238:
	s_or_b32 exec_lo, exec_lo, s10
	v_mov_b32_e32 v3, 0
	s_mov_b32 s11, exec_lo
	s_mov_b32 s10, exec_lo
	v_mbcnt_lo_u32_b32 v2, s11, 0
	global_load_dwordx2 v[0:1], v3, s[26:27] offset:16
	v_cmpx_eq_u32_e32 0, v2
	s_cbranch_execz .LBB3_1240
; %bb.1239:
	s_bcnt1_i32_b32 s11, s11
	v_mov_b32_e32 v2, s11
	s_waitcnt vmcnt(0)
	global_atomic_add_x2 v[0:1], v[2:3], off offset:8
.LBB3_1240:
	s_or_b32 exec_lo, exec_lo, s10
	s_waitcnt vmcnt(0)
	global_load_dwordx2 v[2:3], v[0:1], off offset:16
	s_waitcnt vmcnt(0)
	v_cmp_eq_u64_e32 vcc_lo, 0, v[2:3]
	s_cbranch_vccnz .LBB3_1242
; %bb.1241:
	global_load_dword v0, v[0:1], off offset:24
	v_mov_b32_e32 v1, 0
	s_waitcnt vmcnt(0)
	v_and_b32_e32 v4, 0x7fffff, v0
	s_waitcnt_vscnt null, 0x0
	global_store_dwordx2 v[2:3], v[0:1], off
	v_readfirstlane_b32 m0, v4
	s_sendmsg sendmsg(MSG_INTERRUPT)
.LBB3_1242:
	s_or_b32 exec_lo, exec_lo, s5
	s_branch .LBB3_1246
	.p2align	6
.LBB3_1243:                             ;   in Loop: Header=BB3_1246 Depth=1
	s_or_b32 exec_lo, exec_lo, s5
	v_readfirstlane_b32 s5, v0
	s_cmp_eq_u32 s5, 0
	s_cbranch_scc1 .LBB3_1245
; %bb.1244:                             ;   in Loop: Header=BB3_1246 Depth=1
	s_sleep 1
	s_cbranch_execnz .LBB3_1246
	s_branch .LBB3_1248
	.p2align	6
.LBB3_1245:
	s_branch .LBB3_1248
.LBB3_1246:                             ; =>This Inner Loop Header: Depth=1
	v_mov_b32_e32 v0, 1
	s_and_saveexec_b32 s5, s4
	s_cbranch_execz .LBB3_1243
; %bb.1247:                             ;   in Loop: Header=BB3_1246 Depth=1
	global_load_dword v0, v[8:9], off offset:20 glc dlc
	s_waitcnt vmcnt(0)
	buffer_gl1_inv
	buffer_gl0_inv
	v_and_b32_e32 v0, 1, v0
	s_branch .LBB3_1243
.LBB3_1248:
	global_load_dwordx2 v[2:3], v[6:7], off
	s_and_saveexec_b32 s5, s4
	s_cbranch_execz .LBB3_1252
; %bb.1249:
	v_mov_b32_e32 v8, 0
	s_clause 0x2
	global_load_dwordx2 v[0:1], v8, s[26:27] offset:40
	global_load_dwordx2 v[9:10], v8, s[26:27] offset:24 glc dlc
	global_load_dwordx2 v[6:7], v8, s[26:27]
	s_waitcnt vmcnt(2)
	v_add_co_u32 v11, vcc_lo, v0, 1
	v_add_co_ci_u32_e32 v12, vcc_lo, 0, v1, vcc_lo
	v_add_co_u32 v4, vcc_lo, v11, s6
	v_add_co_ci_u32_e32 v5, vcc_lo, s7, v12, vcc_lo
	v_cmp_eq_u64_e32 vcc_lo, 0, v[4:5]
	v_cndmask_b32_e32 v5, v5, v12, vcc_lo
	v_cndmask_b32_e32 v4, v4, v11, vcc_lo
	v_and_b32_e32 v1, v5, v1
	v_and_b32_e32 v0, v4, v0
	v_mul_lo_u32 v1, v1, 24
	v_mul_hi_u32 v11, v0, 24
	v_mul_lo_u32 v0, v0, 24
	v_add_nc_u32_e32 v1, v11, v1
	s_waitcnt vmcnt(0)
	v_add_co_u32 v0, vcc_lo, v6, v0
	v_mov_b32_e32 v6, v9
	v_add_co_ci_u32_e32 v1, vcc_lo, v7, v1, vcc_lo
	v_mov_b32_e32 v7, v10
	global_store_dwordx2 v[0:1], v[9:10], off
	s_waitcnt_vscnt null, 0x0
	global_atomic_cmpswap_x2 v[6:7], v8, v[4:7], s[26:27] offset:24 glc
	s_waitcnt vmcnt(0)
	v_cmp_ne_u64_e32 vcc_lo, v[6:7], v[9:10]
	s_and_b32 exec_lo, exec_lo, vcc_lo
	s_cbranch_execz .LBB3_1252
; %bb.1250:
	s_mov_b32 s4, 0
.LBB3_1251:                             ; =>This Inner Loop Header: Depth=1
	s_sleep 1
	global_store_dwordx2 v[0:1], v[6:7], off
	s_waitcnt_vscnt null, 0x0
	global_atomic_cmpswap_x2 v[9:10], v8, v[4:7], s[26:27] offset:24 glc
	s_waitcnt vmcnt(0)
	v_cmp_eq_u64_e32 vcc_lo, v[9:10], v[6:7]
	v_mov_b32_e32 v6, v9
	v_mov_b32_e32 v7, v10
	s_or_b32 s4, vcc_lo, s4
	s_andn2_b32 exec_lo, exec_lo, s4
	s_cbranch_execnz .LBB3_1251
.LBB3_1252:
	s_or_b32 exec_lo, exec_lo, s5
.LBB3_1253:
	v_readfirstlane_b32 s4, v49
	s_waitcnt vmcnt(0)
	v_mov_b32_e32 v0, 0
	v_mov_b32_e32 v1, 0
	v_cmp_eq_u32_e64 s4, s4, v49
	s_and_saveexec_b32 s5, s4
	s_cbranch_execz .LBB3_1259
; %bb.1254:
	v_mov_b32_e32 v4, 0
	s_mov_b32 s6, exec_lo
	global_load_dwordx2 v[7:8], v4, s[26:27] offset:24 glc dlc
	s_waitcnt vmcnt(0)
	buffer_gl1_inv
	buffer_gl0_inv
	s_clause 0x1
	global_load_dwordx2 v[0:1], v4, s[26:27] offset:40
	global_load_dwordx2 v[5:6], v4, s[26:27]
	s_waitcnt vmcnt(1)
	v_and_b32_e32 v1, v1, v8
	v_and_b32_e32 v0, v0, v7
	v_mul_lo_u32 v1, v1, 24
	v_mul_hi_u32 v9, v0, 24
	v_mul_lo_u32 v0, v0, 24
	v_add_nc_u32_e32 v1, v9, v1
	s_waitcnt vmcnt(0)
	v_add_co_u32 v0, vcc_lo, v5, v0
	v_add_co_ci_u32_e32 v1, vcc_lo, v6, v1, vcc_lo
	global_load_dwordx2 v[5:6], v[0:1], off glc dlc
	s_waitcnt vmcnt(0)
	global_atomic_cmpswap_x2 v[0:1], v4, v[5:8], s[26:27] offset:24 glc
	s_waitcnt vmcnt(0)
	buffer_gl1_inv
	buffer_gl0_inv
	v_cmpx_ne_u64_e64 v[0:1], v[7:8]
	s_cbranch_execz .LBB3_1258
; %bb.1255:
	s_mov_b32 s7, 0
	.p2align	6
.LBB3_1256:                             ; =>This Inner Loop Header: Depth=1
	s_sleep 1
	s_clause 0x1
	global_load_dwordx2 v[5:6], v4, s[26:27] offset:40
	global_load_dwordx2 v[9:10], v4, s[26:27]
	v_mov_b32_e32 v8, v1
	v_mov_b32_e32 v7, v0
	s_waitcnt vmcnt(1)
	v_and_b32_e32 v0, v5, v7
	v_and_b32_e32 v5, v6, v8
	s_waitcnt vmcnt(0)
	v_mad_u64_u32 v[0:1], null, v0, 24, v[9:10]
	v_mad_u64_u32 v[5:6], null, v5, 24, v[1:2]
	v_mov_b32_e32 v1, v5
	global_load_dwordx2 v[5:6], v[0:1], off glc dlc
	s_waitcnt vmcnt(0)
	global_atomic_cmpswap_x2 v[0:1], v4, v[5:8], s[26:27] offset:24 glc
	s_waitcnt vmcnt(0)
	buffer_gl1_inv
	buffer_gl0_inv
	v_cmp_eq_u64_e32 vcc_lo, v[0:1], v[7:8]
	s_or_b32 s7, vcc_lo, s7
	s_andn2_b32 exec_lo, exec_lo, s7
	s_cbranch_execnz .LBB3_1256
; %bb.1257:
	s_or_b32 exec_lo, exec_lo, s7
.LBB3_1258:
	s_or_b32 exec_lo, exec_lo, s6
.LBB3_1259:
	s_or_b32 exec_lo, exec_lo, s5
	v_mov_b32_e32 v5, 0
	v_readfirstlane_b32 s6, v0
	v_readfirstlane_b32 s7, v1
	s_mov_b32 s5, exec_lo
	s_clause 0x1
	global_load_dwordx2 v[10:11], v5, s[26:27] offset:40
	global_load_dwordx4 v[6:9], v5, s[26:27]
	s_waitcnt vmcnt(1)
	v_readfirstlane_b32 s10, v10
	v_readfirstlane_b32 s11, v11
	s_and_b64 s[10:11], s[6:7], s[10:11]
	s_mul_i32 s16, s11, 24
	s_mul_hi_u32 s17, s10, 24
	s_mul_i32 s18, s10, 24
	s_add_i32 s17, s17, s16
	s_waitcnt vmcnt(0)
	v_add_co_u32 v10, vcc_lo, v6, s18
	v_add_co_ci_u32_e32 v11, vcc_lo, s17, v7, vcc_lo
	s_and_saveexec_b32 s16, s4
	s_cbranch_execz .LBB3_1261
; %bb.1260:
	v_mov_b32_e32 v4, s5
	v_mov_b32_e32 v13, v5
	;; [unrolled: 1-line block ×5, first 2 shown]
	global_store_dwordx4 v[10:11], v[12:15], off offset:8
.LBB3_1261:
	s_or_b32 exec_lo, exec_lo, s16
	s_lshl_b64 s[10:11], s[10:11], 12
	s_mov_b32 s16, 0
	v_add_co_u32 v0, vcc_lo, v8, s10
	v_add_co_ci_u32_e32 v1, vcc_lo, s11, v9, vcc_lo
	s_mov_b32 s17, s16
	s_mov_b32 s18, s16
	;; [unrolled: 1-line block ×3, first 2 shown]
	v_and_or_b32 v2, 0xffffff1d, v2, 34
	v_mov_b32_e32 v4, 10
	v_readfirstlane_b32 s10, v0
	v_readfirstlane_b32 s11, v1
	v_mov_b32_e32 v12, s16
	v_mov_b32_e32 v13, s17
	;; [unrolled: 1-line block ×4, first 2 shown]
	global_store_dwordx4 v48, v[2:5], s[10:11]
	global_store_dwordx4 v48, v[12:15], s[10:11] offset:16
	global_store_dwordx4 v48, v[12:15], s[10:11] offset:32
	;; [unrolled: 1-line block ×3, first 2 shown]
	s_and_saveexec_b32 s5, s4
	s_cbranch_execz .LBB3_1269
; %bb.1262:
	v_mov_b32_e32 v8, 0
	v_mov_b32_e32 v12, s6
	;; [unrolled: 1-line block ×3, first 2 shown]
	s_clause 0x1
	global_load_dwordx2 v[14:15], v8, s[26:27] offset:32 glc dlc
	global_load_dwordx2 v[0:1], v8, s[26:27] offset:40
	s_waitcnt vmcnt(0)
	v_readfirstlane_b32 s10, v0
	v_readfirstlane_b32 s11, v1
	s_and_b64 s[10:11], s[10:11], s[6:7]
	s_mul_i32 s11, s11, 24
	s_mul_hi_u32 s16, s10, 24
	s_mul_i32 s10, s10, 24
	s_add_i32 s16, s16, s11
	v_add_co_u32 v4, vcc_lo, v6, s10
	v_add_co_ci_u32_e32 v5, vcc_lo, s16, v7, vcc_lo
	s_mov_b32 s10, exec_lo
	global_store_dwordx2 v[4:5], v[14:15], off
	s_waitcnt_vscnt null, 0x0
	global_atomic_cmpswap_x2 v[2:3], v8, v[12:15], s[26:27] offset:32 glc
	s_waitcnt vmcnt(0)
	v_cmpx_ne_u64_e64 v[2:3], v[14:15]
	s_cbranch_execz .LBB3_1265
; %bb.1263:
	s_mov_b32 s11, 0
.LBB3_1264:                             ; =>This Inner Loop Header: Depth=1
	v_mov_b32_e32 v0, s6
	v_mov_b32_e32 v1, s7
	s_sleep 1
	global_store_dwordx2 v[4:5], v[2:3], off
	s_waitcnt_vscnt null, 0x0
	global_atomic_cmpswap_x2 v[0:1], v8, v[0:3], s[26:27] offset:32 glc
	s_waitcnt vmcnt(0)
	v_cmp_eq_u64_e32 vcc_lo, v[0:1], v[2:3]
	v_mov_b32_e32 v3, v1
	v_mov_b32_e32 v2, v0
	s_or_b32 s11, vcc_lo, s11
	s_andn2_b32 exec_lo, exec_lo, s11
	s_cbranch_execnz .LBB3_1264
.LBB3_1265:
	s_or_b32 exec_lo, exec_lo, s10
	v_mov_b32_e32 v3, 0
	s_mov_b32 s11, exec_lo
	s_mov_b32 s10, exec_lo
	v_mbcnt_lo_u32_b32 v2, s11, 0
	global_load_dwordx2 v[0:1], v3, s[26:27] offset:16
	v_cmpx_eq_u32_e32 0, v2
	s_cbranch_execz .LBB3_1267
; %bb.1266:
	s_bcnt1_i32_b32 s11, s11
	v_mov_b32_e32 v2, s11
	s_waitcnt vmcnt(0)
	global_atomic_add_x2 v[0:1], v[2:3], off offset:8
.LBB3_1267:
	s_or_b32 exec_lo, exec_lo, s10
	s_waitcnt vmcnt(0)
	global_load_dwordx2 v[2:3], v[0:1], off offset:16
	s_waitcnt vmcnt(0)
	v_cmp_eq_u64_e32 vcc_lo, 0, v[2:3]
	s_cbranch_vccnz .LBB3_1269
; %bb.1268:
	global_load_dword v0, v[0:1], off offset:24
	v_mov_b32_e32 v1, 0
	s_waitcnt vmcnt(0)
	v_and_b32_e32 v4, 0x7fffff, v0
	s_waitcnt_vscnt null, 0x0
	global_store_dwordx2 v[2:3], v[0:1], off
	v_readfirstlane_b32 m0, v4
	s_sendmsg sendmsg(MSG_INTERRUPT)
.LBB3_1269:
	s_or_b32 exec_lo, exec_lo, s5
	s_branch .LBB3_1273
	.p2align	6
.LBB3_1270:                             ;   in Loop: Header=BB3_1273 Depth=1
	s_or_b32 exec_lo, exec_lo, s5
	v_readfirstlane_b32 s5, v0
	s_cmp_eq_u32 s5, 0
	s_cbranch_scc1 .LBB3_1272
; %bb.1271:                             ;   in Loop: Header=BB3_1273 Depth=1
	s_sleep 1
	s_cbranch_execnz .LBB3_1273
	s_branch .LBB3_1275
	.p2align	6
.LBB3_1272:
	s_branch .LBB3_1275
.LBB3_1273:                             ; =>This Inner Loop Header: Depth=1
	v_mov_b32_e32 v0, 1
	s_and_saveexec_b32 s5, s4
	s_cbranch_execz .LBB3_1270
; %bb.1274:                             ;   in Loop: Header=BB3_1273 Depth=1
	global_load_dword v0, v[10:11], off offset:20 glc dlc
	s_waitcnt vmcnt(0)
	buffer_gl1_inv
	buffer_gl0_inv
	v_and_b32_e32 v0, 1, v0
	s_branch .LBB3_1270
.LBB3_1275:
	s_and_saveexec_b32 s5, s4
	s_cbranch_execz .LBB3_1279
; %bb.1276:
	v_mov_b32_e32 v6, 0
	s_clause 0x2
	global_load_dwordx2 v[2:3], v6, s[26:27] offset:40
	global_load_dwordx2 v[7:8], v6, s[26:27] offset:24 glc dlc
	global_load_dwordx2 v[4:5], v6, s[26:27]
	s_waitcnt vmcnt(2)
	v_add_co_u32 v9, vcc_lo, v2, 1
	v_add_co_ci_u32_e32 v10, vcc_lo, 0, v3, vcc_lo
	v_add_co_u32 v0, vcc_lo, v9, s6
	v_add_co_ci_u32_e32 v1, vcc_lo, s7, v10, vcc_lo
	v_cmp_eq_u64_e32 vcc_lo, 0, v[0:1]
	v_cndmask_b32_e32 v1, v1, v10, vcc_lo
	v_cndmask_b32_e32 v0, v0, v9, vcc_lo
	v_and_b32_e32 v3, v1, v3
	v_and_b32_e32 v2, v0, v2
	v_mul_lo_u32 v3, v3, 24
	v_mul_hi_u32 v9, v2, 24
	v_mul_lo_u32 v2, v2, 24
	v_add_nc_u32_e32 v3, v9, v3
	s_waitcnt vmcnt(0)
	v_add_co_u32 v4, vcc_lo, v4, v2
	v_mov_b32_e32 v2, v7
	v_add_co_ci_u32_e32 v5, vcc_lo, v5, v3, vcc_lo
	v_mov_b32_e32 v3, v8
	global_store_dwordx2 v[4:5], v[7:8], off
	s_waitcnt_vscnt null, 0x0
	global_atomic_cmpswap_x2 v[2:3], v6, v[0:3], s[26:27] offset:24 glc
	s_waitcnt vmcnt(0)
	v_cmp_ne_u64_e32 vcc_lo, v[2:3], v[7:8]
	s_and_b32 exec_lo, exec_lo, vcc_lo
	s_cbranch_execz .LBB3_1279
; %bb.1277:
	s_mov_b32 s4, 0
.LBB3_1278:                             ; =>This Inner Loop Header: Depth=1
	s_sleep 1
	global_store_dwordx2 v[4:5], v[2:3], off
	s_waitcnt_vscnt null, 0x0
	global_atomic_cmpswap_x2 v[7:8], v6, v[0:3], s[26:27] offset:24 glc
	s_waitcnt vmcnt(0)
	v_cmp_eq_u64_e32 vcc_lo, v[7:8], v[2:3]
	v_mov_b32_e32 v2, v7
	v_mov_b32_e32 v3, v8
	s_or_b32 s4, vcc_lo, s4
	s_andn2_b32 exec_lo, exec_lo, s4
	s_cbranch_execnz .LBB3_1278
.LBB3_1279:
	s_or_b32 exec_lo, exec_lo, s5
	v_readfirstlane_b32 s4, v49
	v_mov_b32_e32 v6, 0
	v_mov_b32_e32 v7, 0
	v_cmp_eq_u32_e64 s4, s4, v49
	s_and_saveexec_b32 s5, s4
	s_cbranch_execz .LBB3_1285
; %bb.1280:
	v_mov_b32_e32 v0, 0
	s_mov_b32 s6, exec_lo
	global_load_dwordx2 v[3:4], v0, s[26:27] offset:24 glc dlc
	s_waitcnt vmcnt(0)
	buffer_gl1_inv
	buffer_gl0_inv
	s_clause 0x1
	global_load_dwordx2 v[1:2], v0, s[26:27] offset:40
	global_load_dwordx2 v[5:6], v0, s[26:27]
	s_waitcnt vmcnt(1)
	v_and_b32_e32 v2, v2, v4
	v_and_b32_e32 v1, v1, v3
	v_mul_lo_u32 v2, v2, 24
	v_mul_hi_u32 v7, v1, 24
	v_mul_lo_u32 v1, v1, 24
	v_add_nc_u32_e32 v2, v7, v2
	s_waitcnt vmcnt(0)
	v_add_co_u32 v1, vcc_lo, v5, v1
	v_add_co_ci_u32_e32 v2, vcc_lo, v6, v2, vcc_lo
	global_load_dwordx2 v[1:2], v[1:2], off glc dlc
	s_waitcnt vmcnt(0)
	global_atomic_cmpswap_x2 v[6:7], v0, v[1:4], s[26:27] offset:24 glc
	s_waitcnt vmcnt(0)
	buffer_gl1_inv
	buffer_gl0_inv
	v_cmpx_ne_u64_e64 v[6:7], v[3:4]
	s_cbranch_execz .LBB3_1284
; %bb.1281:
	s_mov_b32 s7, 0
	.p2align	6
.LBB3_1282:                             ; =>This Inner Loop Header: Depth=1
	s_sleep 1
	s_clause 0x1
	global_load_dwordx2 v[1:2], v0, s[26:27] offset:40
	global_load_dwordx2 v[8:9], v0, s[26:27]
	v_mov_b32_e32 v3, v6
	v_mov_b32_e32 v4, v7
	s_waitcnt vmcnt(1)
	v_and_b32_e32 v1, v1, v3
	v_and_b32_e32 v2, v2, v4
	s_waitcnt vmcnt(0)
	v_mad_u64_u32 v[5:6], null, v1, 24, v[8:9]
	v_mov_b32_e32 v1, v6
	v_mad_u64_u32 v[1:2], null, v2, 24, v[1:2]
	v_mov_b32_e32 v6, v1
	global_load_dwordx2 v[1:2], v[5:6], off glc dlc
	s_waitcnt vmcnt(0)
	global_atomic_cmpswap_x2 v[6:7], v0, v[1:4], s[26:27] offset:24 glc
	s_waitcnt vmcnt(0)
	buffer_gl1_inv
	buffer_gl0_inv
	v_cmp_eq_u64_e32 vcc_lo, v[6:7], v[3:4]
	s_or_b32 s7, vcc_lo, s7
	s_andn2_b32 exec_lo, exec_lo, s7
	s_cbranch_execnz .LBB3_1282
; %bb.1283:
	s_or_b32 exec_lo, exec_lo, s7
.LBB3_1284:
	s_or_b32 exec_lo, exec_lo, s6
.LBB3_1285:
	s_or_b32 exec_lo, exec_lo, s5
	v_mov_b32_e32 v5, 0
	v_readfirstlane_b32 s6, v6
	v_readfirstlane_b32 s7, v7
	s_mov_b32 s5, exec_lo
	s_clause 0x1
	global_load_dwordx2 v[8:9], v5, s[26:27] offset:40
	global_load_dwordx4 v[0:3], v5, s[26:27]
	s_waitcnt vmcnt(1)
	v_readfirstlane_b32 s10, v8
	v_readfirstlane_b32 s11, v9
	s_and_b64 s[10:11], s[6:7], s[10:11]
	s_mul_i32 s16, s11, 24
	s_mul_hi_u32 s17, s10, 24
	s_mul_i32 s18, s10, 24
	s_add_i32 s17, s17, s16
	s_waitcnt vmcnt(0)
	v_add_co_u32 v8, vcc_lo, v0, s18
	v_add_co_ci_u32_e32 v9, vcc_lo, s17, v1, vcc_lo
	s_and_saveexec_b32 s16, s4
	s_cbranch_execz .LBB3_1287
; %bb.1286:
	v_mov_b32_e32 v4, s5
	v_mov_b32_e32 v6, 2
	;; [unrolled: 1-line block ×3, first 2 shown]
	global_store_dwordx4 v[8:9], v[4:7], off offset:8
.LBB3_1287:
	s_or_b32 exec_lo, exec_lo, s16
	s_lshl_b64 s[10:11], s[10:11], 12
	s_mov_b32 s16, 0
	v_add_co_u32 v2, vcc_lo, v2, s10
	v_add_co_ci_u32_e32 v3, vcc_lo, s11, v3, vcc_lo
	s_mov_b32 s17, s16
	v_add_co_u32 v10, vcc_lo, v2, v48
	s_mov_b32 s18, s16
	s_mov_b32 s19, s16
	v_mov_b32_e32 v4, 33
	v_mov_b32_e32 v6, v5
	;; [unrolled: 1-line block ×3, first 2 shown]
	v_readfirstlane_b32 s10, v2
	v_readfirstlane_b32 s11, v3
	v_mov_b32_e32 v12, s16
	v_add_co_ci_u32_e32 v11, vcc_lo, 0, v3, vcc_lo
	v_mov_b32_e32 v13, s17
	v_mov_b32_e32 v14, s18
	;; [unrolled: 1-line block ×3, first 2 shown]
	global_store_dwordx4 v48, v[4:7], s[10:11]
	global_store_dwordx4 v48, v[12:15], s[10:11] offset:16
	global_store_dwordx4 v48, v[12:15], s[10:11] offset:32
	;; [unrolled: 1-line block ×3, first 2 shown]
	s_and_saveexec_b32 s5, s4
	s_cbranch_execz .LBB3_1295
; %bb.1288:
	v_mov_b32_e32 v6, 0
	v_mov_b32_e32 v12, s6
	;; [unrolled: 1-line block ×3, first 2 shown]
	s_clause 0x1
	global_load_dwordx2 v[14:15], v6, s[26:27] offset:32 glc dlc
	global_load_dwordx2 v[2:3], v6, s[26:27] offset:40
	s_waitcnt vmcnt(0)
	v_readfirstlane_b32 s10, v2
	v_readfirstlane_b32 s11, v3
	s_and_b64 s[10:11], s[10:11], s[6:7]
	s_mul_i32 s11, s11, 24
	s_mul_hi_u32 s16, s10, 24
	s_mul_i32 s10, s10, 24
	s_add_i32 s16, s16, s11
	v_add_co_u32 v4, vcc_lo, v0, s10
	v_add_co_ci_u32_e32 v5, vcc_lo, s16, v1, vcc_lo
	s_mov_b32 s10, exec_lo
	global_store_dwordx2 v[4:5], v[14:15], off
	s_waitcnt_vscnt null, 0x0
	global_atomic_cmpswap_x2 v[2:3], v6, v[12:15], s[26:27] offset:32 glc
	s_waitcnt vmcnt(0)
	v_cmpx_ne_u64_e64 v[2:3], v[14:15]
	s_cbranch_execz .LBB3_1291
; %bb.1289:
	s_mov_b32 s11, 0
.LBB3_1290:                             ; =>This Inner Loop Header: Depth=1
	v_mov_b32_e32 v0, s6
	v_mov_b32_e32 v1, s7
	s_sleep 1
	global_store_dwordx2 v[4:5], v[2:3], off
	s_waitcnt_vscnt null, 0x0
	global_atomic_cmpswap_x2 v[0:1], v6, v[0:3], s[26:27] offset:32 glc
	s_waitcnt vmcnt(0)
	v_cmp_eq_u64_e32 vcc_lo, v[0:1], v[2:3]
	v_mov_b32_e32 v3, v1
	v_mov_b32_e32 v2, v0
	s_or_b32 s11, vcc_lo, s11
	s_andn2_b32 exec_lo, exec_lo, s11
	s_cbranch_execnz .LBB3_1290
.LBB3_1291:
	s_or_b32 exec_lo, exec_lo, s10
	v_mov_b32_e32 v3, 0
	s_mov_b32 s11, exec_lo
	s_mov_b32 s10, exec_lo
	v_mbcnt_lo_u32_b32 v2, s11, 0
	global_load_dwordx2 v[0:1], v3, s[26:27] offset:16
	v_cmpx_eq_u32_e32 0, v2
	s_cbranch_execz .LBB3_1293
; %bb.1292:
	s_bcnt1_i32_b32 s11, s11
	v_mov_b32_e32 v2, s11
	s_waitcnt vmcnt(0)
	global_atomic_add_x2 v[0:1], v[2:3], off offset:8
.LBB3_1293:
	s_or_b32 exec_lo, exec_lo, s10
	s_waitcnt vmcnt(0)
	global_load_dwordx2 v[2:3], v[0:1], off offset:16
	s_waitcnt vmcnt(0)
	v_cmp_eq_u64_e32 vcc_lo, 0, v[2:3]
	s_cbranch_vccnz .LBB3_1295
; %bb.1294:
	global_load_dword v0, v[0:1], off offset:24
	v_mov_b32_e32 v1, 0
	s_waitcnt vmcnt(0)
	v_and_b32_e32 v4, 0x7fffff, v0
	s_waitcnt_vscnt null, 0x0
	global_store_dwordx2 v[2:3], v[0:1], off
	v_readfirstlane_b32 m0, v4
	s_sendmsg sendmsg(MSG_INTERRUPT)
.LBB3_1295:
	s_or_b32 exec_lo, exec_lo, s5
	s_branch .LBB3_1299
	.p2align	6
.LBB3_1296:                             ;   in Loop: Header=BB3_1299 Depth=1
	s_or_b32 exec_lo, exec_lo, s5
	v_readfirstlane_b32 s5, v0
	s_cmp_eq_u32 s5, 0
	s_cbranch_scc1 .LBB3_1298
; %bb.1297:                             ;   in Loop: Header=BB3_1299 Depth=1
	s_sleep 1
	s_cbranch_execnz .LBB3_1299
	s_branch .LBB3_1301
	.p2align	6
.LBB3_1298:
	s_branch .LBB3_1301
.LBB3_1299:                             ; =>This Inner Loop Header: Depth=1
	v_mov_b32_e32 v0, 1
	s_and_saveexec_b32 s5, s4
	s_cbranch_execz .LBB3_1296
; %bb.1300:                             ;   in Loop: Header=BB3_1299 Depth=1
	global_load_dword v0, v[8:9], off offset:20 glc dlc
	s_waitcnt vmcnt(0)
	buffer_gl1_inv
	buffer_gl0_inv
	v_and_b32_e32 v0, 1, v0
	s_branch .LBB3_1296
.LBB3_1301:
	global_load_dwordx2 v[4:5], v[10:11], off
	s_and_saveexec_b32 s5, s4
	s_cbranch_execz .LBB3_1305
; %bb.1302:
	v_mov_b32_e32 v8, 0
	s_clause 0x2
	global_load_dwordx2 v[2:3], v8, s[26:27] offset:40
	global_load_dwordx2 v[9:10], v8, s[26:27] offset:24 glc dlc
	global_load_dwordx2 v[6:7], v8, s[26:27]
	s_waitcnt vmcnt(2)
	v_add_co_u32 v11, vcc_lo, v2, 1
	v_add_co_ci_u32_e32 v12, vcc_lo, 0, v3, vcc_lo
	v_add_co_u32 v0, vcc_lo, v11, s6
	v_add_co_ci_u32_e32 v1, vcc_lo, s7, v12, vcc_lo
	v_cmp_eq_u64_e32 vcc_lo, 0, v[0:1]
	v_cndmask_b32_e32 v1, v1, v12, vcc_lo
	v_cndmask_b32_e32 v0, v0, v11, vcc_lo
	v_and_b32_e32 v3, v1, v3
	v_and_b32_e32 v2, v0, v2
	v_mul_lo_u32 v3, v3, 24
	v_mul_hi_u32 v11, v2, 24
	v_mul_lo_u32 v2, v2, 24
	v_add_nc_u32_e32 v3, v11, v3
	s_waitcnt vmcnt(0)
	v_add_co_u32 v6, vcc_lo, v6, v2
	v_mov_b32_e32 v2, v9
	v_add_co_ci_u32_e32 v7, vcc_lo, v7, v3, vcc_lo
	v_mov_b32_e32 v3, v10
	global_store_dwordx2 v[6:7], v[9:10], off
	s_waitcnt_vscnt null, 0x0
	global_atomic_cmpswap_x2 v[2:3], v8, v[0:3], s[26:27] offset:24 glc
	s_waitcnt vmcnt(0)
	v_cmp_ne_u64_e32 vcc_lo, v[2:3], v[9:10]
	s_and_b32 exec_lo, exec_lo, vcc_lo
	s_cbranch_execz .LBB3_1305
; %bb.1303:
	s_mov_b32 s4, 0
.LBB3_1304:                             ; =>This Inner Loop Header: Depth=1
	s_sleep 1
	global_store_dwordx2 v[6:7], v[2:3], off
	s_waitcnt_vscnt null, 0x0
	global_atomic_cmpswap_x2 v[9:10], v8, v[0:3], s[26:27] offset:24 glc
	s_waitcnt vmcnt(0)
	v_cmp_eq_u64_e32 vcc_lo, v[9:10], v[2:3]
	v_mov_b32_e32 v2, v9
	v_mov_b32_e32 v3, v10
	s_or_b32 s4, vcc_lo, s4
	s_andn2_b32 exec_lo, exec_lo, s4
	s_cbranch_execnz .LBB3_1304
.LBB3_1305:
	s_or_b32 exec_lo, exec_lo, s5
	s_and_b32 vcc_lo, exec_lo, s15
	s_cbranch_vccz .LBB3_1384
; %bb.1306:
	s_waitcnt vmcnt(0)
	v_and_b32_e32 v28, 2, v4
	v_mov_b32_e32 v7, 0
	v_and_b32_e32 v0, -3, v4
	v_mov_b32_e32 v1, v5
	v_mov_b32_e32 v8, 2
	;; [unrolled: 1-line block ×3, first 2 shown]
	s_mov_b64 s[10:11], 3
	s_getpc_b64 s[6:7]
	s_add_u32 s6, s6, .str.5@rel32@lo+4
	s_addc_u32 s7, s7, .str.5@rel32@hi+12
	s_branch .LBB3_1308
.LBB3_1307:                             ;   in Loop: Header=BB3_1308 Depth=1
	s_or_b32 exec_lo, exec_lo, s5
	s_sub_u32 s10, s10, s16
	s_subb_u32 s11, s11, s17
	s_add_u32 s6, s6, s16
	s_addc_u32 s7, s7, s17
	s_cmp_lg_u64 s[10:11], 0
	s_cbranch_scc0 .LBB3_1383
.LBB3_1308:                             ; =>This Loop Header: Depth=1
                                        ;     Child Loop BB3_1317 Depth 2
                                        ;     Child Loop BB3_1313 Depth 2
	;; [unrolled: 1-line block ×11, first 2 shown]
	v_cmp_lt_u64_e64 s4, s[10:11], 56
	v_cmp_gt_u64_e64 s5, s[10:11], 7
                                        ; implicit-def: $vgpr2_vgpr3
                                        ; implicit-def: $sgpr15
	s_and_b32 s4, s4, exec_lo
	s_cselect_b32 s17, s11, 0
	s_cselect_b32 s16, s10, 56
	s_and_b32 vcc_lo, exec_lo, s5
	s_mov_b32 s4, -1
	s_cbranch_vccz .LBB3_1315
; %bb.1309:                             ;   in Loop: Header=BB3_1308 Depth=1
	s_andn2_b32 vcc_lo, exec_lo, s4
	s_mov_b64 s[4:5], s[6:7]
	s_cbranch_vccz .LBB3_1319
.LBB3_1310:                             ;   in Loop: Header=BB3_1308 Depth=1
	s_cmp_gt_u32 s15, 7
	s_cbranch_scc1 .LBB3_1320
.LBB3_1311:                             ;   in Loop: Header=BB3_1308 Depth=1
	v_mov_b32_e32 v10, 0
	v_mov_b32_e32 v11, 0
	s_cmp_eq_u32 s15, 0
	s_cbranch_scc1 .LBB3_1314
; %bb.1312:                             ;   in Loop: Header=BB3_1308 Depth=1
	s_mov_b64 s[18:19], 0
	s_mov_b64 s[20:21], 0
.LBB3_1313:                             ;   Parent Loop BB3_1308 Depth=1
                                        ; =>  This Inner Loop Header: Depth=2
	s_add_u32 s22, s4, s20
	s_addc_u32 s23, s5, s21
	s_add_u32 s20, s20, 1
	global_load_ubyte v6, v7, s[22:23]
	s_addc_u32 s21, s21, 0
	s_waitcnt vmcnt(0)
	v_and_b32_e32 v6, 0xffff, v6
	v_lshlrev_b64 v[12:13], s18, v[6:7]
	s_add_u32 s18, s18, 8
	s_addc_u32 s19, s19, 0
	s_cmp_lg_u32 s15, s20
	v_or_b32_e32 v10, v12, v10
	v_or_b32_e32 v11, v13, v11
	s_cbranch_scc1 .LBB3_1313
.LBB3_1314:                             ;   in Loop: Header=BB3_1308 Depth=1
	s_mov_b32 s22, 0
	s_cbranch_execz .LBB3_1321
	s_branch .LBB3_1322
.LBB3_1315:                             ;   in Loop: Header=BB3_1308 Depth=1
	s_waitcnt vmcnt(0)
	v_mov_b32_e32 v2, 0
	v_mov_b32_e32 v3, 0
	s_cmp_eq_u64 s[10:11], 0
	s_mov_b64 s[4:5], 0
	s_cbranch_scc1 .LBB3_1318
; %bb.1316:                             ;   in Loop: Header=BB3_1308 Depth=1
	v_mov_b32_e32 v2, 0
	v_mov_b32_e32 v3, 0
	s_lshl_b64 s[18:19], s[16:17], 3
	s_mov_b64 s[20:21], s[6:7]
.LBB3_1317:                             ;   Parent Loop BB3_1308 Depth=1
                                        ; =>  This Inner Loop Header: Depth=2
	global_load_ubyte v6, v7, s[20:21]
	s_waitcnt vmcnt(0)
	v_and_b32_e32 v6, 0xffff, v6
	v_lshlrev_b64 v[10:11], s4, v[6:7]
	s_add_u32 s4, s4, 8
	s_addc_u32 s5, s5, 0
	s_add_u32 s20, s20, 1
	s_addc_u32 s21, s21, 0
	s_cmp_lg_u32 s18, s4
	v_or_b32_e32 v2, v10, v2
	v_or_b32_e32 v3, v11, v3
	s_cbranch_scc1 .LBB3_1317
.LBB3_1318:                             ;   in Loop: Header=BB3_1308 Depth=1
	s_mov_b32 s15, 0
	s_mov_b64 s[4:5], s[6:7]
	s_cbranch_execnz .LBB3_1310
.LBB3_1319:                             ;   in Loop: Header=BB3_1308 Depth=1
	global_load_dwordx2 v[2:3], v7, s[6:7]
	s_add_i32 s15, s16, -8
	s_add_u32 s4, s6, 8
	s_addc_u32 s5, s7, 0
	s_cmp_gt_u32 s15, 7
	s_cbranch_scc0 .LBB3_1311
.LBB3_1320:                             ;   in Loop: Header=BB3_1308 Depth=1
                                        ; implicit-def: $vgpr10_vgpr11
                                        ; implicit-def: $sgpr22
.LBB3_1321:                             ;   in Loop: Header=BB3_1308 Depth=1
	global_load_dwordx2 v[10:11], v7, s[4:5]
	s_add_i32 s22, s15, -8
	s_add_u32 s4, s4, 8
	s_addc_u32 s5, s5, 0
.LBB3_1322:                             ;   in Loop: Header=BB3_1308 Depth=1
	s_cmp_gt_u32 s22, 7
	s_cbranch_scc1 .LBB3_1327
; %bb.1323:                             ;   in Loop: Header=BB3_1308 Depth=1
	v_mov_b32_e32 v12, 0
	v_mov_b32_e32 v13, 0
	s_cmp_eq_u32 s22, 0
	s_cbranch_scc1 .LBB3_1326
; %bb.1324:                             ;   in Loop: Header=BB3_1308 Depth=1
	s_mov_b64 s[18:19], 0
	s_mov_b64 s[20:21], 0
.LBB3_1325:                             ;   Parent Loop BB3_1308 Depth=1
                                        ; =>  This Inner Loop Header: Depth=2
	s_add_u32 s24, s4, s20
	s_addc_u32 s25, s5, s21
	s_add_u32 s20, s20, 1
	global_load_ubyte v6, v7, s[24:25]
	s_addc_u32 s21, s21, 0
	s_waitcnt vmcnt(0)
	v_and_b32_e32 v6, 0xffff, v6
	v_lshlrev_b64 v[14:15], s18, v[6:7]
	s_add_u32 s18, s18, 8
	s_addc_u32 s19, s19, 0
	s_cmp_lg_u32 s22, s20
	v_or_b32_e32 v12, v14, v12
	v_or_b32_e32 v13, v15, v13
	s_cbranch_scc1 .LBB3_1325
.LBB3_1326:                             ;   in Loop: Header=BB3_1308 Depth=1
	s_mov_b32 s15, 0
	s_cbranch_execz .LBB3_1328
	s_branch .LBB3_1329
.LBB3_1327:                             ;   in Loop: Header=BB3_1308 Depth=1
                                        ; implicit-def: $sgpr15
.LBB3_1328:                             ;   in Loop: Header=BB3_1308 Depth=1
	global_load_dwordx2 v[12:13], v7, s[4:5]
	s_add_i32 s15, s22, -8
	s_add_u32 s4, s4, 8
	s_addc_u32 s5, s5, 0
.LBB3_1329:                             ;   in Loop: Header=BB3_1308 Depth=1
	s_cmp_gt_u32 s15, 7
	s_cbranch_scc1 .LBB3_1334
; %bb.1330:                             ;   in Loop: Header=BB3_1308 Depth=1
	v_mov_b32_e32 v14, 0
	v_mov_b32_e32 v15, 0
	s_cmp_eq_u32 s15, 0
	s_cbranch_scc1 .LBB3_1333
; %bb.1331:                             ;   in Loop: Header=BB3_1308 Depth=1
	s_mov_b64 s[18:19], 0
	s_mov_b64 s[20:21], 0
.LBB3_1332:                             ;   Parent Loop BB3_1308 Depth=1
                                        ; =>  This Inner Loop Header: Depth=2
	s_add_u32 s22, s4, s20
	s_addc_u32 s23, s5, s21
	s_add_u32 s20, s20, 1
	global_load_ubyte v6, v7, s[22:23]
	s_addc_u32 s21, s21, 0
	s_waitcnt vmcnt(0)
	v_and_b32_e32 v6, 0xffff, v6
	v_lshlrev_b64 v[16:17], s18, v[6:7]
	s_add_u32 s18, s18, 8
	s_addc_u32 s19, s19, 0
	s_cmp_lg_u32 s15, s20
	v_or_b32_e32 v14, v16, v14
	v_or_b32_e32 v15, v17, v15
	s_cbranch_scc1 .LBB3_1332
.LBB3_1333:                             ;   in Loop: Header=BB3_1308 Depth=1
	s_mov_b32 s22, 0
	s_cbranch_execz .LBB3_1335
	s_branch .LBB3_1336
.LBB3_1334:                             ;   in Loop: Header=BB3_1308 Depth=1
                                        ; implicit-def: $vgpr14_vgpr15
                                        ; implicit-def: $sgpr22
.LBB3_1335:                             ;   in Loop: Header=BB3_1308 Depth=1
	global_load_dwordx2 v[14:15], v7, s[4:5]
	s_add_i32 s22, s15, -8
	s_add_u32 s4, s4, 8
	s_addc_u32 s5, s5, 0
.LBB3_1336:                             ;   in Loop: Header=BB3_1308 Depth=1
	s_cmp_gt_u32 s22, 7
	s_cbranch_scc1 .LBB3_1341
; %bb.1337:                             ;   in Loop: Header=BB3_1308 Depth=1
	v_mov_b32_e32 v16, 0
	v_mov_b32_e32 v17, 0
	s_cmp_eq_u32 s22, 0
	s_cbranch_scc1 .LBB3_1340
; %bb.1338:                             ;   in Loop: Header=BB3_1308 Depth=1
	s_mov_b64 s[18:19], 0
	s_mov_b64 s[20:21], 0
.LBB3_1339:                             ;   Parent Loop BB3_1308 Depth=1
                                        ; =>  This Inner Loop Header: Depth=2
	s_add_u32 s24, s4, s20
	s_addc_u32 s25, s5, s21
	s_add_u32 s20, s20, 1
	global_load_ubyte v6, v7, s[24:25]
	s_addc_u32 s21, s21, 0
	s_waitcnt vmcnt(0)
	v_and_b32_e32 v6, 0xffff, v6
	v_lshlrev_b64 v[18:19], s18, v[6:7]
	s_add_u32 s18, s18, 8
	s_addc_u32 s19, s19, 0
	s_cmp_lg_u32 s22, s20
	v_or_b32_e32 v16, v18, v16
	v_or_b32_e32 v17, v19, v17
	s_cbranch_scc1 .LBB3_1339
.LBB3_1340:                             ;   in Loop: Header=BB3_1308 Depth=1
	s_mov_b32 s15, 0
	s_cbranch_execz .LBB3_1342
	s_branch .LBB3_1343
.LBB3_1341:                             ;   in Loop: Header=BB3_1308 Depth=1
                                        ; implicit-def: $sgpr15
.LBB3_1342:                             ;   in Loop: Header=BB3_1308 Depth=1
	global_load_dwordx2 v[16:17], v7, s[4:5]
	s_add_i32 s15, s22, -8
	s_add_u32 s4, s4, 8
	s_addc_u32 s5, s5, 0
.LBB3_1343:                             ;   in Loop: Header=BB3_1308 Depth=1
	s_cmp_gt_u32 s15, 7
	s_cbranch_scc1 .LBB3_1348
; %bb.1344:                             ;   in Loop: Header=BB3_1308 Depth=1
	v_mov_b32_e32 v18, 0
	v_mov_b32_e32 v19, 0
	s_cmp_eq_u32 s15, 0
	s_cbranch_scc1 .LBB3_1347
; %bb.1345:                             ;   in Loop: Header=BB3_1308 Depth=1
	s_mov_b64 s[18:19], 0
	s_mov_b64 s[20:21], 0
.LBB3_1346:                             ;   Parent Loop BB3_1308 Depth=1
                                        ; =>  This Inner Loop Header: Depth=2
	s_add_u32 s22, s4, s20
	s_addc_u32 s23, s5, s21
	s_add_u32 s20, s20, 1
	global_load_ubyte v6, v7, s[22:23]
	s_addc_u32 s21, s21, 0
	s_waitcnt vmcnt(0)
	v_and_b32_e32 v6, 0xffff, v6
	v_lshlrev_b64 v[20:21], s18, v[6:7]
	s_add_u32 s18, s18, 8
	s_addc_u32 s19, s19, 0
	s_cmp_lg_u32 s15, s20
	v_or_b32_e32 v18, v20, v18
	v_or_b32_e32 v19, v21, v19
	s_cbranch_scc1 .LBB3_1346
.LBB3_1347:                             ;   in Loop: Header=BB3_1308 Depth=1
	s_mov_b32 s22, 0
	s_cbranch_execz .LBB3_1349
	s_branch .LBB3_1350
.LBB3_1348:                             ;   in Loop: Header=BB3_1308 Depth=1
                                        ; implicit-def: $vgpr18_vgpr19
                                        ; implicit-def: $sgpr22
.LBB3_1349:                             ;   in Loop: Header=BB3_1308 Depth=1
	global_load_dwordx2 v[18:19], v7, s[4:5]
	s_add_i32 s22, s15, -8
	s_add_u32 s4, s4, 8
	s_addc_u32 s5, s5, 0
.LBB3_1350:                             ;   in Loop: Header=BB3_1308 Depth=1
	s_cmp_gt_u32 s22, 7
	s_cbranch_scc1 .LBB3_1355
; %bb.1351:                             ;   in Loop: Header=BB3_1308 Depth=1
	v_mov_b32_e32 v20, 0
	v_mov_b32_e32 v21, 0
	s_cmp_eq_u32 s22, 0
	s_cbranch_scc1 .LBB3_1354
; %bb.1352:                             ;   in Loop: Header=BB3_1308 Depth=1
	s_mov_b64 s[18:19], 0
	s_mov_b64 s[20:21], s[4:5]
.LBB3_1353:                             ;   Parent Loop BB3_1308 Depth=1
                                        ; =>  This Inner Loop Header: Depth=2
	global_load_ubyte v6, v7, s[20:21]
	s_add_i32 s22, s22, -1
	s_waitcnt vmcnt(0)
	v_and_b32_e32 v6, 0xffff, v6
	v_lshlrev_b64 v[22:23], s18, v[6:7]
	s_add_u32 s18, s18, 8
	s_addc_u32 s19, s19, 0
	s_add_u32 s20, s20, 1
	s_addc_u32 s21, s21, 0
	s_cmp_lg_u32 s22, 0
	v_or_b32_e32 v20, v22, v20
	v_or_b32_e32 v21, v23, v21
	s_cbranch_scc1 .LBB3_1353
.LBB3_1354:                             ;   in Loop: Header=BB3_1308 Depth=1
	s_cbranch_execz .LBB3_1356
	s_branch .LBB3_1357
.LBB3_1355:                             ;   in Loop: Header=BB3_1308 Depth=1
.LBB3_1356:                             ;   in Loop: Header=BB3_1308 Depth=1
	global_load_dwordx2 v[20:21], v7, s[4:5]
.LBB3_1357:                             ;   in Loop: Header=BB3_1308 Depth=1
	v_readfirstlane_b32 s4, v49
	v_mov_b32_e32 v26, 0
	v_mov_b32_e32 v27, 0
	v_cmp_eq_u32_e64 s4, s4, v49
	s_and_saveexec_b32 s5, s4
	s_cbranch_execz .LBB3_1363
; %bb.1358:                             ;   in Loop: Header=BB3_1308 Depth=1
	global_load_dwordx2 v[24:25], v7, s[26:27] offset:24 glc dlc
	s_waitcnt vmcnt(0)
	buffer_gl1_inv
	buffer_gl0_inv
	s_clause 0x1
	global_load_dwordx2 v[22:23], v7, s[26:27] offset:40
	global_load_dwordx2 v[26:27], v7, s[26:27]
	s_mov_b32 s15, exec_lo
	s_waitcnt vmcnt(1)
	v_and_b32_e32 v6, v23, v25
	v_and_b32_e32 v22, v22, v24
	v_mul_lo_u32 v6, v6, 24
	v_mul_hi_u32 v23, v22, 24
	v_mul_lo_u32 v22, v22, 24
	v_add_nc_u32_e32 v6, v23, v6
	s_waitcnt vmcnt(0)
	v_add_co_u32 v22, vcc_lo, v26, v22
	v_add_co_ci_u32_e32 v23, vcc_lo, v27, v6, vcc_lo
	global_load_dwordx2 v[22:23], v[22:23], off glc dlc
	s_waitcnt vmcnt(0)
	global_atomic_cmpswap_x2 v[26:27], v7, v[22:25], s[26:27] offset:24 glc
	s_waitcnt vmcnt(0)
	buffer_gl1_inv
	buffer_gl0_inv
	v_cmpx_ne_u64_e64 v[26:27], v[24:25]
	s_cbranch_execz .LBB3_1362
; %bb.1359:                             ;   in Loop: Header=BB3_1308 Depth=1
	s_mov_b32 s18, 0
	.p2align	6
.LBB3_1360:                             ;   Parent Loop BB3_1308 Depth=1
                                        ; =>  This Inner Loop Header: Depth=2
	s_sleep 1
	s_clause 0x1
	global_load_dwordx2 v[22:23], v7, s[26:27] offset:40
	global_load_dwordx2 v[29:30], v7, s[26:27]
	v_mov_b32_e32 v24, v26
	v_mov_b32_e32 v25, v27
	s_waitcnt vmcnt(1)
	v_and_b32_e32 v6, v22, v24
	v_and_b32_e32 v22, v23, v25
	s_waitcnt vmcnt(0)
	v_mad_u64_u32 v[26:27], null, v6, 24, v[29:30]
	v_mov_b32_e32 v6, v27
	v_mad_u64_u32 v[22:23], null, v22, 24, v[6:7]
	v_mov_b32_e32 v27, v22
	global_load_dwordx2 v[22:23], v[26:27], off glc dlc
	s_waitcnt vmcnt(0)
	global_atomic_cmpswap_x2 v[26:27], v7, v[22:25], s[26:27] offset:24 glc
	s_waitcnt vmcnt(0)
	buffer_gl1_inv
	buffer_gl0_inv
	v_cmp_eq_u64_e32 vcc_lo, v[26:27], v[24:25]
	s_or_b32 s18, vcc_lo, s18
	s_andn2_b32 exec_lo, exec_lo, s18
	s_cbranch_execnz .LBB3_1360
; %bb.1361:                             ;   in Loop: Header=BB3_1308 Depth=1
	s_or_b32 exec_lo, exec_lo, s18
.LBB3_1362:                             ;   in Loop: Header=BB3_1308 Depth=1
	s_or_b32 exec_lo, exec_lo, s15
.LBB3_1363:                             ;   in Loop: Header=BB3_1308 Depth=1
	s_or_b32 exec_lo, exec_lo, s5
	s_clause 0x1
	global_load_dwordx2 v[29:30], v7, s[26:27] offset:40
	global_load_dwordx4 v[22:25], v7, s[26:27]
	v_readfirstlane_b32 s18, v26
	v_readfirstlane_b32 s19, v27
	s_mov_b32 s5, exec_lo
	s_waitcnt vmcnt(1)
	v_readfirstlane_b32 s20, v29
	v_readfirstlane_b32 s21, v30
	s_and_b64 s[20:21], s[18:19], s[20:21]
	s_mul_i32 s15, s21, 24
	s_mul_hi_u32 s22, s20, 24
	s_mul_i32 s23, s20, 24
	s_add_i32 s22, s22, s15
	s_waitcnt vmcnt(0)
	v_add_co_u32 v26, vcc_lo, v22, s23
	v_add_co_ci_u32_e32 v27, vcc_lo, s22, v23, vcc_lo
	s_and_saveexec_b32 s15, s4
	s_cbranch_execz .LBB3_1365
; %bb.1364:                             ;   in Loop: Header=BB3_1308 Depth=1
	v_mov_b32_e32 v6, s5
	global_store_dwordx4 v[26:27], v[6:9], off offset:8
.LBB3_1365:                             ;   in Loop: Header=BB3_1308 Depth=1
	s_or_b32 exec_lo, exec_lo, s15
	s_lshl_b64 s[20:21], s[20:21], 12
	v_cmp_gt_u64_e64 vcc_lo, s[10:11], 56
	v_or_b32_e32 v29, v0, v28
	v_add_co_u32 v24, s5, v24, s20
	v_add_co_ci_u32_e64 v25, s5, s21, v25, s5
	s_lshl_b32 s5, s16, 2
	v_or_b32_e32 v6, 0, v1
	v_cndmask_b32_e32 v0, v29, v0, vcc_lo
	s_add_i32 s5, s5, 28
	v_readfirstlane_b32 s20, v24
	s_and_b32 s5, s5, 0x1e0
	v_cndmask_b32_e32 v1, v6, v1, vcc_lo
	v_readfirstlane_b32 s21, v25
	v_and_or_b32 v0, 0xffffff1f, v0, s5
	global_store_dwordx4 v48, v[0:3], s[20:21]
	global_store_dwordx4 v48, v[10:13], s[20:21] offset:16
	global_store_dwordx4 v48, v[14:17], s[20:21] offset:32
	;; [unrolled: 1-line block ×3, first 2 shown]
	s_and_saveexec_b32 s5, s4
	s_cbranch_execz .LBB3_1373
; %bb.1366:                             ;   in Loop: Header=BB3_1308 Depth=1
	s_clause 0x1
	global_load_dwordx2 v[14:15], v7, s[26:27] offset:32 glc dlc
	global_load_dwordx2 v[0:1], v7, s[26:27] offset:40
	v_mov_b32_e32 v12, s18
	v_mov_b32_e32 v13, s19
	s_waitcnt vmcnt(0)
	v_readfirstlane_b32 s20, v0
	v_readfirstlane_b32 s21, v1
	s_and_b64 s[20:21], s[20:21], s[18:19]
	s_mul_i32 s15, s21, 24
	s_mul_hi_u32 s21, s20, 24
	s_mul_i32 s20, s20, 24
	s_add_i32 s21, s21, s15
	v_add_co_u32 v10, vcc_lo, v22, s20
	v_add_co_ci_u32_e32 v11, vcc_lo, s21, v23, vcc_lo
	s_mov_b32 s15, exec_lo
	global_store_dwordx2 v[10:11], v[14:15], off
	s_waitcnt_vscnt null, 0x0
	global_atomic_cmpswap_x2 v[2:3], v7, v[12:15], s[26:27] offset:32 glc
	s_waitcnt vmcnt(0)
	v_cmpx_ne_u64_e64 v[2:3], v[14:15]
	s_cbranch_execz .LBB3_1369
; %bb.1367:                             ;   in Loop: Header=BB3_1308 Depth=1
	s_mov_b32 s20, 0
.LBB3_1368:                             ;   Parent Loop BB3_1308 Depth=1
                                        ; =>  This Inner Loop Header: Depth=2
	v_mov_b32_e32 v0, s18
	v_mov_b32_e32 v1, s19
	s_sleep 1
	global_store_dwordx2 v[10:11], v[2:3], off
	s_waitcnt_vscnt null, 0x0
	global_atomic_cmpswap_x2 v[0:1], v7, v[0:3], s[26:27] offset:32 glc
	s_waitcnt vmcnt(0)
	v_cmp_eq_u64_e32 vcc_lo, v[0:1], v[2:3]
	v_mov_b32_e32 v3, v1
	v_mov_b32_e32 v2, v0
	s_or_b32 s20, vcc_lo, s20
	s_andn2_b32 exec_lo, exec_lo, s20
	s_cbranch_execnz .LBB3_1368
.LBB3_1369:                             ;   in Loop: Header=BB3_1308 Depth=1
	s_or_b32 exec_lo, exec_lo, s15
	global_load_dwordx2 v[0:1], v7, s[26:27] offset:16
	s_mov_b32 s20, exec_lo
	s_mov_b32 s15, exec_lo
	v_mbcnt_lo_u32_b32 v2, s20, 0
	v_cmpx_eq_u32_e32 0, v2
	s_cbranch_execz .LBB3_1371
; %bb.1370:                             ;   in Loop: Header=BB3_1308 Depth=1
	s_bcnt1_i32_b32 s20, s20
	v_mov_b32_e32 v6, s20
	s_waitcnt vmcnt(0)
	global_atomic_add_x2 v[0:1], v[6:7], off offset:8
.LBB3_1371:                             ;   in Loop: Header=BB3_1308 Depth=1
	s_or_b32 exec_lo, exec_lo, s15
	s_waitcnt vmcnt(0)
	global_load_dwordx2 v[2:3], v[0:1], off offset:16
	s_waitcnt vmcnt(0)
	v_cmp_eq_u64_e32 vcc_lo, 0, v[2:3]
	s_cbranch_vccnz .LBB3_1373
; %bb.1372:                             ;   in Loop: Header=BB3_1308 Depth=1
	global_load_dword v6, v[0:1], off offset:24
	s_waitcnt vmcnt(0)
	v_and_b32_e32 v0, 0x7fffff, v6
	s_waitcnt_vscnt null, 0x0
	global_store_dwordx2 v[2:3], v[6:7], off
	v_readfirstlane_b32 m0, v0
	s_sendmsg sendmsg(MSG_INTERRUPT)
.LBB3_1373:                             ;   in Loop: Header=BB3_1308 Depth=1
	s_or_b32 exec_lo, exec_lo, s5
	v_add_co_u32 v0, vcc_lo, v24, v48
	v_add_co_ci_u32_e32 v1, vcc_lo, 0, v25, vcc_lo
	s_branch .LBB3_1377
	.p2align	6
.LBB3_1374:                             ;   in Loop: Header=BB3_1377 Depth=2
	s_or_b32 exec_lo, exec_lo, s5
	v_readfirstlane_b32 s5, v2
	s_cmp_eq_u32 s5, 0
	s_cbranch_scc1 .LBB3_1376
; %bb.1375:                             ;   in Loop: Header=BB3_1377 Depth=2
	s_sleep 1
	s_cbranch_execnz .LBB3_1377
	s_branch .LBB3_1379
	.p2align	6
.LBB3_1376:                             ;   in Loop: Header=BB3_1308 Depth=1
	s_branch .LBB3_1379
.LBB3_1377:                             ;   Parent Loop BB3_1308 Depth=1
                                        ; =>  This Inner Loop Header: Depth=2
	v_mov_b32_e32 v2, 1
	s_and_saveexec_b32 s5, s4
	s_cbranch_execz .LBB3_1374
; %bb.1378:                             ;   in Loop: Header=BB3_1377 Depth=2
	global_load_dword v2, v[26:27], off offset:20 glc dlc
	s_waitcnt vmcnt(0)
	buffer_gl1_inv
	buffer_gl0_inv
	v_and_b32_e32 v2, 1, v2
	s_branch .LBB3_1374
.LBB3_1379:                             ;   in Loop: Header=BB3_1308 Depth=1
	global_load_dwordx4 v[0:3], v[0:1], off
	s_and_saveexec_b32 s5, s4
	s_cbranch_execz .LBB3_1307
; %bb.1380:                             ;   in Loop: Header=BB3_1308 Depth=1
	s_clause 0x2
	global_load_dwordx2 v[2:3], v7, s[26:27] offset:40
	global_load_dwordx2 v[14:15], v7, s[26:27] offset:24 glc dlc
	global_load_dwordx2 v[12:13], v7, s[26:27]
	s_waitcnt vmcnt(2)
	v_add_co_u32 v6, vcc_lo, v2, 1
	v_add_co_ci_u32_e32 v16, vcc_lo, 0, v3, vcc_lo
	v_add_co_u32 v10, vcc_lo, v6, s18
	v_add_co_ci_u32_e32 v11, vcc_lo, s19, v16, vcc_lo
	v_cmp_eq_u64_e32 vcc_lo, 0, v[10:11]
	v_cndmask_b32_e32 v11, v11, v16, vcc_lo
	v_cndmask_b32_e32 v10, v10, v6, vcc_lo
	v_and_b32_e32 v3, v11, v3
	v_and_b32_e32 v2, v10, v2
	v_mul_lo_u32 v3, v3, 24
	v_mul_hi_u32 v6, v2, 24
	v_mul_lo_u32 v2, v2, 24
	v_add_nc_u32_e32 v3, v6, v3
	s_waitcnt vmcnt(0)
	v_add_co_u32 v2, vcc_lo, v12, v2
	v_mov_b32_e32 v12, v14
	v_add_co_ci_u32_e32 v3, vcc_lo, v13, v3, vcc_lo
	v_mov_b32_e32 v13, v15
	global_store_dwordx2 v[2:3], v[14:15], off
	s_waitcnt_vscnt null, 0x0
	global_atomic_cmpswap_x2 v[12:13], v7, v[10:13], s[26:27] offset:24 glc
	s_waitcnt vmcnt(0)
	v_cmp_ne_u64_e32 vcc_lo, v[12:13], v[14:15]
	s_and_b32 exec_lo, exec_lo, vcc_lo
	s_cbranch_execz .LBB3_1307
; %bb.1381:                             ;   in Loop: Header=BB3_1308 Depth=1
	s_mov_b32 s4, 0
.LBB3_1382:                             ;   Parent Loop BB3_1308 Depth=1
                                        ; =>  This Inner Loop Header: Depth=2
	s_sleep 1
	global_store_dwordx2 v[2:3], v[12:13], off
	s_waitcnt_vscnt null, 0x0
	global_atomic_cmpswap_x2 v[14:15], v7, v[10:13], s[26:27] offset:24 glc
	s_waitcnt vmcnt(0)
	v_cmp_eq_u64_e32 vcc_lo, v[14:15], v[12:13]
	v_mov_b32_e32 v12, v14
	v_mov_b32_e32 v13, v15
	s_or_b32 s4, vcc_lo, s4
	s_andn2_b32 exec_lo, exec_lo, s4
	s_cbranch_execnz .LBB3_1382
	s_branch .LBB3_1307
.LBB3_1383:
	s_branch .LBB3_1412
.LBB3_1384:
                                        ; implicit-def: $vgpr0_vgpr1
	s_cbranch_execz .LBB3_1412
; %bb.1385:
	v_readfirstlane_b32 s4, v49
	v_mov_b32_e32 v7, 0
	v_mov_b32_e32 v8, 0
	v_cmp_eq_u32_e64 s4, s4, v49
	s_and_saveexec_b32 s5, s4
	s_cbranch_execz .LBB3_1391
; %bb.1386:
	s_waitcnt vmcnt(0)
	v_mov_b32_e32 v0, 0
	s_mov_b32 s6, exec_lo
	global_load_dwordx2 v[9:10], v0, s[26:27] offset:24 glc dlc
	s_waitcnt vmcnt(0)
	buffer_gl1_inv
	buffer_gl0_inv
	s_clause 0x1
	global_load_dwordx2 v[1:2], v0, s[26:27] offset:40
	global_load_dwordx2 v[6:7], v0, s[26:27]
	s_waitcnt vmcnt(1)
	v_and_b32_e32 v2, v2, v10
	v_and_b32_e32 v1, v1, v9
	v_mul_lo_u32 v2, v2, 24
	v_mul_hi_u32 v3, v1, 24
	v_mul_lo_u32 v1, v1, 24
	v_add_nc_u32_e32 v2, v3, v2
	s_waitcnt vmcnt(0)
	v_add_co_u32 v1, vcc_lo, v6, v1
	v_add_co_ci_u32_e32 v2, vcc_lo, v7, v2, vcc_lo
	global_load_dwordx2 v[7:8], v[1:2], off glc dlc
	s_waitcnt vmcnt(0)
	global_atomic_cmpswap_x2 v[7:8], v0, v[7:10], s[26:27] offset:24 glc
	s_waitcnt vmcnt(0)
	buffer_gl1_inv
	buffer_gl0_inv
	v_cmpx_ne_u64_e64 v[7:8], v[9:10]
	s_cbranch_execz .LBB3_1390
; %bb.1387:
	s_mov_b32 s7, 0
	.p2align	6
.LBB3_1388:                             ; =>This Inner Loop Header: Depth=1
	s_sleep 1
	s_clause 0x1
	global_load_dwordx2 v[1:2], v0, s[26:27] offset:40
	global_load_dwordx2 v[11:12], v0, s[26:27]
	v_mov_b32_e32 v10, v8
	v_mov_b32_e32 v9, v7
	s_waitcnt vmcnt(1)
	v_and_b32_e32 v1, v1, v9
	v_and_b32_e32 v2, v2, v10
	s_waitcnt vmcnt(0)
	v_mad_u64_u32 v[6:7], null, v1, 24, v[11:12]
	v_mov_b32_e32 v1, v7
	v_mad_u64_u32 v[1:2], null, v2, 24, v[1:2]
	v_mov_b32_e32 v7, v1
	global_load_dwordx2 v[7:8], v[6:7], off glc dlc
	s_waitcnt vmcnt(0)
	global_atomic_cmpswap_x2 v[7:8], v0, v[7:10], s[26:27] offset:24 glc
	s_waitcnt vmcnt(0)
	buffer_gl1_inv
	buffer_gl0_inv
	v_cmp_eq_u64_e32 vcc_lo, v[7:8], v[9:10]
	s_or_b32 s7, vcc_lo, s7
	s_andn2_b32 exec_lo, exec_lo, s7
	s_cbranch_execnz .LBB3_1388
; %bb.1389:
	s_or_b32 exec_lo, exec_lo, s7
.LBB3_1390:
	s_or_b32 exec_lo, exec_lo, s6
.LBB3_1391:
	s_or_b32 exec_lo, exec_lo, s5
	v_mov_b32_e32 v6, 0
	v_readfirstlane_b32 s6, v7
	v_readfirstlane_b32 s7, v8
	s_mov_b32 s5, exec_lo
	s_clause 0x1
	global_load_dwordx2 v[9:10], v6, s[26:27] offset:40
	global_load_dwordx4 v[0:3], v6, s[26:27]
	s_waitcnt vmcnt(1)
	v_readfirstlane_b32 s10, v9
	v_readfirstlane_b32 s11, v10
	s_and_b64 s[10:11], s[6:7], s[10:11]
	s_mul_i32 s15, s11, 24
	s_mul_hi_u32 s16, s10, 24
	s_mul_i32 s17, s10, 24
	s_add_i32 s16, s16, s15
	s_waitcnt vmcnt(0)
	v_add_co_u32 v8, vcc_lo, v0, s17
	v_add_co_ci_u32_e32 v9, vcc_lo, s16, v1, vcc_lo
	s_and_saveexec_b32 s15, s4
	s_cbranch_execz .LBB3_1393
; %bb.1392:
	v_mov_b32_e32 v10, s5
	v_mov_b32_e32 v11, v6
	;; [unrolled: 1-line block ×4, first 2 shown]
	global_store_dwordx4 v[8:9], v[10:13], off offset:8
.LBB3_1393:
	s_or_b32 exec_lo, exec_lo, s15
	s_lshl_b64 s[10:11], s[10:11], 12
	s_mov_b32 s16, 0
	v_add_co_u32 v2, vcc_lo, v2, s10
	v_add_co_ci_u32_e32 v3, vcc_lo, s11, v3, vcc_lo
	s_mov_b32 s17, s16
	v_add_co_u32 v10, vcc_lo, v2, v48
	s_mov_b32 s18, s16
	s_mov_b32 s19, s16
	v_and_or_b32 v4, 0xffffff1f, v4, 32
	v_mov_b32_e32 v7, v6
	v_readfirstlane_b32 s10, v2
	v_readfirstlane_b32 s11, v3
	v_mov_b32_e32 v12, s16
	v_add_co_ci_u32_e32 v11, vcc_lo, 0, v3, vcc_lo
	v_mov_b32_e32 v13, s17
	v_mov_b32_e32 v14, s18
	;; [unrolled: 1-line block ×3, first 2 shown]
	global_store_dwordx4 v48, v[4:7], s[10:11]
	global_store_dwordx4 v48, v[12:15], s[10:11] offset:16
	global_store_dwordx4 v48, v[12:15], s[10:11] offset:32
	;; [unrolled: 1-line block ×3, first 2 shown]
	s_and_saveexec_b32 s5, s4
	s_cbranch_execz .LBB3_1401
; %bb.1394:
	v_mov_b32_e32 v6, 0
	v_mov_b32_e32 v12, s6
	;; [unrolled: 1-line block ×3, first 2 shown]
	s_clause 0x1
	global_load_dwordx2 v[14:15], v6, s[26:27] offset:32 glc dlc
	global_load_dwordx2 v[2:3], v6, s[26:27] offset:40
	s_waitcnt vmcnt(0)
	v_readfirstlane_b32 s10, v2
	v_readfirstlane_b32 s11, v3
	s_and_b64 s[10:11], s[10:11], s[6:7]
	s_mul_i32 s11, s11, 24
	s_mul_hi_u32 s15, s10, 24
	s_mul_i32 s10, s10, 24
	s_add_i32 s15, s15, s11
	v_add_co_u32 v4, vcc_lo, v0, s10
	v_add_co_ci_u32_e32 v5, vcc_lo, s15, v1, vcc_lo
	s_mov_b32 s10, exec_lo
	global_store_dwordx2 v[4:5], v[14:15], off
	s_waitcnt_vscnt null, 0x0
	global_atomic_cmpswap_x2 v[2:3], v6, v[12:15], s[26:27] offset:32 glc
	s_waitcnt vmcnt(0)
	v_cmpx_ne_u64_e64 v[2:3], v[14:15]
	s_cbranch_execz .LBB3_1397
; %bb.1395:
	s_mov_b32 s11, 0
.LBB3_1396:                             ; =>This Inner Loop Header: Depth=1
	v_mov_b32_e32 v0, s6
	v_mov_b32_e32 v1, s7
	s_sleep 1
	global_store_dwordx2 v[4:5], v[2:3], off
	s_waitcnt_vscnt null, 0x0
	global_atomic_cmpswap_x2 v[0:1], v6, v[0:3], s[26:27] offset:32 glc
	s_waitcnt vmcnt(0)
	v_cmp_eq_u64_e32 vcc_lo, v[0:1], v[2:3]
	v_mov_b32_e32 v3, v1
	v_mov_b32_e32 v2, v0
	s_or_b32 s11, vcc_lo, s11
	s_andn2_b32 exec_lo, exec_lo, s11
	s_cbranch_execnz .LBB3_1396
.LBB3_1397:
	s_or_b32 exec_lo, exec_lo, s10
	v_mov_b32_e32 v3, 0
	s_mov_b32 s11, exec_lo
	s_mov_b32 s10, exec_lo
	v_mbcnt_lo_u32_b32 v2, s11, 0
	global_load_dwordx2 v[0:1], v3, s[26:27] offset:16
	v_cmpx_eq_u32_e32 0, v2
	s_cbranch_execz .LBB3_1399
; %bb.1398:
	s_bcnt1_i32_b32 s11, s11
	v_mov_b32_e32 v2, s11
	s_waitcnt vmcnt(0)
	global_atomic_add_x2 v[0:1], v[2:3], off offset:8
.LBB3_1399:
	s_or_b32 exec_lo, exec_lo, s10
	s_waitcnt vmcnt(0)
	global_load_dwordx2 v[2:3], v[0:1], off offset:16
	s_waitcnt vmcnt(0)
	v_cmp_eq_u64_e32 vcc_lo, 0, v[2:3]
	s_cbranch_vccnz .LBB3_1401
; %bb.1400:
	global_load_dword v0, v[0:1], off offset:24
	v_mov_b32_e32 v1, 0
	s_waitcnt vmcnt(0)
	v_and_b32_e32 v4, 0x7fffff, v0
	s_waitcnt_vscnt null, 0x0
	global_store_dwordx2 v[2:3], v[0:1], off
	v_readfirstlane_b32 m0, v4
	s_sendmsg sendmsg(MSG_INTERRUPT)
.LBB3_1401:
	s_or_b32 exec_lo, exec_lo, s5
	s_branch .LBB3_1405
	.p2align	6
.LBB3_1402:                             ;   in Loop: Header=BB3_1405 Depth=1
	s_or_b32 exec_lo, exec_lo, s5
	v_readfirstlane_b32 s5, v0
	s_cmp_eq_u32 s5, 0
	s_cbranch_scc1 .LBB3_1404
; %bb.1403:                             ;   in Loop: Header=BB3_1405 Depth=1
	s_sleep 1
	s_cbranch_execnz .LBB3_1405
	s_branch .LBB3_1407
	.p2align	6
.LBB3_1404:
	s_branch .LBB3_1407
.LBB3_1405:                             ; =>This Inner Loop Header: Depth=1
	v_mov_b32_e32 v0, 1
	s_and_saveexec_b32 s5, s4
	s_cbranch_execz .LBB3_1402
; %bb.1406:                             ;   in Loop: Header=BB3_1405 Depth=1
	global_load_dword v0, v[8:9], off offset:20 glc dlc
	s_waitcnt vmcnt(0)
	buffer_gl1_inv
	buffer_gl0_inv
	v_and_b32_e32 v0, 1, v0
	s_branch .LBB3_1402
.LBB3_1407:
	global_load_dwordx2 v[0:1], v[10:11], off
	s_and_saveexec_b32 s5, s4
	s_cbranch_execz .LBB3_1411
; %bb.1408:
	v_mov_b32_e32 v8, 0
	s_clause 0x2
	global_load_dwordx2 v[4:5], v8, s[26:27] offset:40
	global_load_dwordx2 v[9:10], v8, s[26:27] offset:24 glc dlc
	global_load_dwordx2 v[6:7], v8, s[26:27]
	s_waitcnt vmcnt(2)
	v_add_co_u32 v11, vcc_lo, v4, 1
	v_add_co_ci_u32_e32 v12, vcc_lo, 0, v5, vcc_lo
	v_add_co_u32 v2, vcc_lo, v11, s6
	v_add_co_ci_u32_e32 v3, vcc_lo, s7, v12, vcc_lo
	v_cmp_eq_u64_e32 vcc_lo, 0, v[2:3]
	v_cndmask_b32_e32 v3, v3, v12, vcc_lo
	v_cndmask_b32_e32 v2, v2, v11, vcc_lo
	v_and_b32_e32 v5, v3, v5
	v_and_b32_e32 v4, v2, v4
	v_mul_lo_u32 v5, v5, 24
	v_mul_hi_u32 v11, v4, 24
	v_mul_lo_u32 v4, v4, 24
	v_add_nc_u32_e32 v5, v11, v5
	s_waitcnt vmcnt(0)
	v_add_co_u32 v6, vcc_lo, v6, v4
	v_mov_b32_e32 v4, v9
	v_add_co_ci_u32_e32 v7, vcc_lo, v7, v5, vcc_lo
	v_mov_b32_e32 v5, v10
	global_store_dwordx2 v[6:7], v[9:10], off
	s_waitcnt_vscnt null, 0x0
	global_atomic_cmpswap_x2 v[4:5], v8, v[2:5], s[26:27] offset:24 glc
	s_waitcnt vmcnt(0)
	v_cmp_ne_u64_e32 vcc_lo, v[4:5], v[9:10]
	s_and_b32 exec_lo, exec_lo, vcc_lo
	s_cbranch_execz .LBB3_1411
; %bb.1409:
	s_mov_b32 s4, 0
.LBB3_1410:                             ; =>This Inner Loop Header: Depth=1
	s_sleep 1
	global_store_dwordx2 v[6:7], v[4:5], off
	s_waitcnt_vscnt null, 0x0
	global_atomic_cmpswap_x2 v[9:10], v8, v[2:5], s[26:27] offset:24 glc
	s_waitcnt vmcnt(0)
	v_cmp_eq_u64_e32 vcc_lo, v[9:10], v[4:5]
	v_mov_b32_e32 v4, v9
	v_mov_b32_e32 v5, v10
	s_or_b32 s4, vcc_lo, s4
	s_andn2_b32 exec_lo, exec_lo, s4
	s_cbranch_execnz .LBB3_1410
.LBB3_1411:
	s_or_b32 exec_lo, exec_lo, s5
.LBB3_1412:
	s_getpc_b64 s[6:7]
	s_add_u32 s6, s6, .str.2@rel32@lo+4
	s_addc_u32 s7, s7, .str.2@rel32@hi+12
	s_cmp_lg_u64 s[6:7], 0
	s_cbranch_scc0 .LBB3_1491
; %bb.1413:
	s_waitcnt vmcnt(0)
	v_and_b32_e32 v6, -3, v0
	v_mov_b32_e32 v7, v1
	v_mov_b32_e32 v3, 0
	;; [unrolled: 1-line block ×4, first 2 shown]
	s_mov_b64 s[10:11], 13
	s_branch .LBB3_1415
.LBB3_1414:                             ;   in Loop: Header=BB3_1415 Depth=1
	s_or_b32 exec_lo, exec_lo, s5
	s_sub_u32 s10, s10, s16
	s_subb_u32 s11, s11, s17
	s_add_u32 s6, s6, s16
	s_addc_u32 s7, s7, s17
	s_cmp_lg_u64 s[10:11], 0
	s_cbranch_scc0 .LBB3_1490
.LBB3_1415:                             ; =>This Loop Header: Depth=1
                                        ;     Child Loop BB3_1424 Depth 2
                                        ;     Child Loop BB3_1420 Depth 2
	;; [unrolled: 1-line block ×11, first 2 shown]
	v_cmp_lt_u64_e64 s4, s[10:11], 56
	v_cmp_gt_u64_e64 s5, s[10:11], 7
                                        ; implicit-def: $sgpr15
	s_and_b32 s4, s4, exec_lo
	s_cselect_b32 s17, s11, 0
	s_cselect_b32 s16, s10, 56
	s_and_b32 vcc_lo, exec_lo, s5
	s_mov_b32 s4, -1
	s_cbranch_vccz .LBB3_1422
; %bb.1416:                             ;   in Loop: Header=BB3_1415 Depth=1
	s_andn2_b32 vcc_lo, exec_lo, s4
	s_mov_b64 s[4:5], s[6:7]
	s_cbranch_vccz .LBB3_1426
.LBB3_1417:                             ;   in Loop: Header=BB3_1415 Depth=1
	s_cmp_gt_u32 s15, 7
	s_cbranch_scc1 .LBB3_1427
.LBB3_1418:                             ;   in Loop: Header=BB3_1415 Depth=1
	v_mov_b32_e32 v10, 0
	v_mov_b32_e32 v11, 0
	s_cmp_eq_u32 s15, 0
	s_cbranch_scc1 .LBB3_1421
; %bb.1419:                             ;   in Loop: Header=BB3_1415 Depth=1
	s_mov_b64 s[18:19], 0
	s_mov_b64 s[20:21], 0
.LBB3_1420:                             ;   Parent Loop BB3_1415 Depth=1
                                        ; =>  This Inner Loop Header: Depth=2
	s_add_u32 s22, s4, s20
	s_addc_u32 s23, s5, s21
	s_add_u32 s20, s20, 1
	global_load_ubyte v2, v3, s[22:23]
	s_addc_u32 s21, s21, 0
	s_waitcnt vmcnt(0)
	v_and_b32_e32 v2, 0xffff, v2
	v_lshlrev_b64 v[12:13], s18, v[2:3]
	s_add_u32 s18, s18, 8
	s_addc_u32 s19, s19, 0
	s_cmp_lg_u32 s15, s20
	v_or_b32_e32 v10, v12, v10
	v_or_b32_e32 v11, v13, v11
	s_cbranch_scc1 .LBB3_1420
.LBB3_1421:                             ;   in Loop: Header=BB3_1415 Depth=1
	s_mov_b32 s22, 0
	s_cbranch_execz .LBB3_1428
	s_branch .LBB3_1429
.LBB3_1422:                             ;   in Loop: Header=BB3_1415 Depth=1
	s_waitcnt vmcnt(0)
	v_mov_b32_e32 v8, 0
	v_mov_b32_e32 v9, 0
	s_cmp_eq_u64 s[10:11], 0
	s_mov_b64 s[4:5], 0
	s_cbranch_scc1 .LBB3_1425
; %bb.1423:                             ;   in Loop: Header=BB3_1415 Depth=1
	v_mov_b32_e32 v8, 0
	v_mov_b32_e32 v9, 0
	s_lshl_b64 s[18:19], s[16:17], 3
	s_mov_b64 s[20:21], s[6:7]
.LBB3_1424:                             ;   Parent Loop BB3_1415 Depth=1
                                        ; =>  This Inner Loop Header: Depth=2
	global_load_ubyte v2, v3, s[20:21]
	s_waitcnt vmcnt(0)
	v_and_b32_e32 v2, 0xffff, v2
	v_lshlrev_b64 v[10:11], s4, v[2:3]
	s_add_u32 s4, s4, 8
	s_addc_u32 s5, s5, 0
	s_add_u32 s20, s20, 1
	s_addc_u32 s21, s21, 0
	s_cmp_lg_u32 s18, s4
	v_or_b32_e32 v8, v10, v8
	v_or_b32_e32 v9, v11, v9
	s_cbranch_scc1 .LBB3_1424
.LBB3_1425:                             ;   in Loop: Header=BB3_1415 Depth=1
	s_mov_b32 s15, 0
	s_mov_b64 s[4:5], s[6:7]
	s_cbranch_execnz .LBB3_1417
.LBB3_1426:                             ;   in Loop: Header=BB3_1415 Depth=1
	global_load_dwordx2 v[8:9], v3, s[6:7]
	s_add_i32 s15, s16, -8
	s_add_u32 s4, s6, 8
	s_addc_u32 s5, s7, 0
	s_cmp_gt_u32 s15, 7
	s_cbranch_scc0 .LBB3_1418
.LBB3_1427:                             ;   in Loop: Header=BB3_1415 Depth=1
                                        ; implicit-def: $vgpr10_vgpr11
                                        ; implicit-def: $sgpr22
.LBB3_1428:                             ;   in Loop: Header=BB3_1415 Depth=1
	global_load_dwordx2 v[10:11], v3, s[4:5]
	s_add_i32 s22, s15, -8
	s_add_u32 s4, s4, 8
	s_addc_u32 s5, s5, 0
.LBB3_1429:                             ;   in Loop: Header=BB3_1415 Depth=1
	s_cmp_gt_u32 s22, 7
	s_cbranch_scc1 .LBB3_1434
; %bb.1430:                             ;   in Loop: Header=BB3_1415 Depth=1
	v_mov_b32_e32 v12, 0
	v_mov_b32_e32 v13, 0
	s_cmp_eq_u32 s22, 0
	s_cbranch_scc1 .LBB3_1433
; %bb.1431:                             ;   in Loop: Header=BB3_1415 Depth=1
	s_mov_b64 s[18:19], 0
	s_mov_b64 s[20:21], 0
.LBB3_1432:                             ;   Parent Loop BB3_1415 Depth=1
                                        ; =>  This Inner Loop Header: Depth=2
	s_add_u32 s24, s4, s20
	s_addc_u32 s25, s5, s21
	s_add_u32 s20, s20, 1
	global_load_ubyte v2, v3, s[24:25]
	s_addc_u32 s21, s21, 0
	s_waitcnt vmcnt(0)
	v_and_b32_e32 v2, 0xffff, v2
	v_lshlrev_b64 v[14:15], s18, v[2:3]
	s_add_u32 s18, s18, 8
	s_addc_u32 s19, s19, 0
	s_cmp_lg_u32 s22, s20
	v_or_b32_e32 v12, v14, v12
	v_or_b32_e32 v13, v15, v13
	s_cbranch_scc1 .LBB3_1432
.LBB3_1433:                             ;   in Loop: Header=BB3_1415 Depth=1
	s_mov_b32 s15, 0
	s_cbranch_execz .LBB3_1435
	s_branch .LBB3_1436
.LBB3_1434:                             ;   in Loop: Header=BB3_1415 Depth=1
                                        ; implicit-def: $sgpr15
.LBB3_1435:                             ;   in Loop: Header=BB3_1415 Depth=1
	global_load_dwordx2 v[12:13], v3, s[4:5]
	s_add_i32 s15, s22, -8
	s_add_u32 s4, s4, 8
	s_addc_u32 s5, s5, 0
.LBB3_1436:                             ;   in Loop: Header=BB3_1415 Depth=1
	s_cmp_gt_u32 s15, 7
	s_cbranch_scc1 .LBB3_1441
; %bb.1437:                             ;   in Loop: Header=BB3_1415 Depth=1
	v_mov_b32_e32 v14, 0
	v_mov_b32_e32 v15, 0
	s_cmp_eq_u32 s15, 0
	s_cbranch_scc1 .LBB3_1440
; %bb.1438:                             ;   in Loop: Header=BB3_1415 Depth=1
	s_mov_b64 s[18:19], 0
	s_mov_b64 s[20:21], 0
.LBB3_1439:                             ;   Parent Loop BB3_1415 Depth=1
                                        ; =>  This Inner Loop Header: Depth=2
	s_add_u32 s22, s4, s20
	s_addc_u32 s23, s5, s21
	s_add_u32 s20, s20, 1
	global_load_ubyte v2, v3, s[22:23]
	s_addc_u32 s21, s21, 0
	s_waitcnt vmcnt(0)
	v_and_b32_e32 v2, 0xffff, v2
	v_lshlrev_b64 v[16:17], s18, v[2:3]
	s_add_u32 s18, s18, 8
	s_addc_u32 s19, s19, 0
	s_cmp_lg_u32 s15, s20
	v_or_b32_e32 v14, v16, v14
	v_or_b32_e32 v15, v17, v15
	s_cbranch_scc1 .LBB3_1439
.LBB3_1440:                             ;   in Loop: Header=BB3_1415 Depth=1
	s_mov_b32 s22, 0
	s_cbranch_execz .LBB3_1442
	s_branch .LBB3_1443
.LBB3_1441:                             ;   in Loop: Header=BB3_1415 Depth=1
                                        ; implicit-def: $vgpr14_vgpr15
                                        ; implicit-def: $sgpr22
.LBB3_1442:                             ;   in Loop: Header=BB3_1415 Depth=1
	global_load_dwordx2 v[14:15], v3, s[4:5]
	s_add_i32 s22, s15, -8
	s_add_u32 s4, s4, 8
	s_addc_u32 s5, s5, 0
.LBB3_1443:                             ;   in Loop: Header=BB3_1415 Depth=1
	s_cmp_gt_u32 s22, 7
	s_cbranch_scc1 .LBB3_1448
; %bb.1444:                             ;   in Loop: Header=BB3_1415 Depth=1
	v_mov_b32_e32 v16, 0
	v_mov_b32_e32 v17, 0
	s_cmp_eq_u32 s22, 0
	s_cbranch_scc1 .LBB3_1447
; %bb.1445:                             ;   in Loop: Header=BB3_1415 Depth=1
	s_mov_b64 s[18:19], 0
	s_mov_b64 s[20:21], 0
.LBB3_1446:                             ;   Parent Loop BB3_1415 Depth=1
                                        ; =>  This Inner Loop Header: Depth=2
	s_add_u32 s24, s4, s20
	s_addc_u32 s25, s5, s21
	s_add_u32 s20, s20, 1
	global_load_ubyte v2, v3, s[24:25]
	s_addc_u32 s21, s21, 0
	s_waitcnt vmcnt(0)
	v_and_b32_e32 v2, 0xffff, v2
	v_lshlrev_b64 v[18:19], s18, v[2:3]
	s_add_u32 s18, s18, 8
	s_addc_u32 s19, s19, 0
	s_cmp_lg_u32 s22, s20
	v_or_b32_e32 v16, v18, v16
	v_or_b32_e32 v17, v19, v17
	s_cbranch_scc1 .LBB3_1446
.LBB3_1447:                             ;   in Loop: Header=BB3_1415 Depth=1
	s_mov_b32 s15, 0
	s_cbranch_execz .LBB3_1449
	s_branch .LBB3_1450
.LBB3_1448:                             ;   in Loop: Header=BB3_1415 Depth=1
                                        ; implicit-def: $sgpr15
.LBB3_1449:                             ;   in Loop: Header=BB3_1415 Depth=1
	global_load_dwordx2 v[16:17], v3, s[4:5]
	s_add_i32 s15, s22, -8
	s_add_u32 s4, s4, 8
	s_addc_u32 s5, s5, 0
.LBB3_1450:                             ;   in Loop: Header=BB3_1415 Depth=1
	s_cmp_gt_u32 s15, 7
	s_cbranch_scc1 .LBB3_1455
; %bb.1451:                             ;   in Loop: Header=BB3_1415 Depth=1
	v_mov_b32_e32 v18, 0
	v_mov_b32_e32 v19, 0
	s_cmp_eq_u32 s15, 0
	s_cbranch_scc1 .LBB3_1454
; %bb.1452:                             ;   in Loop: Header=BB3_1415 Depth=1
	s_mov_b64 s[18:19], 0
	s_mov_b64 s[20:21], 0
.LBB3_1453:                             ;   Parent Loop BB3_1415 Depth=1
                                        ; =>  This Inner Loop Header: Depth=2
	s_add_u32 s22, s4, s20
	s_addc_u32 s23, s5, s21
	s_add_u32 s20, s20, 1
	global_load_ubyte v2, v3, s[22:23]
	s_addc_u32 s21, s21, 0
	s_waitcnt vmcnt(0)
	v_and_b32_e32 v2, 0xffff, v2
	v_lshlrev_b64 v[20:21], s18, v[2:3]
	s_add_u32 s18, s18, 8
	s_addc_u32 s19, s19, 0
	s_cmp_lg_u32 s15, s20
	v_or_b32_e32 v18, v20, v18
	v_or_b32_e32 v19, v21, v19
	s_cbranch_scc1 .LBB3_1453
.LBB3_1454:                             ;   in Loop: Header=BB3_1415 Depth=1
	s_mov_b32 s22, 0
	s_cbranch_execz .LBB3_1456
	s_branch .LBB3_1457
.LBB3_1455:                             ;   in Loop: Header=BB3_1415 Depth=1
                                        ; implicit-def: $vgpr18_vgpr19
                                        ; implicit-def: $sgpr22
.LBB3_1456:                             ;   in Loop: Header=BB3_1415 Depth=1
	global_load_dwordx2 v[18:19], v3, s[4:5]
	s_add_i32 s22, s15, -8
	s_add_u32 s4, s4, 8
	s_addc_u32 s5, s5, 0
.LBB3_1457:                             ;   in Loop: Header=BB3_1415 Depth=1
	s_cmp_gt_u32 s22, 7
	s_cbranch_scc1 .LBB3_1462
; %bb.1458:                             ;   in Loop: Header=BB3_1415 Depth=1
	v_mov_b32_e32 v20, 0
	v_mov_b32_e32 v21, 0
	s_cmp_eq_u32 s22, 0
	s_cbranch_scc1 .LBB3_1461
; %bb.1459:                             ;   in Loop: Header=BB3_1415 Depth=1
	s_mov_b64 s[18:19], 0
	s_mov_b64 s[20:21], s[4:5]
.LBB3_1460:                             ;   Parent Loop BB3_1415 Depth=1
                                        ; =>  This Inner Loop Header: Depth=2
	global_load_ubyte v2, v3, s[20:21]
	s_add_i32 s22, s22, -1
	s_waitcnt vmcnt(0)
	v_and_b32_e32 v2, 0xffff, v2
	v_lshlrev_b64 v[22:23], s18, v[2:3]
	s_add_u32 s18, s18, 8
	s_addc_u32 s19, s19, 0
	s_add_u32 s20, s20, 1
	s_addc_u32 s21, s21, 0
	s_cmp_lg_u32 s22, 0
	v_or_b32_e32 v20, v22, v20
	v_or_b32_e32 v21, v23, v21
	s_cbranch_scc1 .LBB3_1460
.LBB3_1461:                             ;   in Loop: Header=BB3_1415 Depth=1
	s_cbranch_execz .LBB3_1463
	s_branch .LBB3_1464
.LBB3_1462:                             ;   in Loop: Header=BB3_1415 Depth=1
.LBB3_1463:                             ;   in Loop: Header=BB3_1415 Depth=1
	global_load_dwordx2 v[20:21], v3, s[4:5]
.LBB3_1464:                             ;   in Loop: Header=BB3_1415 Depth=1
	v_readfirstlane_b32 s4, v49
	v_mov_b32_e32 v26, 0
	v_mov_b32_e32 v27, 0
	v_cmp_eq_u32_e64 s4, s4, v49
	s_and_saveexec_b32 s5, s4
	s_cbranch_execz .LBB3_1470
; %bb.1465:                             ;   in Loop: Header=BB3_1415 Depth=1
	global_load_dwordx2 v[24:25], v3, s[26:27] offset:24 glc dlc
	s_waitcnt vmcnt(0)
	buffer_gl1_inv
	buffer_gl0_inv
	s_clause 0x1
	global_load_dwordx2 v[22:23], v3, s[26:27] offset:40
	global_load_dwordx2 v[26:27], v3, s[26:27]
	s_mov_b32 s15, exec_lo
	s_waitcnt vmcnt(1)
	v_and_b32_e32 v2, v23, v25
	v_and_b32_e32 v22, v22, v24
	v_mul_lo_u32 v2, v2, 24
	v_mul_hi_u32 v23, v22, 24
	v_mul_lo_u32 v22, v22, 24
	v_add_nc_u32_e32 v2, v23, v2
	s_waitcnt vmcnt(0)
	v_add_co_u32 v22, vcc_lo, v26, v22
	v_add_co_ci_u32_e32 v23, vcc_lo, v27, v2, vcc_lo
	global_load_dwordx2 v[22:23], v[22:23], off glc dlc
	s_waitcnt vmcnt(0)
	global_atomic_cmpswap_x2 v[26:27], v3, v[22:25], s[26:27] offset:24 glc
	s_waitcnt vmcnt(0)
	buffer_gl1_inv
	buffer_gl0_inv
	v_cmpx_ne_u64_e64 v[26:27], v[24:25]
	s_cbranch_execz .LBB3_1469
; %bb.1466:                             ;   in Loop: Header=BB3_1415 Depth=1
	s_mov_b32 s18, 0
	.p2align	6
.LBB3_1467:                             ;   Parent Loop BB3_1415 Depth=1
                                        ; =>  This Inner Loop Header: Depth=2
	s_sleep 1
	s_clause 0x1
	global_load_dwordx2 v[22:23], v3, s[26:27] offset:40
	global_load_dwordx2 v[28:29], v3, s[26:27]
	v_mov_b32_e32 v24, v26
	v_mov_b32_e32 v25, v27
	s_waitcnt vmcnt(1)
	v_and_b32_e32 v2, v22, v24
	v_and_b32_e32 v22, v23, v25
	s_waitcnt vmcnt(0)
	v_mad_u64_u32 v[26:27], null, v2, 24, v[28:29]
	v_mov_b32_e32 v2, v27
	v_mad_u64_u32 v[22:23], null, v22, 24, v[2:3]
	v_mov_b32_e32 v27, v22
	global_load_dwordx2 v[22:23], v[26:27], off glc dlc
	s_waitcnt vmcnt(0)
	global_atomic_cmpswap_x2 v[26:27], v3, v[22:25], s[26:27] offset:24 glc
	s_waitcnt vmcnt(0)
	buffer_gl1_inv
	buffer_gl0_inv
	v_cmp_eq_u64_e32 vcc_lo, v[26:27], v[24:25]
	s_or_b32 s18, vcc_lo, s18
	s_andn2_b32 exec_lo, exec_lo, s18
	s_cbranch_execnz .LBB3_1467
; %bb.1468:                             ;   in Loop: Header=BB3_1415 Depth=1
	s_or_b32 exec_lo, exec_lo, s18
.LBB3_1469:                             ;   in Loop: Header=BB3_1415 Depth=1
	s_or_b32 exec_lo, exec_lo, s15
.LBB3_1470:                             ;   in Loop: Header=BB3_1415 Depth=1
	s_or_b32 exec_lo, exec_lo, s5
	s_clause 0x1
	global_load_dwordx2 v[28:29], v3, s[26:27] offset:40
	global_load_dwordx4 v[22:25], v3, s[26:27]
	v_readfirstlane_b32 s18, v26
	v_readfirstlane_b32 s19, v27
	s_mov_b32 s5, exec_lo
	s_waitcnt vmcnt(1)
	v_readfirstlane_b32 s20, v28
	v_readfirstlane_b32 s21, v29
	s_and_b64 s[20:21], s[18:19], s[20:21]
	s_mul_i32 s15, s21, 24
	s_mul_hi_u32 s22, s20, 24
	s_mul_i32 s23, s20, 24
	s_add_i32 s22, s22, s15
	s_waitcnt vmcnt(0)
	v_add_co_u32 v26, vcc_lo, v22, s23
	v_add_co_ci_u32_e32 v27, vcc_lo, s22, v23, vcc_lo
	s_and_saveexec_b32 s15, s4
	s_cbranch_execz .LBB3_1472
; %bb.1471:                             ;   in Loop: Header=BB3_1415 Depth=1
	v_mov_b32_e32 v2, s5
	global_store_dwordx4 v[26:27], v[2:5], off offset:8
.LBB3_1472:                             ;   in Loop: Header=BB3_1415 Depth=1
	s_or_b32 exec_lo, exec_lo, s15
	s_lshl_b64 s[20:21], s[20:21], 12
	v_or_b32_e32 v2, 2, v6
	v_add_co_u32 v24, vcc_lo, v24, s20
	v_add_co_ci_u32_e32 v25, vcc_lo, s21, v25, vcc_lo
	v_cmp_gt_u64_e64 vcc_lo, s[10:11], 56
	s_lshl_b32 s5, s16, 2
	v_readfirstlane_b32 s20, v24
	s_add_i32 s5, s5, 28
	v_readfirstlane_b32 s21, v25
	s_and_b32 s5, s5, 0x1e0
	v_cndmask_b32_e32 v2, v2, v6, vcc_lo
	v_and_or_b32 v6, 0xffffff1f, v2, s5
	global_store_dwordx4 v48, v[10:13], s[20:21] offset:16
	global_store_dwordx4 v48, v[6:9], s[20:21]
	global_store_dwordx4 v48, v[14:17], s[20:21] offset:32
	global_store_dwordx4 v48, v[18:21], s[20:21] offset:48
	s_and_saveexec_b32 s5, s4
	s_cbranch_execz .LBB3_1480
; %bb.1473:                             ;   in Loop: Header=BB3_1415 Depth=1
	s_clause 0x1
	global_load_dwordx2 v[14:15], v3, s[26:27] offset:32 glc dlc
	global_load_dwordx2 v[6:7], v3, s[26:27] offset:40
	v_mov_b32_e32 v12, s18
	v_mov_b32_e32 v13, s19
	s_waitcnt vmcnt(0)
	v_readfirstlane_b32 s20, v6
	v_readfirstlane_b32 s21, v7
	s_and_b64 s[20:21], s[20:21], s[18:19]
	s_mul_i32 s15, s21, 24
	s_mul_hi_u32 s21, s20, 24
	s_mul_i32 s20, s20, 24
	s_add_i32 s21, s21, s15
	v_add_co_u32 v10, vcc_lo, v22, s20
	v_add_co_ci_u32_e32 v11, vcc_lo, s21, v23, vcc_lo
	s_mov_b32 s15, exec_lo
	global_store_dwordx2 v[10:11], v[14:15], off
	s_waitcnt_vscnt null, 0x0
	global_atomic_cmpswap_x2 v[8:9], v3, v[12:15], s[26:27] offset:32 glc
	s_waitcnt vmcnt(0)
	v_cmpx_ne_u64_e64 v[8:9], v[14:15]
	s_cbranch_execz .LBB3_1476
; %bb.1474:                             ;   in Loop: Header=BB3_1415 Depth=1
	s_mov_b32 s20, 0
.LBB3_1475:                             ;   Parent Loop BB3_1415 Depth=1
                                        ; =>  This Inner Loop Header: Depth=2
	v_mov_b32_e32 v6, s18
	v_mov_b32_e32 v7, s19
	s_sleep 1
	global_store_dwordx2 v[10:11], v[8:9], off
	s_waitcnt_vscnt null, 0x0
	global_atomic_cmpswap_x2 v[6:7], v3, v[6:9], s[26:27] offset:32 glc
	s_waitcnt vmcnt(0)
	v_cmp_eq_u64_e32 vcc_lo, v[6:7], v[8:9]
	v_mov_b32_e32 v9, v7
	v_mov_b32_e32 v8, v6
	s_or_b32 s20, vcc_lo, s20
	s_andn2_b32 exec_lo, exec_lo, s20
	s_cbranch_execnz .LBB3_1475
.LBB3_1476:                             ;   in Loop: Header=BB3_1415 Depth=1
	s_or_b32 exec_lo, exec_lo, s15
	global_load_dwordx2 v[6:7], v3, s[26:27] offset:16
	s_mov_b32 s20, exec_lo
	s_mov_b32 s15, exec_lo
	v_mbcnt_lo_u32_b32 v2, s20, 0
	v_cmpx_eq_u32_e32 0, v2
	s_cbranch_execz .LBB3_1478
; %bb.1477:                             ;   in Loop: Header=BB3_1415 Depth=1
	s_bcnt1_i32_b32 s20, s20
	v_mov_b32_e32 v2, s20
	s_waitcnt vmcnt(0)
	global_atomic_add_x2 v[6:7], v[2:3], off offset:8
.LBB3_1478:                             ;   in Loop: Header=BB3_1415 Depth=1
	s_or_b32 exec_lo, exec_lo, s15
	s_waitcnt vmcnt(0)
	global_load_dwordx2 v[8:9], v[6:7], off offset:16
	s_waitcnt vmcnt(0)
	v_cmp_eq_u64_e32 vcc_lo, 0, v[8:9]
	s_cbranch_vccnz .LBB3_1480
; %bb.1479:                             ;   in Loop: Header=BB3_1415 Depth=1
	global_load_dword v2, v[6:7], off offset:24
	s_waitcnt vmcnt(0)
	v_and_b32_e32 v6, 0x7fffff, v2
	s_waitcnt_vscnt null, 0x0
	global_store_dwordx2 v[8:9], v[2:3], off
	v_readfirstlane_b32 m0, v6
	s_sendmsg sendmsg(MSG_INTERRUPT)
.LBB3_1480:                             ;   in Loop: Header=BB3_1415 Depth=1
	s_or_b32 exec_lo, exec_lo, s5
	v_add_co_u32 v6, vcc_lo, v24, v48
	v_add_co_ci_u32_e32 v7, vcc_lo, 0, v25, vcc_lo
	s_branch .LBB3_1484
	.p2align	6
.LBB3_1481:                             ;   in Loop: Header=BB3_1484 Depth=2
	s_or_b32 exec_lo, exec_lo, s5
	v_readfirstlane_b32 s5, v2
	s_cmp_eq_u32 s5, 0
	s_cbranch_scc1 .LBB3_1483
; %bb.1482:                             ;   in Loop: Header=BB3_1484 Depth=2
	s_sleep 1
	s_cbranch_execnz .LBB3_1484
	s_branch .LBB3_1486
	.p2align	6
.LBB3_1483:                             ;   in Loop: Header=BB3_1415 Depth=1
	s_branch .LBB3_1486
.LBB3_1484:                             ;   Parent Loop BB3_1415 Depth=1
                                        ; =>  This Inner Loop Header: Depth=2
	v_mov_b32_e32 v2, 1
	s_and_saveexec_b32 s5, s4
	s_cbranch_execz .LBB3_1481
; %bb.1485:                             ;   in Loop: Header=BB3_1484 Depth=2
	global_load_dword v2, v[26:27], off offset:20 glc dlc
	s_waitcnt vmcnt(0)
	buffer_gl1_inv
	buffer_gl0_inv
	v_and_b32_e32 v2, 1, v2
	s_branch .LBB3_1481
.LBB3_1486:                             ;   in Loop: Header=BB3_1415 Depth=1
	global_load_dwordx4 v[6:9], v[6:7], off
	s_and_saveexec_b32 s5, s4
	s_cbranch_execz .LBB3_1414
; %bb.1487:                             ;   in Loop: Header=BB3_1415 Depth=1
	s_clause 0x2
	global_load_dwordx2 v[10:11], v3, s[26:27] offset:40
	global_load_dwordx2 v[14:15], v3, s[26:27] offset:24 glc dlc
	global_load_dwordx2 v[12:13], v3, s[26:27]
	s_waitcnt vmcnt(2)
	v_add_co_u32 v2, vcc_lo, v10, 1
	v_add_co_ci_u32_e32 v16, vcc_lo, 0, v11, vcc_lo
	v_add_co_u32 v8, vcc_lo, v2, s18
	v_add_co_ci_u32_e32 v9, vcc_lo, s19, v16, vcc_lo
	v_cmp_eq_u64_e32 vcc_lo, 0, v[8:9]
	v_cndmask_b32_e32 v9, v9, v16, vcc_lo
	v_cndmask_b32_e32 v8, v8, v2, vcc_lo
	v_and_b32_e32 v2, v9, v11
	v_and_b32_e32 v10, v8, v10
	v_mul_lo_u32 v2, v2, 24
	v_mul_hi_u32 v11, v10, 24
	v_mul_lo_u32 v10, v10, 24
	v_add_nc_u32_e32 v2, v11, v2
	s_waitcnt vmcnt(0)
	v_add_co_u32 v12, vcc_lo, v12, v10
	v_mov_b32_e32 v10, v14
	v_mov_b32_e32 v11, v15
	v_add_co_ci_u32_e32 v13, vcc_lo, v13, v2, vcc_lo
	global_store_dwordx2 v[12:13], v[14:15], off
	s_waitcnt_vscnt null, 0x0
	global_atomic_cmpswap_x2 v[10:11], v3, v[8:11], s[26:27] offset:24 glc
	s_waitcnt vmcnt(0)
	v_cmp_ne_u64_e32 vcc_lo, v[10:11], v[14:15]
	s_and_b32 exec_lo, exec_lo, vcc_lo
	s_cbranch_execz .LBB3_1414
; %bb.1488:                             ;   in Loop: Header=BB3_1415 Depth=1
	s_mov_b32 s4, 0
.LBB3_1489:                             ;   Parent Loop BB3_1415 Depth=1
                                        ; =>  This Inner Loop Header: Depth=2
	s_sleep 1
	global_store_dwordx2 v[12:13], v[10:11], off
	s_waitcnt_vscnt null, 0x0
	global_atomic_cmpswap_x2 v[14:15], v3, v[8:11], s[26:27] offset:24 glc
	s_waitcnt vmcnt(0)
	v_cmp_eq_u64_e32 vcc_lo, v[14:15], v[10:11]
	v_mov_b32_e32 v10, v14
	v_mov_b32_e32 v11, v15
	s_or_b32 s4, vcc_lo, s4
	s_andn2_b32 exec_lo, exec_lo, s4
	s_cbranch_execnz .LBB3_1489
	s_branch .LBB3_1414
.LBB3_1490:
	s_mov_b32 s4, 0
	s_branch .LBB3_1492
.LBB3_1491:
	s_mov_b32 s4, -1
.LBB3_1492:
	s_mov_b32 s35, s12
	s_mov_b32 s36, s13
	;; [unrolled: 1-line block ×3, first 2 shown]
	s_and_b32 vcc_lo, exec_lo, s4
	s_cbranch_vccz .LBB3_1520
; %bb.1493:
	v_readfirstlane_b32 s4, v49
	s_waitcnt vmcnt(0)
	v_mov_b32_e32 v8, 0
	v_mov_b32_e32 v9, 0
	v_cmp_eq_u32_e64 s4, s4, v49
	s_and_saveexec_b32 s5, s4
	s_cbranch_execz .LBB3_1499
; %bb.1494:
	v_mov_b32_e32 v2, 0
	s_mov_b32 s6, exec_lo
	global_load_dwordx2 v[5:6], v2, s[26:27] offset:24 glc dlc
	s_waitcnt vmcnt(0)
	buffer_gl1_inv
	buffer_gl0_inv
	s_clause 0x1
	global_load_dwordx2 v[3:4], v2, s[26:27] offset:40
	global_load_dwordx2 v[7:8], v2, s[26:27]
	s_waitcnt vmcnt(1)
	v_and_b32_e32 v4, v4, v6
	v_and_b32_e32 v3, v3, v5
	v_mul_lo_u32 v4, v4, 24
	v_mul_hi_u32 v9, v3, 24
	v_mul_lo_u32 v3, v3, 24
	v_add_nc_u32_e32 v4, v9, v4
	s_waitcnt vmcnt(0)
	v_add_co_u32 v3, vcc_lo, v7, v3
	v_add_co_ci_u32_e32 v4, vcc_lo, v8, v4, vcc_lo
	global_load_dwordx2 v[3:4], v[3:4], off glc dlc
	s_waitcnt vmcnt(0)
	global_atomic_cmpswap_x2 v[8:9], v2, v[3:6], s[26:27] offset:24 glc
	s_waitcnt vmcnt(0)
	buffer_gl1_inv
	buffer_gl0_inv
	v_cmpx_ne_u64_e64 v[8:9], v[5:6]
	s_cbranch_execz .LBB3_1498
; %bb.1495:
	s_mov_b32 s7, 0
	.p2align	6
.LBB3_1496:                             ; =>This Inner Loop Header: Depth=1
	s_sleep 1
	s_clause 0x1
	global_load_dwordx2 v[3:4], v2, s[26:27] offset:40
	global_load_dwordx2 v[10:11], v2, s[26:27]
	v_mov_b32_e32 v5, v8
	v_mov_b32_e32 v6, v9
	s_waitcnt vmcnt(1)
	v_and_b32_e32 v3, v3, v5
	v_and_b32_e32 v4, v4, v6
	s_waitcnt vmcnt(0)
	v_mad_u64_u32 v[7:8], null, v3, 24, v[10:11]
	v_mov_b32_e32 v3, v8
	v_mad_u64_u32 v[3:4], null, v4, 24, v[3:4]
	v_mov_b32_e32 v8, v3
	global_load_dwordx2 v[3:4], v[7:8], off glc dlc
	s_waitcnt vmcnt(0)
	global_atomic_cmpswap_x2 v[8:9], v2, v[3:6], s[26:27] offset:24 glc
	s_waitcnt vmcnt(0)
	buffer_gl1_inv
	buffer_gl0_inv
	v_cmp_eq_u64_e32 vcc_lo, v[8:9], v[5:6]
	s_or_b32 s7, vcc_lo, s7
	s_andn2_b32 exec_lo, exec_lo, s7
	s_cbranch_execnz .LBB3_1496
; %bb.1497:
	s_or_b32 exec_lo, exec_lo, s7
.LBB3_1498:
	s_or_b32 exec_lo, exec_lo, s6
.LBB3_1499:
	s_or_b32 exec_lo, exec_lo, s5
	v_mov_b32_e32 v2, 0
	v_readfirstlane_b32 s6, v8
	v_readfirstlane_b32 s7, v9
	s_mov_b32 s5, exec_lo
	s_clause 0x1
	global_load_dwordx2 v[10:11], v2, s[26:27] offset:40
	global_load_dwordx4 v[4:7], v2, s[26:27]
	s_waitcnt vmcnt(1)
	v_readfirstlane_b32 s10, v10
	v_readfirstlane_b32 s11, v11
	s_and_b64 s[10:11], s[6:7], s[10:11]
	s_mul_i32 s12, s11, 24
	s_mul_hi_u32 s13, s10, 24
	s_mul_i32 s14, s10, 24
	s_add_i32 s13, s13, s12
	s_waitcnt vmcnt(0)
	v_add_co_u32 v8, vcc_lo, v4, s14
	v_add_co_ci_u32_e32 v9, vcc_lo, s13, v5, vcc_lo
	s_and_saveexec_b32 s12, s4
	s_cbranch_execz .LBB3_1501
; %bb.1500:
	v_mov_b32_e32 v10, s5
	v_mov_b32_e32 v11, v2
	;; [unrolled: 1-line block ×4, first 2 shown]
	global_store_dwordx4 v[8:9], v[10:13], off offset:8
.LBB3_1501:
	s_or_b32 exec_lo, exec_lo, s12
	s_lshl_b64 s[10:11], s[10:11], 12
	s_mov_b32 s12, 0
	v_add_co_u32 v6, vcc_lo, v6, s10
	v_add_co_ci_u32_e32 v7, vcc_lo, s11, v7, vcc_lo
	s_mov_b32 s13, s12
	s_mov_b32 s14, s12
	s_mov_b32 s15, s12
	v_and_or_b32 v0, 0xffffff1d, v0, 34
	v_mov_b32_e32 v3, v2
	v_readfirstlane_b32 s10, v6
	v_readfirstlane_b32 s11, v7
	v_mov_b32_e32 v10, s12
	v_mov_b32_e32 v11, s13
	;; [unrolled: 1-line block ×4, first 2 shown]
	global_store_dwordx4 v48, v[0:3], s[10:11]
	global_store_dwordx4 v48, v[10:13], s[10:11] offset:16
	global_store_dwordx4 v48, v[10:13], s[10:11] offset:32
	;; [unrolled: 1-line block ×3, first 2 shown]
	s_and_saveexec_b32 s5, s4
	s_cbranch_execz .LBB3_1509
; %bb.1502:
	v_mov_b32_e32 v6, 0
	v_mov_b32_e32 v10, s6
	v_mov_b32_e32 v11, s7
	s_clause 0x1
	global_load_dwordx2 v[12:13], v6, s[26:27] offset:32 glc dlc
	global_load_dwordx2 v[0:1], v6, s[26:27] offset:40
	s_waitcnt vmcnt(0)
	v_readfirstlane_b32 s10, v0
	v_readfirstlane_b32 s11, v1
	s_and_b64 s[10:11], s[10:11], s[6:7]
	s_mul_i32 s11, s11, 24
	s_mul_hi_u32 s12, s10, 24
	s_mul_i32 s10, s10, 24
	s_add_i32 s12, s12, s11
	v_add_co_u32 v4, vcc_lo, v4, s10
	v_add_co_ci_u32_e32 v5, vcc_lo, s12, v5, vcc_lo
	s_mov_b32 s10, exec_lo
	global_store_dwordx2 v[4:5], v[12:13], off
	s_waitcnt_vscnt null, 0x0
	global_atomic_cmpswap_x2 v[2:3], v6, v[10:13], s[26:27] offset:32 glc
	s_waitcnt vmcnt(0)
	v_cmpx_ne_u64_e64 v[2:3], v[12:13]
	s_cbranch_execz .LBB3_1505
; %bb.1503:
	s_mov_b32 s11, 0
.LBB3_1504:                             ; =>This Inner Loop Header: Depth=1
	v_mov_b32_e32 v0, s6
	v_mov_b32_e32 v1, s7
	s_sleep 1
	global_store_dwordx2 v[4:5], v[2:3], off
	s_waitcnt_vscnt null, 0x0
	global_atomic_cmpswap_x2 v[0:1], v6, v[0:3], s[26:27] offset:32 glc
	s_waitcnt vmcnt(0)
	v_cmp_eq_u64_e32 vcc_lo, v[0:1], v[2:3]
	v_mov_b32_e32 v3, v1
	v_mov_b32_e32 v2, v0
	s_or_b32 s11, vcc_lo, s11
	s_andn2_b32 exec_lo, exec_lo, s11
	s_cbranch_execnz .LBB3_1504
.LBB3_1505:
	s_or_b32 exec_lo, exec_lo, s10
	v_mov_b32_e32 v3, 0
	s_mov_b32 s11, exec_lo
	s_mov_b32 s10, exec_lo
	v_mbcnt_lo_u32_b32 v2, s11, 0
	global_load_dwordx2 v[0:1], v3, s[26:27] offset:16
	v_cmpx_eq_u32_e32 0, v2
	s_cbranch_execz .LBB3_1507
; %bb.1506:
	s_bcnt1_i32_b32 s11, s11
	v_mov_b32_e32 v2, s11
	s_waitcnt vmcnt(0)
	global_atomic_add_x2 v[0:1], v[2:3], off offset:8
.LBB3_1507:
	s_or_b32 exec_lo, exec_lo, s10
	s_waitcnt vmcnt(0)
	global_load_dwordx2 v[2:3], v[0:1], off offset:16
	s_waitcnt vmcnt(0)
	v_cmp_eq_u64_e32 vcc_lo, 0, v[2:3]
	s_cbranch_vccnz .LBB3_1509
; %bb.1508:
	global_load_dword v0, v[0:1], off offset:24
	v_mov_b32_e32 v1, 0
	s_waitcnt vmcnt(0)
	v_and_b32_e32 v4, 0x7fffff, v0
	s_waitcnt_vscnt null, 0x0
	global_store_dwordx2 v[2:3], v[0:1], off
	v_readfirstlane_b32 m0, v4
	s_sendmsg sendmsg(MSG_INTERRUPT)
.LBB3_1509:
	s_or_b32 exec_lo, exec_lo, s5
	s_branch .LBB3_1513
	.p2align	6
.LBB3_1510:                             ;   in Loop: Header=BB3_1513 Depth=1
	s_or_b32 exec_lo, exec_lo, s5
	v_readfirstlane_b32 s5, v0
	s_cmp_eq_u32 s5, 0
	s_cbranch_scc1 .LBB3_1512
; %bb.1511:                             ;   in Loop: Header=BB3_1513 Depth=1
	s_sleep 1
	s_cbranch_execnz .LBB3_1513
	s_branch .LBB3_1515
	.p2align	6
.LBB3_1512:
	s_branch .LBB3_1515
.LBB3_1513:                             ; =>This Inner Loop Header: Depth=1
	v_mov_b32_e32 v0, 1
	s_and_saveexec_b32 s5, s4
	s_cbranch_execz .LBB3_1510
; %bb.1514:                             ;   in Loop: Header=BB3_1513 Depth=1
	global_load_dword v0, v[8:9], off offset:20 glc dlc
	s_waitcnt vmcnt(0)
	buffer_gl1_inv
	buffer_gl0_inv
	v_and_b32_e32 v0, 1, v0
	s_branch .LBB3_1510
.LBB3_1515:
	s_and_saveexec_b32 s5, s4
	s_cbranch_execz .LBB3_1519
; %bb.1516:
	v_mov_b32_e32 v6, 0
	s_clause 0x2
	global_load_dwordx2 v[2:3], v6, s[26:27] offset:40
	global_load_dwordx2 v[7:8], v6, s[26:27] offset:24 glc dlc
	global_load_dwordx2 v[4:5], v6, s[26:27]
	s_waitcnt vmcnt(2)
	v_add_co_u32 v9, vcc_lo, v2, 1
	v_add_co_ci_u32_e32 v10, vcc_lo, 0, v3, vcc_lo
	v_add_co_u32 v0, vcc_lo, v9, s6
	v_add_co_ci_u32_e32 v1, vcc_lo, s7, v10, vcc_lo
	v_cmp_eq_u64_e32 vcc_lo, 0, v[0:1]
	v_cndmask_b32_e32 v1, v1, v10, vcc_lo
	v_cndmask_b32_e32 v0, v0, v9, vcc_lo
	v_and_b32_e32 v3, v1, v3
	v_and_b32_e32 v2, v0, v2
	v_mul_lo_u32 v3, v3, 24
	v_mul_hi_u32 v9, v2, 24
	v_mul_lo_u32 v2, v2, 24
	v_add_nc_u32_e32 v3, v9, v3
	s_waitcnt vmcnt(0)
	v_add_co_u32 v4, vcc_lo, v4, v2
	v_mov_b32_e32 v2, v7
	v_add_co_ci_u32_e32 v5, vcc_lo, v5, v3, vcc_lo
	v_mov_b32_e32 v3, v8
	global_store_dwordx2 v[4:5], v[7:8], off
	s_waitcnt_vscnt null, 0x0
	global_atomic_cmpswap_x2 v[2:3], v6, v[0:3], s[26:27] offset:24 glc
	s_waitcnt vmcnt(0)
	v_cmp_ne_u64_e32 vcc_lo, v[2:3], v[7:8]
	s_and_b32 exec_lo, exec_lo, vcc_lo
	s_cbranch_execz .LBB3_1519
; %bb.1517:
	s_mov_b32 s4, 0
.LBB3_1518:                             ; =>This Inner Loop Header: Depth=1
	s_sleep 1
	global_store_dwordx2 v[4:5], v[2:3], off
	s_waitcnt_vscnt null, 0x0
	global_atomic_cmpswap_x2 v[7:8], v6, v[0:3], s[26:27] offset:24 glc
	s_waitcnt vmcnt(0)
	v_cmp_eq_u64_e32 vcc_lo, v[7:8], v[2:3]
	v_mov_b32_e32 v2, v7
	v_mov_b32_e32 v3, v8
	s_or_b32 s4, vcc_lo, s4
	s_andn2_b32 exec_lo, exec_lo, s4
	s_cbranch_execnz .LBB3_1518
.LBB3_1519:
	s_or_b32 exec_lo, exec_lo, s5
.LBB3_1520:
	s_getpc_b64 s[4:5]
	s_add_u32 s4, s4, .str.13@rel32@lo+4
	s_addc_u32 s5, s5, .str.13@rel32@hi+12
	s_waitcnt vmcnt(0)
	v_mov_b32_e32 v0, s4
	v_mov_b32_e32 v1, s5
	s_mov_b64 s[38:39], src_private_base
	s_getpc_b64 s[40:41]
	s_add_u32 s40, s40, _ZNK8migraphx13basic_printerIZNS_4coutEvEUlT_E_ElsEPKc@rel32@lo+4
	s_addc_u32 s41, s41, _ZNK8migraphx13basic_printerIZNS_4coutEvEUlT_E_ElsEPKc@rel32@hi+12
	s_mov_b64 s[24:25], s[8:9]
	s_swappc_b64 s[30:31], s[40:41]
	s_getpc_b64 s[4:5]
	s_add_u32 s4, s4, .str.3@rel32@lo+4
	s_addc_u32 s5, s5, .str.3@rel32@hi+12
	v_mov_b32_e32 v0, s4
	v_mov_b32_e32 v1, s5
	s_mov_b64 s[8:9], s[24:25]
	s_swappc_b64 s[30:31], s[40:41]
	v_mov_b32_e32 v0, v38
	v_mov_b32_e32 v1, s39
	s_mov_b64 s[8:9], s[24:25]
	s_getpc_b64 s[42:43]
	s_add_u32 s42, s42, _ZN8migraphx4test12print_streamIKNS_13basic_printerIZNS_4coutEvEUlT_E_EEPiEEvRS3_RKT0_@rel32@lo+4
	s_addc_u32 s43, s43, _ZN8migraphx4test12print_streamIKNS_13basic_printerIZNS_4coutEvEUlT_E_EEPiEEvRS3_RKT0_@rel32@hi+12
	s_swappc_b64 s[30:31], s[42:43]
	s_getpc_b64 s[22:23]
	s_add_u32 s22, s22, .str.8@rel32@lo+4
	s_addc_u32 s23, s23, .str.8@rel32@hi+12
	v_mov_b32_e32 v0, s22
	v_mov_b32_e32 v1, s23
	s_mov_b64 s[8:9], s[24:25]
	s_swappc_b64 s[30:31], s[40:41]
	s_getpc_b64 s[4:5]
	s_add_u32 s4, s4, .str.10@rel32@lo+4
	s_addc_u32 s5, s5, .str.10@rel32@hi+12
	v_mov_b32_e32 v0, s4
	v_mov_b32_e32 v1, s5
	s_mov_b64 s[8:9], s[24:25]
	s_swappc_b64 s[30:31], s[40:41]
	v_mov_b32_e32 v0, s22
	v_mov_b32_e32 v1, s23
	s_mov_b64 s[8:9], s[24:25]
	s_swappc_b64 s[30:31], s[40:41]
	;; [unrolled: 4-line block ×3, first 2 shown]
	s_getpc_b64 s[4:5]
	s_add_u32 s4, s4, .str.4@rel32@lo+4
	s_addc_u32 s5, s5, .str.4@rel32@hi+12
	v_mov_b32_e32 v0, s4
	v_mov_b32_e32 v1, s5
	s_mov_b64 s[8:9], s[24:25]
	s_mov_b64 s[22:23], s[24:25]
	s_swappc_b64 s[30:31], s[40:41]
	v_readfirstlane_b32 s4, v49
	v_mov_b32_e32 v6, 0
	v_mov_b32_e32 v7, 0
	v_cmp_eq_u32_e64 s4, s4, v49
	s_and_saveexec_b32 s5, s4
	s_mov_b32 s14, s37
	s_mov_b32 s13, s36
	s_mov_b32 s12, s35
	s_cbranch_execz .LBB3_1526
; %bb.1521:
	v_mov_b32_e32 v0, 0
	s_mov_b32 s6, exec_lo
	global_load_dwordx2 v[3:4], v0, s[26:27] offset:24 glc dlc
	s_waitcnt vmcnt(0)
	buffer_gl1_inv
	buffer_gl0_inv
	s_clause 0x1
	global_load_dwordx2 v[1:2], v0, s[26:27] offset:40
	global_load_dwordx2 v[5:6], v0, s[26:27]
	s_waitcnt vmcnt(1)
	v_and_b32_e32 v2, v2, v4
	v_and_b32_e32 v1, v1, v3
	v_mul_lo_u32 v2, v2, 24
	v_mul_hi_u32 v7, v1, 24
	v_mul_lo_u32 v1, v1, 24
	v_add_nc_u32_e32 v2, v7, v2
	s_waitcnt vmcnt(0)
	v_add_co_u32 v1, vcc_lo, v5, v1
	v_add_co_ci_u32_e32 v2, vcc_lo, v6, v2, vcc_lo
	global_load_dwordx2 v[1:2], v[1:2], off glc dlc
	s_waitcnt vmcnt(0)
	global_atomic_cmpswap_x2 v[6:7], v0, v[1:4], s[26:27] offset:24 glc
	s_waitcnt vmcnt(0)
	buffer_gl1_inv
	buffer_gl0_inv
	v_cmpx_ne_u64_e64 v[6:7], v[3:4]
	s_cbranch_execz .LBB3_1525
; %bb.1522:
	s_mov_b32 s7, 0
	.p2align	6
.LBB3_1523:                             ; =>This Inner Loop Header: Depth=1
	s_sleep 1
	s_clause 0x1
	global_load_dwordx2 v[1:2], v0, s[26:27] offset:40
	global_load_dwordx2 v[8:9], v0, s[26:27]
	v_mov_b32_e32 v3, v6
	v_mov_b32_e32 v4, v7
	s_waitcnt vmcnt(1)
	v_and_b32_e32 v1, v1, v3
	v_and_b32_e32 v2, v2, v4
	s_waitcnt vmcnt(0)
	v_mad_u64_u32 v[5:6], null, v1, 24, v[8:9]
	v_mov_b32_e32 v1, v6
	v_mad_u64_u32 v[1:2], null, v2, 24, v[1:2]
	v_mov_b32_e32 v6, v1
	global_load_dwordx2 v[1:2], v[5:6], off glc dlc
	s_waitcnt vmcnt(0)
	global_atomic_cmpswap_x2 v[6:7], v0, v[1:4], s[26:27] offset:24 glc
	s_waitcnt vmcnt(0)
	buffer_gl1_inv
	buffer_gl0_inv
	v_cmp_eq_u64_e32 vcc_lo, v[6:7], v[3:4]
	s_or_b32 s7, vcc_lo, s7
	s_andn2_b32 exec_lo, exec_lo, s7
	s_cbranch_execnz .LBB3_1523
; %bb.1524:
	s_or_b32 exec_lo, exec_lo, s7
.LBB3_1525:
	s_or_b32 exec_lo, exec_lo, s6
.LBB3_1526:
	s_or_b32 exec_lo, exec_lo, s5
	v_mov_b32_e32 v5, 0
	v_readfirstlane_b32 s6, v6
	v_readfirstlane_b32 s7, v7
	s_mov_b32 s5, exec_lo
	s_clause 0x1
	global_load_dwordx2 v[8:9], v5, s[26:27] offset:40
	global_load_dwordx4 v[0:3], v5, s[26:27]
	s_waitcnt vmcnt(1)
	v_readfirstlane_b32 s8, v8
	v_readfirstlane_b32 s9, v9
	s_and_b64 s[8:9], s[6:7], s[8:9]
	s_mul_i32 s10, s9, 24
	s_mul_hi_u32 s11, s8, 24
	s_mul_i32 s15, s8, 24
	s_add_i32 s11, s11, s10
	s_waitcnt vmcnt(0)
	v_add_co_u32 v8, vcc_lo, v0, s15
	v_add_co_ci_u32_e32 v9, vcc_lo, s11, v1, vcc_lo
	s_and_saveexec_b32 s10, s4
	s_cbranch_execz .LBB3_1528
; %bb.1527:
	v_mov_b32_e32 v4, s5
	v_mov_b32_e32 v6, 2
	v_mov_b32_e32 v7, 1
	global_store_dwordx4 v[8:9], v[4:7], off offset:8
.LBB3_1528:
	s_or_b32 exec_lo, exec_lo, s10
	s_lshl_b64 s[8:9], s[8:9], 12
	v_mov_b32_e32 v4, 33
	v_add_co_u32 v2, vcc_lo, v2, s8
	v_add_co_ci_u32_e32 v3, vcc_lo, s9, v3, vcc_lo
	s_mov_b32 s8, 0
	v_add_co_u32 v10, vcc_lo, v2, v48
	s_mov_b32 s11, s8
	s_mov_b32 s9, s8
	;; [unrolled: 1-line block ×3, first 2 shown]
	v_mov_b32_e32 v6, v5
	v_mov_b32_e32 v7, v5
	v_readfirstlane_b32 s16, v2
	v_readfirstlane_b32 s17, v3
	v_mov_b32_e32 v15, s11
	v_add_co_ci_u32_e32 v11, vcc_lo, 0, v3, vcc_lo
	v_mov_b32_e32 v14, s10
	v_mov_b32_e32 v13, s9
	;; [unrolled: 1-line block ×3, first 2 shown]
	global_store_dwordx4 v48, v[4:7], s[16:17]
	global_store_dwordx4 v48, v[12:15], s[16:17] offset:16
	global_store_dwordx4 v48, v[12:15], s[16:17] offset:32
	;; [unrolled: 1-line block ×3, first 2 shown]
	s_and_saveexec_b32 s5, s4
	s_mov_b64 s[8:9], s[22:23]
	s_cbranch_execz .LBB3_1536
; %bb.1529:
	v_mov_b32_e32 v6, 0
	v_mov_b32_e32 v12, s6
	;; [unrolled: 1-line block ×3, first 2 shown]
	s_clause 0x1
	global_load_dwordx2 v[14:15], v6, s[26:27] offset:32 glc dlc
	global_load_dwordx2 v[2:3], v6, s[26:27] offset:40
	s_waitcnt vmcnt(0)
	v_readfirstlane_b32 s10, v2
	v_readfirstlane_b32 s11, v3
	s_and_b64 s[10:11], s[10:11], s[6:7]
	s_mul_i32 s11, s11, 24
	s_mul_hi_u32 s15, s10, 24
	s_mul_i32 s10, s10, 24
	s_add_i32 s15, s15, s11
	v_add_co_u32 v4, vcc_lo, v0, s10
	v_add_co_ci_u32_e32 v5, vcc_lo, s15, v1, vcc_lo
	s_mov_b32 s10, exec_lo
	global_store_dwordx2 v[4:5], v[14:15], off
	s_waitcnt_vscnt null, 0x0
	global_atomic_cmpswap_x2 v[2:3], v6, v[12:15], s[26:27] offset:32 glc
	s_waitcnt vmcnt(0)
	v_cmpx_ne_u64_e64 v[2:3], v[14:15]
	s_cbranch_execz .LBB3_1532
; %bb.1530:
	s_mov_b32 s11, 0
.LBB3_1531:                             ; =>This Inner Loop Header: Depth=1
	v_mov_b32_e32 v0, s6
	v_mov_b32_e32 v1, s7
	s_sleep 1
	global_store_dwordx2 v[4:5], v[2:3], off
	s_waitcnt_vscnt null, 0x0
	global_atomic_cmpswap_x2 v[0:1], v6, v[0:3], s[26:27] offset:32 glc
	s_waitcnt vmcnt(0)
	v_cmp_eq_u64_e32 vcc_lo, v[0:1], v[2:3]
	v_mov_b32_e32 v3, v1
	v_mov_b32_e32 v2, v0
	s_or_b32 s11, vcc_lo, s11
	s_andn2_b32 exec_lo, exec_lo, s11
	s_cbranch_execnz .LBB3_1531
.LBB3_1532:
	s_or_b32 exec_lo, exec_lo, s10
	v_mov_b32_e32 v3, 0
	s_mov_b32 s11, exec_lo
	s_mov_b32 s10, exec_lo
	v_mbcnt_lo_u32_b32 v2, s11, 0
	global_load_dwordx2 v[0:1], v3, s[26:27] offset:16
	v_cmpx_eq_u32_e32 0, v2
	s_cbranch_execz .LBB3_1534
; %bb.1533:
	s_bcnt1_i32_b32 s11, s11
	v_mov_b32_e32 v2, s11
	s_waitcnt vmcnt(0)
	global_atomic_add_x2 v[0:1], v[2:3], off offset:8
.LBB3_1534:
	s_or_b32 exec_lo, exec_lo, s10
	s_waitcnt vmcnt(0)
	global_load_dwordx2 v[2:3], v[0:1], off offset:16
	s_waitcnt vmcnt(0)
	v_cmp_eq_u64_e32 vcc_lo, 0, v[2:3]
	s_cbranch_vccnz .LBB3_1536
; %bb.1535:
	global_load_dword v0, v[0:1], off offset:24
	v_mov_b32_e32 v1, 0
	s_waitcnt vmcnt(0)
	v_and_b32_e32 v4, 0x7fffff, v0
	s_waitcnt_vscnt null, 0x0
	global_store_dwordx2 v[2:3], v[0:1], off
	v_readfirstlane_b32 m0, v4
	s_sendmsg sendmsg(MSG_INTERRUPT)
.LBB3_1536:
	s_or_b32 exec_lo, exec_lo, s5
	s_branch .LBB3_1540
	.p2align	6
.LBB3_1537:                             ;   in Loop: Header=BB3_1540 Depth=1
	s_or_b32 exec_lo, exec_lo, s5
	v_readfirstlane_b32 s5, v0
	s_cmp_eq_u32 s5, 0
	s_cbranch_scc1 .LBB3_1539
; %bb.1538:                             ;   in Loop: Header=BB3_1540 Depth=1
	s_sleep 1
	s_cbranch_execnz .LBB3_1540
	s_branch .LBB3_1542
	.p2align	6
.LBB3_1539:
	s_branch .LBB3_1542
.LBB3_1540:                             ; =>This Inner Loop Header: Depth=1
	v_mov_b32_e32 v0, 1
	s_and_saveexec_b32 s5, s4
	s_cbranch_execz .LBB3_1537
; %bb.1541:                             ;   in Loop: Header=BB3_1540 Depth=1
	global_load_dword v0, v[8:9], off offset:20 glc dlc
	s_waitcnt vmcnt(0)
	buffer_gl1_inv
	buffer_gl0_inv
	v_and_b32_e32 v0, 1, v0
	s_branch .LBB3_1537
.LBB3_1542:
	global_load_dwordx2 v[0:1], v[10:11], off
	s_and_saveexec_b32 s5, s4
	s_cbranch_execz .LBB3_1546
; %bb.1543:
	v_mov_b32_e32 v8, 0
	s_clause 0x2
	global_load_dwordx2 v[4:5], v8, s[26:27] offset:40
	global_load_dwordx2 v[9:10], v8, s[26:27] offset:24 glc dlc
	global_load_dwordx2 v[6:7], v8, s[26:27]
	s_waitcnt vmcnt(2)
	v_add_co_u32 v11, vcc_lo, v4, 1
	v_add_co_ci_u32_e32 v12, vcc_lo, 0, v5, vcc_lo
	v_add_co_u32 v2, vcc_lo, v11, s6
	v_add_co_ci_u32_e32 v3, vcc_lo, s7, v12, vcc_lo
	v_cmp_eq_u64_e32 vcc_lo, 0, v[2:3]
	v_cndmask_b32_e32 v3, v3, v12, vcc_lo
	v_cndmask_b32_e32 v2, v2, v11, vcc_lo
	v_and_b32_e32 v5, v3, v5
	v_and_b32_e32 v4, v2, v4
	v_mul_lo_u32 v5, v5, 24
	v_mul_hi_u32 v11, v4, 24
	v_mul_lo_u32 v4, v4, 24
	v_add_nc_u32_e32 v5, v11, v5
	s_waitcnt vmcnt(0)
	v_add_co_u32 v6, vcc_lo, v6, v4
	v_mov_b32_e32 v4, v9
	v_add_co_ci_u32_e32 v7, vcc_lo, v7, v5, vcc_lo
	v_mov_b32_e32 v5, v10
	global_store_dwordx2 v[6:7], v[9:10], off
	s_waitcnt_vscnt null, 0x0
	global_atomic_cmpswap_x2 v[4:5], v8, v[2:5], s[26:27] offset:24 glc
	s_waitcnt vmcnt(0)
	v_cmp_ne_u64_e32 vcc_lo, v[4:5], v[9:10]
	s_and_b32 exec_lo, exec_lo, vcc_lo
	s_cbranch_execz .LBB3_1546
; %bb.1544:
	s_mov_b32 s4, 0
.LBB3_1545:                             ; =>This Inner Loop Header: Depth=1
	s_sleep 1
	global_store_dwordx2 v[6:7], v[4:5], off
	s_waitcnt_vscnt null, 0x0
	global_atomic_cmpswap_x2 v[9:10], v8, v[2:5], s[26:27] offset:24 glc
	s_waitcnt vmcnt(0)
	v_cmp_eq_u64_e32 vcc_lo, v[9:10], v[4:5]
	v_mov_b32_e32 v4, v9
	v_mov_b32_e32 v5, v10
	s_or_b32 s4, vcc_lo, s4
	s_andn2_b32 exec_lo, exec_lo, s4
	s_cbranch_execnz .LBB3_1545
.LBB3_1546:
	s_or_b32 exec_lo, exec_lo, s5
	s_and_b32 vcc_lo, exec_lo, s34
	s_cbranch_vccz .LBB3_1625
; %bb.1547:
	s_waitcnt vmcnt(0)
	v_and_b32_e32 v31, 2, v0
	v_mov_b32_e32 v6, 0
	v_and_b32_e32 v2, -3, v0
	v_mov_b32_e32 v3, v1
	v_mov_b32_e32 v7, 2
	;; [unrolled: 1-line block ×3, first 2 shown]
	s_mov_b64 s[10:11], 3
	s_getpc_b64 s[6:7]
	s_add_u32 s6, s6, .str.6@rel32@lo+4
	s_addc_u32 s7, s7, .str.6@rel32@hi+12
	s_branch .LBB3_1549
.LBB3_1548:                             ;   in Loop: Header=BB3_1549 Depth=1
	s_or_b32 exec_lo, exec_lo, s5
	s_sub_u32 s10, s10, s16
	s_subb_u32 s11, s11, s17
	s_add_u32 s6, s6, s16
	s_addc_u32 s7, s7, s17
	s_cmp_lg_u64 s[10:11], 0
	s_cbranch_scc0 .LBB3_1624
.LBB3_1549:                             ; =>This Loop Header: Depth=1
                                        ;     Child Loop BB3_1558 Depth 2
                                        ;     Child Loop BB3_1554 Depth 2
	;; [unrolled: 1-line block ×11, first 2 shown]
	v_cmp_lt_u64_e64 s4, s[10:11], 56
	v_cmp_gt_u64_e64 s5, s[10:11], 7
                                        ; implicit-def: $vgpr11_vgpr12
                                        ; implicit-def: $sgpr15
	s_and_b32 s4, s4, exec_lo
	s_cselect_b32 s17, s11, 0
	s_cselect_b32 s16, s10, 56
	s_and_b32 vcc_lo, exec_lo, s5
	s_mov_b32 s4, -1
	s_cbranch_vccz .LBB3_1556
; %bb.1550:                             ;   in Loop: Header=BB3_1549 Depth=1
	s_andn2_b32 vcc_lo, exec_lo, s4
	s_mov_b64 s[4:5], s[6:7]
	s_cbranch_vccz .LBB3_1560
.LBB3_1551:                             ;   in Loop: Header=BB3_1549 Depth=1
	s_cmp_gt_u32 s15, 7
	s_cbranch_scc1 .LBB3_1561
.LBB3_1552:                             ;   in Loop: Header=BB3_1549 Depth=1
	v_mov_b32_e32 v13, 0
	v_mov_b32_e32 v14, 0
	s_cmp_eq_u32 s15, 0
	s_cbranch_scc1 .LBB3_1555
; %bb.1553:                             ;   in Loop: Header=BB3_1549 Depth=1
	s_mov_b64 s[18:19], 0
	s_mov_b64 s[20:21], 0
.LBB3_1554:                             ;   Parent Loop BB3_1549 Depth=1
                                        ; =>  This Inner Loop Header: Depth=2
	s_add_u32 s22, s4, s20
	s_addc_u32 s23, s5, s21
	s_add_u32 s20, s20, 1
	global_load_ubyte v4, v6, s[22:23]
	s_addc_u32 s21, s21, 0
	s_waitcnt vmcnt(0)
	v_and_b32_e32 v5, 0xffff, v4
	v_lshlrev_b64 v[4:5], s18, v[5:6]
	s_add_u32 s18, s18, 8
	s_addc_u32 s19, s19, 0
	s_cmp_lg_u32 s15, s20
	v_or_b32_e32 v13, v4, v13
	v_or_b32_e32 v14, v5, v14
	s_cbranch_scc1 .LBB3_1554
.LBB3_1555:                             ;   in Loop: Header=BB3_1549 Depth=1
	s_mov_b32 s22, 0
	s_cbranch_execz .LBB3_1562
	s_branch .LBB3_1563
.LBB3_1556:                             ;   in Loop: Header=BB3_1549 Depth=1
	v_mov_b32_e32 v11, 0
	v_mov_b32_e32 v12, 0
	s_cmp_eq_u64 s[10:11], 0
	s_mov_b64 s[4:5], 0
	s_cbranch_scc1 .LBB3_1559
; %bb.1557:                             ;   in Loop: Header=BB3_1549 Depth=1
	v_mov_b32_e32 v11, 0
	v_mov_b32_e32 v12, 0
	s_lshl_b64 s[18:19], s[16:17], 3
	s_mov_b64 s[20:21], s[6:7]
.LBB3_1558:                             ;   Parent Loop BB3_1549 Depth=1
                                        ; =>  This Inner Loop Header: Depth=2
	global_load_ubyte v4, v6, s[20:21]
	s_waitcnt vmcnt(0)
	v_and_b32_e32 v5, 0xffff, v4
	v_lshlrev_b64 v[4:5], s4, v[5:6]
	s_add_u32 s4, s4, 8
	s_addc_u32 s5, s5, 0
	s_add_u32 s20, s20, 1
	s_addc_u32 s21, s21, 0
	s_cmp_lg_u32 s18, s4
	v_or_b32_e32 v11, v4, v11
	v_or_b32_e32 v12, v5, v12
	s_cbranch_scc1 .LBB3_1558
.LBB3_1559:                             ;   in Loop: Header=BB3_1549 Depth=1
	s_mov_b32 s15, 0
	s_mov_b64 s[4:5], s[6:7]
	s_cbranch_execnz .LBB3_1551
.LBB3_1560:                             ;   in Loop: Header=BB3_1549 Depth=1
	global_load_dwordx2 v[11:12], v6, s[6:7]
	s_add_i32 s15, s16, -8
	s_add_u32 s4, s6, 8
	s_addc_u32 s5, s7, 0
	s_cmp_gt_u32 s15, 7
	s_cbranch_scc0 .LBB3_1552
.LBB3_1561:                             ;   in Loop: Header=BB3_1549 Depth=1
                                        ; implicit-def: $vgpr13_vgpr14
                                        ; implicit-def: $sgpr22
.LBB3_1562:                             ;   in Loop: Header=BB3_1549 Depth=1
	global_load_dwordx2 v[13:14], v6, s[4:5]
	s_add_i32 s22, s15, -8
	s_add_u32 s4, s4, 8
	s_addc_u32 s5, s5, 0
.LBB3_1563:                             ;   in Loop: Header=BB3_1549 Depth=1
	s_cmp_gt_u32 s22, 7
	s_cbranch_scc1 .LBB3_1568
; %bb.1564:                             ;   in Loop: Header=BB3_1549 Depth=1
	v_mov_b32_e32 v15, 0
	v_mov_b32_e32 v16, 0
	s_cmp_eq_u32 s22, 0
	s_cbranch_scc1 .LBB3_1567
; %bb.1565:                             ;   in Loop: Header=BB3_1549 Depth=1
	s_mov_b64 s[18:19], 0
	s_mov_b64 s[20:21], 0
.LBB3_1566:                             ;   Parent Loop BB3_1549 Depth=1
                                        ; =>  This Inner Loop Header: Depth=2
	s_add_u32 s24, s4, s20
	s_addc_u32 s25, s5, s21
	s_add_u32 s20, s20, 1
	global_load_ubyte v4, v6, s[24:25]
	s_addc_u32 s21, s21, 0
	s_waitcnt vmcnt(0)
	v_and_b32_e32 v5, 0xffff, v4
	v_lshlrev_b64 v[4:5], s18, v[5:6]
	s_add_u32 s18, s18, 8
	s_addc_u32 s19, s19, 0
	s_cmp_lg_u32 s22, s20
	v_or_b32_e32 v15, v4, v15
	v_or_b32_e32 v16, v5, v16
	s_cbranch_scc1 .LBB3_1566
.LBB3_1567:                             ;   in Loop: Header=BB3_1549 Depth=1
	s_mov_b32 s15, 0
	s_cbranch_execz .LBB3_1569
	s_branch .LBB3_1570
.LBB3_1568:                             ;   in Loop: Header=BB3_1549 Depth=1
                                        ; implicit-def: $sgpr15
.LBB3_1569:                             ;   in Loop: Header=BB3_1549 Depth=1
	global_load_dwordx2 v[15:16], v6, s[4:5]
	s_add_i32 s15, s22, -8
	s_add_u32 s4, s4, 8
	s_addc_u32 s5, s5, 0
.LBB3_1570:                             ;   in Loop: Header=BB3_1549 Depth=1
	s_cmp_gt_u32 s15, 7
	s_cbranch_scc1 .LBB3_1575
; %bb.1571:                             ;   in Loop: Header=BB3_1549 Depth=1
	v_mov_b32_e32 v17, 0
	v_mov_b32_e32 v18, 0
	s_cmp_eq_u32 s15, 0
	s_cbranch_scc1 .LBB3_1574
; %bb.1572:                             ;   in Loop: Header=BB3_1549 Depth=1
	s_mov_b64 s[18:19], 0
	s_mov_b64 s[20:21], 0
.LBB3_1573:                             ;   Parent Loop BB3_1549 Depth=1
                                        ; =>  This Inner Loop Header: Depth=2
	s_add_u32 s22, s4, s20
	s_addc_u32 s23, s5, s21
	s_add_u32 s20, s20, 1
	global_load_ubyte v4, v6, s[22:23]
	s_addc_u32 s21, s21, 0
	s_waitcnt vmcnt(0)
	v_and_b32_e32 v5, 0xffff, v4
	v_lshlrev_b64 v[4:5], s18, v[5:6]
	s_add_u32 s18, s18, 8
	s_addc_u32 s19, s19, 0
	s_cmp_lg_u32 s15, s20
	v_or_b32_e32 v17, v4, v17
	v_or_b32_e32 v18, v5, v18
	s_cbranch_scc1 .LBB3_1573
.LBB3_1574:                             ;   in Loop: Header=BB3_1549 Depth=1
	s_mov_b32 s22, 0
	s_cbranch_execz .LBB3_1576
	s_branch .LBB3_1577
.LBB3_1575:                             ;   in Loop: Header=BB3_1549 Depth=1
                                        ; implicit-def: $vgpr17_vgpr18
                                        ; implicit-def: $sgpr22
.LBB3_1576:                             ;   in Loop: Header=BB3_1549 Depth=1
	global_load_dwordx2 v[17:18], v6, s[4:5]
	s_add_i32 s22, s15, -8
	s_add_u32 s4, s4, 8
	s_addc_u32 s5, s5, 0
.LBB3_1577:                             ;   in Loop: Header=BB3_1549 Depth=1
	s_cmp_gt_u32 s22, 7
	s_cbranch_scc1 .LBB3_1582
; %bb.1578:                             ;   in Loop: Header=BB3_1549 Depth=1
	v_mov_b32_e32 v19, 0
	v_mov_b32_e32 v20, 0
	s_cmp_eq_u32 s22, 0
	s_cbranch_scc1 .LBB3_1581
; %bb.1579:                             ;   in Loop: Header=BB3_1549 Depth=1
	s_mov_b64 s[18:19], 0
	s_mov_b64 s[20:21], 0
.LBB3_1580:                             ;   Parent Loop BB3_1549 Depth=1
                                        ; =>  This Inner Loop Header: Depth=2
	s_add_u32 s24, s4, s20
	s_addc_u32 s25, s5, s21
	s_add_u32 s20, s20, 1
	global_load_ubyte v4, v6, s[24:25]
	s_addc_u32 s21, s21, 0
	s_waitcnt vmcnt(0)
	v_and_b32_e32 v5, 0xffff, v4
	v_lshlrev_b64 v[4:5], s18, v[5:6]
	s_add_u32 s18, s18, 8
	s_addc_u32 s19, s19, 0
	s_cmp_lg_u32 s22, s20
	v_or_b32_e32 v19, v4, v19
	v_or_b32_e32 v20, v5, v20
	s_cbranch_scc1 .LBB3_1580
.LBB3_1581:                             ;   in Loop: Header=BB3_1549 Depth=1
	s_mov_b32 s15, 0
	s_cbranch_execz .LBB3_1583
	s_branch .LBB3_1584
.LBB3_1582:                             ;   in Loop: Header=BB3_1549 Depth=1
                                        ; implicit-def: $sgpr15
.LBB3_1583:                             ;   in Loop: Header=BB3_1549 Depth=1
	global_load_dwordx2 v[19:20], v6, s[4:5]
	s_add_i32 s15, s22, -8
	s_add_u32 s4, s4, 8
	s_addc_u32 s5, s5, 0
.LBB3_1584:                             ;   in Loop: Header=BB3_1549 Depth=1
	s_cmp_gt_u32 s15, 7
	s_cbranch_scc1 .LBB3_1589
; %bb.1585:                             ;   in Loop: Header=BB3_1549 Depth=1
	v_mov_b32_e32 v21, 0
	v_mov_b32_e32 v22, 0
	s_cmp_eq_u32 s15, 0
	s_cbranch_scc1 .LBB3_1588
; %bb.1586:                             ;   in Loop: Header=BB3_1549 Depth=1
	s_mov_b64 s[18:19], 0
	s_mov_b64 s[20:21], 0
.LBB3_1587:                             ;   Parent Loop BB3_1549 Depth=1
                                        ; =>  This Inner Loop Header: Depth=2
	s_add_u32 s22, s4, s20
	s_addc_u32 s23, s5, s21
	s_add_u32 s20, s20, 1
	global_load_ubyte v4, v6, s[22:23]
	s_addc_u32 s21, s21, 0
	s_waitcnt vmcnt(0)
	v_and_b32_e32 v5, 0xffff, v4
	v_lshlrev_b64 v[4:5], s18, v[5:6]
	s_add_u32 s18, s18, 8
	s_addc_u32 s19, s19, 0
	s_cmp_lg_u32 s15, s20
	v_or_b32_e32 v21, v4, v21
	v_or_b32_e32 v22, v5, v22
	s_cbranch_scc1 .LBB3_1587
.LBB3_1588:                             ;   in Loop: Header=BB3_1549 Depth=1
	s_mov_b32 s22, 0
	s_cbranch_execz .LBB3_1590
	s_branch .LBB3_1591
.LBB3_1589:                             ;   in Loop: Header=BB3_1549 Depth=1
                                        ; implicit-def: $vgpr21_vgpr22
                                        ; implicit-def: $sgpr22
.LBB3_1590:                             ;   in Loop: Header=BB3_1549 Depth=1
	global_load_dwordx2 v[21:22], v6, s[4:5]
	s_add_i32 s22, s15, -8
	s_add_u32 s4, s4, 8
	s_addc_u32 s5, s5, 0
.LBB3_1591:                             ;   in Loop: Header=BB3_1549 Depth=1
	s_cmp_gt_u32 s22, 7
	s_cbranch_scc1 .LBB3_1596
; %bb.1592:                             ;   in Loop: Header=BB3_1549 Depth=1
	v_mov_b32_e32 v23, 0
	v_mov_b32_e32 v24, 0
	s_cmp_eq_u32 s22, 0
	s_cbranch_scc1 .LBB3_1595
; %bb.1593:                             ;   in Loop: Header=BB3_1549 Depth=1
	s_mov_b64 s[18:19], 0
	s_mov_b64 s[20:21], s[4:5]
.LBB3_1594:                             ;   Parent Loop BB3_1549 Depth=1
                                        ; =>  This Inner Loop Header: Depth=2
	global_load_ubyte v4, v6, s[20:21]
	s_add_i32 s22, s22, -1
	s_waitcnt vmcnt(0)
	v_and_b32_e32 v5, 0xffff, v4
	v_lshlrev_b64 v[4:5], s18, v[5:6]
	s_add_u32 s18, s18, 8
	s_addc_u32 s19, s19, 0
	s_add_u32 s20, s20, 1
	s_addc_u32 s21, s21, 0
	s_cmp_lg_u32 s22, 0
	v_or_b32_e32 v23, v4, v23
	v_or_b32_e32 v24, v5, v24
	s_cbranch_scc1 .LBB3_1594
.LBB3_1595:                             ;   in Loop: Header=BB3_1549 Depth=1
	s_cbranch_execz .LBB3_1597
	s_branch .LBB3_1598
.LBB3_1596:                             ;   in Loop: Header=BB3_1549 Depth=1
.LBB3_1597:                             ;   in Loop: Header=BB3_1549 Depth=1
	global_load_dwordx2 v[23:24], v6, s[4:5]
.LBB3_1598:                             ;   in Loop: Header=BB3_1549 Depth=1
	v_readfirstlane_b32 s4, v49
	s_waitcnt vmcnt(0)
	v_mov_b32_e32 v4, 0
	v_mov_b32_e32 v5, 0
	v_cmp_eq_u32_e64 s4, s4, v49
	s_and_saveexec_b32 s5, s4
	s_cbranch_execz .LBB3_1604
; %bb.1599:                             ;   in Loop: Header=BB3_1549 Depth=1
	global_load_dwordx2 v[27:28], v6, s[26:27] offset:24 glc dlc
	s_waitcnt vmcnt(0)
	buffer_gl1_inv
	buffer_gl0_inv
	s_clause 0x1
	global_load_dwordx2 v[4:5], v6, s[26:27] offset:40
	global_load_dwordx2 v[9:10], v6, s[26:27]
	s_mov_b32 s15, exec_lo
	s_waitcnt vmcnt(1)
	v_and_b32_e32 v5, v5, v28
	v_and_b32_e32 v4, v4, v27
	v_mul_lo_u32 v5, v5, 24
	v_mul_hi_u32 v25, v4, 24
	v_mul_lo_u32 v4, v4, 24
	v_add_nc_u32_e32 v5, v25, v5
	s_waitcnt vmcnt(0)
	v_add_co_u32 v4, vcc_lo, v9, v4
	v_add_co_ci_u32_e32 v5, vcc_lo, v10, v5, vcc_lo
	global_load_dwordx2 v[25:26], v[4:5], off glc dlc
	s_waitcnt vmcnt(0)
	global_atomic_cmpswap_x2 v[4:5], v6, v[25:28], s[26:27] offset:24 glc
	s_waitcnt vmcnt(0)
	buffer_gl1_inv
	buffer_gl0_inv
	v_cmpx_ne_u64_e64 v[4:5], v[27:28]
	s_cbranch_execz .LBB3_1603
; %bb.1600:                             ;   in Loop: Header=BB3_1549 Depth=1
	s_mov_b32 s18, 0
	.p2align	6
.LBB3_1601:                             ;   Parent Loop BB3_1549 Depth=1
                                        ; =>  This Inner Loop Header: Depth=2
	s_sleep 1
	s_clause 0x1
	global_load_dwordx2 v[9:10], v6, s[26:27] offset:40
	global_load_dwordx2 v[25:26], v6, s[26:27]
	v_mov_b32_e32 v28, v5
	v_mov_b32_e32 v27, v4
	s_waitcnt vmcnt(1)
	v_and_b32_e32 v4, v9, v27
	v_and_b32_e32 v9, v10, v28
	s_waitcnt vmcnt(0)
	v_mad_u64_u32 v[4:5], null, v4, 24, v[25:26]
	v_mad_u64_u32 v[9:10], null, v9, 24, v[5:6]
	v_mov_b32_e32 v5, v9
	global_load_dwordx2 v[25:26], v[4:5], off glc dlc
	s_waitcnt vmcnt(0)
	global_atomic_cmpswap_x2 v[4:5], v6, v[25:28], s[26:27] offset:24 glc
	s_waitcnt vmcnt(0)
	buffer_gl1_inv
	buffer_gl0_inv
	v_cmp_eq_u64_e32 vcc_lo, v[4:5], v[27:28]
	s_or_b32 s18, vcc_lo, s18
	s_andn2_b32 exec_lo, exec_lo, s18
	s_cbranch_execnz .LBB3_1601
; %bb.1602:                             ;   in Loop: Header=BB3_1549 Depth=1
	s_or_b32 exec_lo, exec_lo, s18
.LBB3_1603:                             ;   in Loop: Header=BB3_1549 Depth=1
	s_or_b32 exec_lo, exec_lo, s15
.LBB3_1604:                             ;   in Loop: Header=BB3_1549 Depth=1
	s_or_b32 exec_lo, exec_lo, s5
	s_clause 0x1
	global_load_dwordx2 v[9:10], v6, s[26:27] offset:40
	global_load_dwordx4 v[25:28], v6, s[26:27]
	v_readfirstlane_b32 s18, v4
	v_readfirstlane_b32 s19, v5
	s_mov_b32 s5, exec_lo
	s_waitcnt vmcnt(1)
	v_readfirstlane_b32 s20, v9
	v_readfirstlane_b32 s21, v10
	s_and_b64 s[20:21], s[18:19], s[20:21]
	s_mul_i32 s15, s21, 24
	s_mul_hi_u32 s22, s20, 24
	s_mul_i32 s23, s20, 24
	s_add_i32 s22, s22, s15
	s_waitcnt vmcnt(0)
	v_add_co_u32 v29, vcc_lo, v25, s23
	v_add_co_ci_u32_e32 v30, vcc_lo, s22, v26, vcc_lo
	s_and_saveexec_b32 s15, s4
	s_cbranch_execz .LBB3_1606
; %bb.1605:                             ;   in Loop: Header=BB3_1549 Depth=1
	v_mov_b32_e32 v5, s5
	global_store_dwordx4 v[29:30], v[5:8], off offset:8
.LBB3_1606:                             ;   in Loop: Header=BB3_1549 Depth=1
	s_or_b32 exec_lo, exec_lo, s15
	s_lshl_b64 s[20:21], s[20:21], 12
	v_cmp_gt_u64_e64 vcc_lo, s[10:11], 56
	v_or_b32_e32 v5, v2, v31
	v_add_co_u32 v27, s5, v27, s20
	v_add_co_ci_u32_e64 v28, s5, s21, v28, s5
	s_lshl_b32 s5, s16, 2
	v_or_b32_e32 v4, 0, v3
	v_cndmask_b32_e32 v2, v5, v2, vcc_lo
	s_add_i32 s5, s5, 28
	v_readfirstlane_b32 s20, v27
	s_and_b32 s5, s5, 0x1e0
	v_cndmask_b32_e32 v10, v4, v3, vcc_lo
	v_readfirstlane_b32 s21, v28
	v_and_or_b32 v9, 0xffffff1f, v2, s5
	global_store_dwordx4 v48, v[9:12], s[20:21]
	global_store_dwordx4 v48, v[13:16], s[20:21] offset:16
	global_store_dwordx4 v48, v[17:20], s[20:21] offset:32
	;; [unrolled: 1-line block ×3, first 2 shown]
	s_and_saveexec_b32 s5, s4
	s_cbranch_execz .LBB3_1614
; %bb.1607:                             ;   in Loop: Header=BB3_1549 Depth=1
	s_clause 0x1
	global_load_dwordx2 v[13:14], v6, s[26:27] offset:32 glc dlc
	global_load_dwordx2 v[2:3], v6, s[26:27] offset:40
	v_mov_b32_e32 v11, s18
	v_mov_b32_e32 v12, s19
	s_waitcnt vmcnt(0)
	v_readfirstlane_b32 s20, v2
	v_readfirstlane_b32 s21, v3
	s_and_b64 s[20:21], s[20:21], s[18:19]
	s_mul_i32 s15, s21, 24
	s_mul_hi_u32 s21, s20, 24
	s_mul_i32 s20, s20, 24
	s_add_i32 s21, s21, s15
	v_add_co_u32 v9, vcc_lo, v25, s20
	v_add_co_ci_u32_e32 v10, vcc_lo, s21, v26, vcc_lo
	s_mov_b32 s15, exec_lo
	global_store_dwordx2 v[9:10], v[13:14], off
	s_waitcnt_vscnt null, 0x0
	global_atomic_cmpswap_x2 v[4:5], v6, v[11:14], s[26:27] offset:32 glc
	s_waitcnt vmcnt(0)
	v_cmpx_ne_u64_e64 v[4:5], v[13:14]
	s_cbranch_execz .LBB3_1610
; %bb.1608:                             ;   in Loop: Header=BB3_1549 Depth=1
	s_mov_b32 s20, 0
.LBB3_1609:                             ;   Parent Loop BB3_1549 Depth=1
                                        ; =>  This Inner Loop Header: Depth=2
	v_mov_b32_e32 v2, s18
	v_mov_b32_e32 v3, s19
	s_sleep 1
	global_store_dwordx2 v[9:10], v[4:5], off
	s_waitcnt_vscnt null, 0x0
	global_atomic_cmpswap_x2 v[2:3], v6, v[2:5], s[26:27] offset:32 glc
	s_waitcnt vmcnt(0)
	v_cmp_eq_u64_e32 vcc_lo, v[2:3], v[4:5]
	v_mov_b32_e32 v5, v3
	v_mov_b32_e32 v4, v2
	s_or_b32 s20, vcc_lo, s20
	s_andn2_b32 exec_lo, exec_lo, s20
	s_cbranch_execnz .LBB3_1609
.LBB3_1610:                             ;   in Loop: Header=BB3_1549 Depth=1
	s_or_b32 exec_lo, exec_lo, s15
	global_load_dwordx2 v[2:3], v6, s[26:27] offset:16
	s_mov_b32 s20, exec_lo
	s_mov_b32 s15, exec_lo
	v_mbcnt_lo_u32_b32 v4, s20, 0
	v_cmpx_eq_u32_e32 0, v4
	s_cbranch_execz .LBB3_1612
; %bb.1611:                             ;   in Loop: Header=BB3_1549 Depth=1
	s_bcnt1_i32_b32 s20, s20
	v_mov_b32_e32 v5, s20
	s_waitcnt vmcnt(0)
	global_atomic_add_x2 v[2:3], v[5:6], off offset:8
.LBB3_1612:                             ;   in Loop: Header=BB3_1549 Depth=1
	s_or_b32 exec_lo, exec_lo, s15
	s_waitcnt vmcnt(0)
	global_load_dwordx2 v[9:10], v[2:3], off offset:16
	s_waitcnt vmcnt(0)
	v_cmp_eq_u64_e32 vcc_lo, 0, v[9:10]
	s_cbranch_vccnz .LBB3_1614
; %bb.1613:                             ;   in Loop: Header=BB3_1549 Depth=1
	global_load_dword v5, v[2:3], off offset:24
	s_waitcnt vmcnt(0)
	v_and_b32_e32 v2, 0x7fffff, v5
	s_waitcnt_vscnt null, 0x0
	global_store_dwordx2 v[9:10], v[5:6], off
	v_readfirstlane_b32 m0, v2
	s_sendmsg sendmsg(MSG_INTERRUPT)
.LBB3_1614:                             ;   in Loop: Header=BB3_1549 Depth=1
	s_or_b32 exec_lo, exec_lo, s5
	v_add_co_u32 v2, vcc_lo, v27, v48
	v_add_co_ci_u32_e32 v3, vcc_lo, 0, v28, vcc_lo
	s_branch .LBB3_1618
	.p2align	6
.LBB3_1615:                             ;   in Loop: Header=BB3_1618 Depth=2
	s_or_b32 exec_lo, exec_lo, s5
	v_readfirstlane_b32 s5, v4
	s_cmp_eq_u32 s5, 0
	s_cbranch_scc1 .LBB3_1617
; %bb.1616:                             ;   in Loop: Header=BB3_1618 Depth=2
	s_sleep 1
	s_cbranch_execnz .LBB3_1618
	s_branch .LBB3_1620
	.p2align	6
.LBB3_1617:                             ;   in Loop: Header=BB3_1549 Depth=1
	s_branch .LBB3_1620
.LBB3_1618:                             ;   Parent Loop BB3_1549 Depth=1
                                        ; =>  This Inner Loop Header: Depth=2
	v_mov_b32_e32 v4, 1
	s_and_saveexec_b32 s5, s4
	s_cbranch_execz .LBB3_1615
; %bb.1619:                             ;   in Loop: Header=BB3_1618 Depth=2
	global_load_dword v4, v[29:30], off offset:20 glc dlc
	s_waitcnt vmcnt(0)
	buffer_gl1_inv
	buffer_gl0_inv
	v_and_b32_e32 v4, 1, v4
	s_branch .LBB3_1615
.LBB3_1620:                             ;   in Loop: Header=BB3_1549 Depth=1
	global_load_dwordx4 v[2:5], v[2:3], off
	s_and_saveexec_b32 s5, s4
	s_cbranch_execz .LBB3_1548
; %bb.1621:                             ;   in Loop: Header=BB3_1549 Depth=1
	s_clause 0x2
	global_load_dwordx2 v[4:5], v6, s[26:27] offset:40
	global_load_dwordx2 v[13:14], v6, s[26:27] offset:24 glc dlc
	global_load_dwordx2 v[11:12], v6, s[26:27]
	s_waitcnt vmcnt(2)
	v_add_co_u32 v15, vcc_lo, v4, 1
	v_add_co_ci_u32_e32 v16, vcc_lo, 0, v5, vcc_lo
	v_add_co_u32 v9, vcc_lo, v15, s18
	v_add_co_ci_u32_e32 v10, vcc_lo, s19, v16, vcc_lo
	v_cmp_eq_u64_e32 vcc_lo, 0, v[9:10]
	v_cndmask_b32_e32 v10, v10, v16, vcc_lo
	v_cndmask_b32_e32 v9, v9, v15, vcc_lo
	v_and_b32_e32 v5, v10, v5
	v_and_b32_e32 v4, v9, v4
	v_mul_lo_u32 v5, v5, 24
	v_mul_hi_u32 v15, v4, 24
	v_mul_lo_u32 v4, v4, 24
	v_add_nc_u32_e32 v5, v15, v5
	s_waitcnt vmcnt(0)
	v_add_co_u32 v4, vcc_lo, v11, v4
	v_mov_b32_e32 v11, v13
	v_add_co_ci_u32_e32 v5, vcc_lo, v12, v5, vcc_lo
	v_mov_b32_e32 v12, v14
	global_store_dwordx2 v[4:5], v[13:14], off
	s_waitcnt_vscnt null, 0x0
	global_atomic_cmpswap_x2 v[11:12], v6, v[9:12], s[26:27] offset:24 glc
	s_waitcnt vmcnt(0)
	v_cmp_ne_u64_e32 vcc_lo, v[11:12], v[13:14]
	s_and_b32 exec_lo, exec_lo, vcc_lo
	s_cbranch_execz .LBB3_1548
; %bb.1622:                             ;   in Loop: Header=BB3_1549 Depth=1
	s_mov_b32 s4, 0
.LBB3_1623:                             ;   Parent Loop BB3_1549 Depth=1
                                        ; =>  This Inner Loop Header: Depth=2
	s_sleep 1
	global_store_dwordx2 v[4:5], v[11:12], off
	s_waitcnt_vscnt null, 0x0
	global_atomic_cmpswap_x2 v[13:14], v6, v[9:12], s[26:27] offset:24 glc
	s_waitcnt vmcnt(0)
	v_cmp_eq_u64_e32 vcc_lo, v[13:14], v[11:12]
	v_mov_b32_e32 v11, v13
	v_mov_b32_e32 v12, v14
	s_or_b32 s4, vcc_lo, s4
	s_andn2_b32 exec_lo, exec_lo, s4
	s_cbranch_execnz .LBB3_1623
	s_branch .LBB3_1548
.LBB3_1624:
	s_branch .LBB3_1653
.LBB3_1625:
                                        ; implicit-def: $vgpr2_vgpr3
	s_cbranch_execz .LBB3_1653
; %bb.1626:
	v_readfirstlane_b32 s4, v49
	v_mov_b32_e32 v8, 0
	v_mov_b32_e32 v9, 0
	v_cmp_eq_u32_e64 s4, s4, v49
	s_and_saveexec_b32 s5, s4
	s_cbranch_execz .LBB3_1632
; %bb.1627:
	s_waitcnt vmcnt(0)
	v_mov_b32_e32 v2, 0
	s_mov_b32 s6, exec_lo
	global_load_dwordx2 v[5:6], v2, s[26:27] offset:24 glc dlc
	s_waitcnt vmcnt(0)
	buffer_gl1_inv
	buffer_gl0_inv
	s_clause 0x1
	global_load_dwordx2 v[3:4], v2, s[26:27] offset:40
	global_load_dwordx2 v[7:8], v2, s[26:27]
	s_waitcnt vmcnt(1)
	v_and_b32_e32 v4, v4, v6
	v_and_b32_e32 v3, v3, v5
	v_mul_lo_u32 v4, v4, 24
	v_mul_hi_u32 v9, v3, 24
	v_mul_lo_u32 v3, v3, 24
	v_add_nc_u32_e32 v4, v9, v4
	s_waitcnt vmcnt(0)
	v_add_co_u32 v3, vcc_lo, v7, v3
	v_add_co_ci_u32_e32 v4, vcc_lo, v8, v4, vcc_lo
	global_load_dwordx2 v[3:4], v[3:4], off glc dlc
	s_waitcnt vmcnt(0)
	global_atomic_cmpswap_x2 v[8:9], v2, v[3:6], s[26:27] offset:24 glc
	s_waitcnt vmcnt(0)
	buffer_gl1_inv
	buffer_gl0_inv
	v_cmpx_ne_u64_e64 v[8:9], v[5:6]
	s_cbranch_execz .LBB3_1631
; %bb.1628:
	s_mov_b32 s7, 0
	.p2align	6
.LBB3_1629:                             ; =>This Inner Loop Header: Depth=1
	s_sleep 1
	s_clause 0x1
	global_load_dwordx2 v[3:4], v2, s[26:27] offset:40
	global_load_dwordx2 v[10:11], v2, s[26:27]
	v_mov_b32_e32 v5, v8
	v_mov_b32_e32 v6, v9
	s_waitcnt vmcnt(1)
	v_and_b32_e32 v3, v3, v5
	v_and_b32_e32 v4, v4, v6
	s_waitcnt vmcnt(0)
	v_mad_u64_u32 v[7:8], null, v3, 24, v[10:11]
	v_mov_b32_e32 v3, v8
	v_mad_u64_u32 v[3:4], null, v4, 24, v[3:4]
	v_mov_b32_e32 v8, v3
	global_load_dwordx2 v[3:4], v[7:8], off glc dlc
	s_waitcnt vmcnt(0)
	global_atomic_cmpswap_x2 v[8:9], v2, v[3:6], s[26:27] offset:24 glc
	s_waitcnt vmcnt(0)
	buffer_gl1_inv
	buffer_gl0_inv
	v_cmp_eq_u64_e32 vcc_lo, v[8:9], v[5:6]
	s_or_b32 s7, vcc_lo, s7
	s_andn2_b32 exec_lo, exec_lo, s7
	s_cbranch_execnz .LBB3_1629
; %bb.1630:
	s_or_b32 exec_lo, exec_lo, s7
.LBB3_1631:
	s_or_b32 exec_lo, exec_lo, s6
.LBB3_1632:
	s_or_b32 exec_lo, exec_lo, s5
	s_waitcnt vmcnt(0)
	v_mov_b32_e32 v2, 0
	v_readfirstlane_b32 s6, v8
	v_readfirstlane_b32 s7, v9
	s_mov_b32 s5, exec_lo
	s_clause 0x1
	global_load_dwordx2 v[10:11], v2, s[26:27] offset:40
	global_load_dwordx4 v[4:7], v2, s[26:27]
	s_waitcnt vmcnt(1)
	v_readfirstlane_b32 s10, v10
	v_readfirstlane_b32 s11, v11
	s_and_b64 s[10:11], s[6:7], s[10:11]
	s_mul_i32 s15, s11, 24
	s_mul_hi_u32 s16, s10, 24
	s_mul_i32 s17, s10, 24
	s_add_i32 s16, s16, s15
	s_waitcnt vmcnt(0)
	v_add_co_u32 v8, vcc_lo, v4, s17
	v_add_co_ci_u32_e32 v9, vcc_lo, s16, v5, vcc_lo
	s_and_saveexec_b32 s15, s4
	s_cbranch_execz .LBB3_1634
; %bb.1633:
	v_mov_b32_e32 v10, s5
	v_mov_b32_e32 v11, v2
	;; [unrolled: 1-line block ×4, first 2 shown]
	global_store_dwordx4 v[8:9], v[10:13], off offset:8
.LBB3_1634:
	s_or_b32 exec_lo, exec_lo, s15
	s_lshl_b64 s[10:11], s[10:11], 12
	s_mov_b32 s16, 0
	v_add_co_u32 v6, vcc_lo, v6, s10
	v_add_co_ci_u32_e32 v7, vcc_lo, s11, v7, vcc_lo
	s_mov_b32 s17, s16
	v_readfirstlane_b32 s10, v6
	v_add_co_u32 v6, vcc_lo, v6, v48
	s_mov_b32 s18, s16
	s_mov_b32 s19, s16
	v_and_or_b32 v0, 0xffffff1f, v0, 32
	v_mov_b32_e32 v3, v2
	v_readfirstlane_b32 s11, v7
	v_mov_b32_e32 v10, s16
	v_add_co_ci_u32_e32 v7, vcc_lo, 0, v7, vcc_lo
	v_mov_b32_e32 v11, s17
	v_mov_b32_e32 v12, s18
	;; [unrolled: 1-line block ×3, first 2 shown]
	global_store_dwordx4 v48, v[0:3], s[10:11]
	global_store_dwordx4 v48, v[10:13], s[10:11] offset:16
	global_store_dwordx4 v48, v[10:13], s[10:11] offset:32
	;; [unrolled: 1-line block ×3, first 2 shown]
	s_and_saveexec_b32 s5, s4
	s_cbranch_execz .LBB3_1642
; %bb.1635:
	v_mov_b32_e32 v10, 0
	v_mov_b32_e32 v11, s6
	;; [unrolled: 1-line block ×3, first 2 shown]
	s_clause 0x1
	global_load_dwordx2 v[13:14], v10, s[26:27] offset:32 glc dlc
	global_load_dwordx2 v[0:1], v10, s[26:27] offset:40
	s_waitcnt vmcnt(0)
	v_readfirstlane_b32 s10, v0
	v_readfirstlane_b32 s11, v1
	s_and_b64 s[10:11], s[10:11], s[6:7]
	s_mul_i32 s11, s11, 24
	s_mul_hi_u32 s15, s10, 24
	s_mul_i32 s10, s10, 24
	s_add_i32 s15, s15, s11
	v_add_co_u32 v4, vcc_lo, v4, s10
	v_add_co_ci_u32_e32 v5, vcc_lo, s15, v5, vcc_lo
	s_mov_b32 s10, exec_lo
	global_store_dwordx2 v[4:5], v[13:14], off
	s_waitcnt_vscnt null, 0x0
	global_atomic_cmpswap_x2 v[2:3], v10, v[11:14], s[26:27] offset:32 glc
	s_waitcnt vmcnt(0)
	v_cmpx_ne_u64_e64 v[2:3], v[13:14]
	s_cbranch_execz .LBB3_1638
; %bb.1636:
	s_mov_b32 s11, 0
.LBB3_1637:                             ; =>This Inner Loop Header: Depth=1
	v_mov_b32_e32 v0, s6
	v_mov_b32_e32 v1, s7
	s_sleep 1
	global_store_dwordx2 v[4:5], v[2:3], off
	s_waitcnt_vscnt null, 0x0
	global_atomic_cmpswap_x2 v[0:1], v10, v[0:3], s[26:27] offset:32 glc
	s_waitcnt vmcnt(0)
	v_cmp_eq_u64_e32 vcc_lo, v[0:1], v[2:3]
	v_mov_b32_e32 v3, v1
	v_mov_b32_e32 v2, v0
	s_or_b32 s11, vcc_lo, s11
	s_andn2_b32 exec_lo, exec_lo, s11
	s_cbranch_execnz .LBB3_1637
.LBB3_1638:
	s_or_b32 exec_lo, exec_lo, s10
	v_mov_b32_e32 v3, 0
	s_mov_b32 s11, exec_lo
	s_mov_b32 s10, exec_lo
	v_mbcnt_lo_u32_b32 v2, s11, 0
	global_load_dwordx2 v[0:1], v3, s[26:27] offset:16
	v_cmpx_eq_u32_e32 0, v2
	s_cbranch_execz .LBB3_1640
; %bb.1639:
	s_bcnt1_i32_b32 s11, s11
	v_mov_b32_e32 v2, s11
	s_waitcnt vmcnt(0)
	global_atomic_add_x2 v[0:1], v[2:3], off offset:8
.LBB3_1640:
	s_or_b32 exec_lo, exec_lo, s10
	s_waitcnt vmcnt(0)
	global_load_dwordx2 v[2:3], v[0:1], off offset:16
	s_waitcnt vmcnt(0)
	v_cmp_eq_u64_e32 vcc_lo, 0, v[2:3]
	s_cbranch_vccnz .LBB3_1642
; %bb.1641:
	global_load_dword v0, v[0:1], off offset:24
	v_mov_b32_e32 v1, 0
	s_waitcnt vmcnt(0)
	v_and_b32_e32 v4, 0x7fffff, v0
	s_waitcnt_vscnt null, 0x0
	global_store_dwordx2 v[2:3], v[0:1], off
	v_readfirstlane_b32 m0, v4
	s_sendmsg sendmsg(MSG_INTERRUPT)
.LBB3_1642:
	s_or_b32 exec_lo, exec_lo, s5
	s_branch .LBB3_1646
	.p2align	6
.LBB3_1643:                             ;   in Loop: Header=BB3_1646 Depth=1
	s_or_b32 exec_lo, exec_lo, s5
	v_readfirstlane_b32 s5, v0
	s_cmp_eq_u32 s5, 0
	s_cbranch_scc1 .LBB3_1645
; %bb.1644:                             ;   in Loop: Header=BB3_1646 Depth=1
	s_sleep 1
	s_cbranch_execnz .LBB3_1646
	s_branch .LBB3_1648
	.p2align	6
.LBB3_1645:
	s_branch .LBB3_1648
.LBB3_1646:                             ; =>This Inner Loop Header: Depth=1
	v_mov_b32_e32 v0, 1
	s_and_saveexec_b32 s5, s4
	s_cbranch_execz .LBB3_1643
; %bb.1647:                             ;   in Loop: Header=BB3_1646 Depth=1
	global_load_dword v0, v[8:9], off offset:20 glc dlc
	s_waitcnt vmcnt(0)
	buffer_gl1_inv
	buffer_gl0_inv
	v_and_b32_e32 v0, 1, v0
	s_branch .LBB3_1643
.LBB3_1648:
	global_load_dwordx2 v[2:3], v[6:7], off
	s_and_saveexec_b32 s5, s4
	s_cbranch_execz .LBB3_1652
; %bb.1649:
	v_mov_b32_e32 v8, 0
	s_clause 0x2
	global_load_dwordx2 v[0:1], v8, s[26:27] offset:40
	global_load_dwordx2 v[9:10], v8, s[26:27] offset:24 glc dlc
	global_load_dwordx2 v[6:7], v8, s[26:27]
	s_waitcnt vmcnt(2)
	v_add_co_u32 v11, vcc_lo, v0, 1
	v_add_co_ci_u32_e32 v12, vcc_lo, 0, v1, vcc_lo
	v_add_co_u32 v4, vcc_lo, v11, s6
	v_add_co_ci_u32_e32 v5, vcc_lo, s7, v12, vcc_lo
	v_cmp_eq_u64_e32 vcc_lo, 0, v[4:5]
	v_cndmask_b32_e32 v5, v5, v12, vcc_lo
	v_cndmask_b32_e32 v4, v4, v11, vcc_lo
	v_and_b32_e32 v1, v5, v1
	v_and_b32_e32 v0, v4, v0
	v_mul_lo_u32 v1, v1, 24
	v_mul_hi_u32 v11, v0, 24
	v_mul_lo_u32 v0, v0, 24
	v_add_nc_u32_e32 v1, v11, v1
	s_waitcnt vmcnt(0)
	v_add_co_u32 v0, vcc_lo, v6, v0
	v_mov_b32_e32 v6, v9
	v_add_co_ci_u32_e32 v1, vcc_lo, v7, v1, vcc_lo
	v_mov_b32_e32 v7, v10
	global_store_dwordx2 v[0:1], v[9:10], off
	s_waitcnt_vscnt null, 0x0
	global_atomic_cmpswap_x2 v[6:7], v8, v[4:7], s[26:27] offset:24 glc
	s_waitcnt vmcnt(0)
	v_cmp_ne_u64_e32 vcc_lo, v[6:7], v[9:10]
	s_and_b32 exec_lo, exec_lo, vcc_lo
	s_cbranch_execz .LBB3_1652
; %bb.1650:
	s_mov_b32 s4, 0
.LBB3_1651:                             ; =>This Inner Loop Header: Depth=1
	s_sleep 1
	global_store_dwordx2 v[0:1], v[6:7], off
	s_waitcnt_vscnt null, 0x0
	global_atomic_cmpswap_x2 v[9:10], v8, v[4:7], s[26:27] offset:24 glc
	s_waitcnt vmcnt(0)
	v_cmp_eq_u64_e32 vcc_lo, v[9:10], v[6:7]
	v_mov_b32_e32 v6, v9
	v_mov_b32_e32 v7, v10
	s_or_b32 s4, vcc_lo, s4
	s_andn2_b32 exec_lo, exec_lo, s4
	s_cbranch_execnz .LBB3_1651
.LBB3_1652:
	s_or_b32 exec_lo, exec_lo, s5
.LBB3_1653:
	v_readfirstlane_b32 s4, v49
	s_waitcnt vmcnt(0)
	v_mov_b32_e32 v0, 0
	v_mov_b32_e32 v1, 0
	v_cmp_eq_u32_e64 s4, s4, v49
	s_and_saveexec_b32 s5, s4
	s_cbranch_execz .LBB3_1659
; %bb.1654:
	v_mov_b32_e32 v4, 0
	s_mov_b32 s6, exec_lo
	global_load_dwordx2 v[7:8], v4, s[26:27] offset:24 glc dlc
	s_waitcnt vmcnt(0)
	buffer_gl1_inv
	buffer_gl0_inv
	s_clause 0x1
	global_load_dwordx2 v[0:1], v4, s[26:27] offset:40
	global_load_dwordx2 v[5:6], v4, s[26:27]
	s_waitcnt vmcnt(1)
	v_and_b32_e32 v1, v1, v8
	v_and_b32_e32 v0, v0, v7
	v_mul_lo_u32 v1, v1, 24
	v_mul_hi_u32 v9, v0, 24
	v_mul_lo_u32 v0, v0, 24
	v_add_nc_u32_e32 v1, v9, v1
	s_waitcnt vmcnt(0)
	v_add_co_u32 v0, vcc_lo, v5, v0
	v_add_co_ci_u32_e32 v1, vcc_lo, v6, v1, vcc_lo
	global_load_dwordx2 v[5:6], v[0:1], off glc dlc
	s_waitcnt vmcnt(0)
	global_atomic_cmpswap_x2 v[0:1], v4, v[5:8], s[26:27] offset:24 glc
	s_waitcnt vmcnt(0)
	buffer_gl1_inv
	buffer_gl0_inv
	v_cmpx_ne_u64_e64 v[0:1], v[7:8]
	s_cbranch_execz .LBB3_1658
; %bb.1655:
	s_mov_b32 s7, 0
	.p2align	6
.LBB3_1656:                             ; =>This Inner Loop Header: Depth=1
	s_sleep 1
	s_clause 0x1
	global_load_dwordx2 v[5:6], v4, s[26:27] offset:40
	global_load_dwordx2 v[9:10], v4, s[26:27]
	v_mov_b32_e32 v8, v1
	v_mov_b32_e32 v7, v0
	s_waitcnt vmcnt(1)
	v_and_b32_e32 v0, v5, v7
	v_and_b32_e32 v5, v6, v8
	s_waitcnt vmcnt(0)
	v_mad_u64_u32 v[0:1], null, v0, 24, v[9:10]
	v_mad_u64_u32 v[5:6], null, v5, 24, v[1:2]
	v_mov_b32_e32 v1, v5
	global_load_dwordx2 v[5:6], v[0:1], off glc dlc
	s_waitcnt vmcnt(0)
	global_atomic_cmpswap_x2 v[0:1], v4, v[5:8], s[26:27] offset:24 glc
	s_waitcnt vmcnt(0)
	buffer_gl1_inv
	buffer_gl0_inv
	v_cmp_eq_u64_e32 vcc_lo, v[0:1], v[7:8]
	s_or_b32 s7, vcc_lo, s7
	s_andn2_b32 exec_lo, exec_lo, s7
	s_cbranch_execnz .LBB3_1656
; %bb.1657:
	s_or_b32 exec_lo, exec_lo, s7
.LBB3_1658:
	s_or_b32 exec_lo, exec_lo, s6
.LBB3_1659:
	s_or_b32 exec_lo, exec_lo, s5
	v_mov_b32_e32 v5, 0
	v_readfirstlane_b32 s6, v0
	v_readfirstlane_b32 s7, v1
	s_mov_b32 s5, exec_lo
	s_clause 0x1
	global_load_dwordx2 v[10:11], v5, s[26:27] offset:40
	global_load_dwordx4 v[6:9], v5, s[26:27]
	s_waitcnt vmcnt(1)
	v_readfirstlane_b32 s10, v10
	v_readfirstlane_b32 s11, v11
	s_and_b64 s[10:11], s[6:7], s[10:11]
	s_mul_i32 s15, s11, 24
	s_mul_hi_u32 s16, s10, 24
	s_mul_i32 s17, s10, 24
	s_add_i32 s16, s16, s15
	s_waitcnt vmcnt(0)
	v_add_co_u32 v10, vcc_lo, v6, s17
	v_add_co_ci_u32_e32 v11, vcc_lo, s16, v7, vcc_lo
	s_and_saveexec_b32 s15, s4
	s_cbranch_execz .LBB3_1661
; %bb.1660:
	v_mov_b32_e32 v4, s5
	v_mov_b32_e32 v13, v5
	;; [unrolled: 1-line block ×5, first 2 shown]
	global_store_dwordx4 v[10:11], v[12:15], off offset:8
.LBB3_1661:
	s_or_b32 exec_lo, exec_lo, s15
	s_lshl_b64 s[10:11], s[10:11], 12
	s_mov_b32 s16, 0
	v_add_co_u32 v0, vcc_lo, v8, s10
	v_add_co_ci_u32_e32 v1, vcc_lo, s11, v9, vcc_lo
	s_mov_b32 s17, s16
	s_mov_b32 s18, s16
	;; [unrolled: 1-line block ×3, first 2 shown]
	v_and_or_b32 v2, 0xffffff1d, v2, 34
	v_mov_b32_e32 v4, 10
	v_readfirstlane_b32 s10, v0
	v_readfirstlane_b32 s11, v1
	v_mov_b32_e32 v12, s16
	v_mov_b32_e32 v13, s17
	;; [unrolled: 1-line block ×4, first 2 shown]
	global_store_dwordx4 v48, v[2:5], s[10:11]
	global_store_dwordx4 v48, v[12:15], s[10:11] offset:16
	global_store_dwordx4 v48, v[12:15], s[10:11] offset:32
	;; [unrolled: 1-line block ×3, first 2 shown]
	s_and_saveexec_b32 s5, s4
	s_cbranch_execz .LBB3_1669
; %bb.1662:
	v_mov_b32_e32 v8, 0
	v_mov_b32_e32 v12, s6
	;; [unrolled: 1-line block ×3, first 2 shown]
	s_clause 0x1
	global_load_dwordx2 v[14:15], v8, s[26:27] offset:32 glc dlc
	global_load_dwordx2 v[0:1], v8, s[26:27] offset:40
	s_waitcnt vmcnt(0)
	v_readfirstlane_b32 s10, v0
	v_readfirstlane_b32 s11, v1
	s_and_b64 s[10:11], s[10:11], s[6:7]
	s_mul_i32 s11, s11, 24
	s_mul_hi_u32 s15, s10, 24
	s_mul_i32 s10, s10, 24
	s_add_i32 s15, s15, s11
	v_add_co_u32 v4, vcc_lo, v6, s10
	v_add_co_ci_u32_e32 v5, vcc_lo, s15, v7, vcc_lo
	s_mov_b32 s10, exec_lo
	global_store_dwordx2 v[4:5], v[14:15], off
	s_waitcnt_vscnt null, 0x0
	global_atomic_cmpswap_x2 v[2:3], v8, v[12:15], s[26:27] offset:32 glc
	s_waitcnt vmcnt(0)
	v_cmpx_ne_u64_e64 v[2:3], v[14:15]
	s_cbranch_execz .LBB3_1665
; %bb.1663:
	s_mov_b32 s11, 0
.LBB3_1664:                             ; =>This Inner Loop Header: Depth=1
	v_mov_b32_e32 v0, s6
	v_mov_b32_e32 v1, s7
	s_sleep 1
	global_store_dwordx2 v[4:5], v[2:3], off
	s_waitcnt_vscnt null, 0x0
	global_atomic_cmpswap_x2 v[0:1], v8, v[0:3], s[26:27] offset:32 glc
	s_waitcnt vmcnt(0)
	v_cmp_eq_u64_e32 vcc_lo, v[0:1], v[2:3]
	v_mov_b32_e32 v3, v1
	v_mov_b32_e32 v2, v0
	s_or_b32 s11, vcc_lo, s11
	s_andn2_b32 exec_lo, exec_lo, s11
	s_cbranch_execnz .LBB3_1664
.LBB3_1665:
	s_or_b32 exec_lo, exec_lo, s10
	v_mov_b32_e32 v3, 0
	s_mov_b32 s11, exec_lo
	s_mov_b32 s10, exec_lo
	v_mbcnt_lo_u32_b32 v2, s11, 0
	global_load_dwordx2 v[0:1], v3, s[26:27] offset:16
	v_cmpx_eq_u32_e32 0, v2
	s_cbranch_execz .LBB3_1667
; %bb.1666:
	s_bcnt1_i32_b32 s11, s11
	v_mov_b32_e32 v2, s11
	s_waitcnt vmcnt(0)
	global_atomic_add_x2 v[0:1], v[2:3], off offset:8
.LBB3_1667:
	s_or_b32 exec_lo, exec_lo, s10
	s_waitcnt vmcnt(0)
	global_load_dwordx2 v[2:3], v[0:1], off offset:16
	s_waitcnt vmcnt(0)
	v_cmp_eq_u64_e32 vcc_lo, 0, v[2:3]
	s_cbranch_vccnz .LBB3_1669
; %bb.1668:
	global_load_dword v0, v[0:1], off offset:24
	v_mov_b32_e32 v1, 0
	s_waitcnt vmcnt(0)
	v_and_b32_e32 v4, 0x7fffff, v0
	s_waitcnt_vscnt null, 0x0
	global_store_dwordx2 v[2:3], v[0:1], off
	v_readfirstlane_b32 m0, v4
	s_sendmsg sendmsg(MSG_INTERRUPT)
.LBB3_1669:
	s_or_b32 exec_lo, exec_lo, s5
	s_branch .LBB3_1673
	.p2align	6
.LBB3_1670:                             ;   in Loop: Header=BB3_1673 Depth=1
	s_or_b32 exec_lo, exec_lo, s5
	v_readfirstlane_b32 s5, v0
	s_cmp_eq_u32 s5, 0
	s_cbranch_scc1 .LBB3_1672
; %bb.1671:                             ;   in Loop: Header=BB3_1673 Depth=1
	s_sleep 1
	s_cbranch_execnz .LBB3_1673
	s_branch .LBB3_1675
	.p2align	6
.LBB3_1672:
	s_branch .LBB3_1675
.LBB3_1673:                             ; =>This Inner Loop Header: Depth=1
	v_mov_b32_e32 v0, 1
	s_and_saveexec_b32 s5, s4
	s_cbranch_execz .LBB3_1670
; %bb.1674:                             ;   in Loop: Header=BB3_1673 Depth=1
	global_load_dword v0, v[10:11], off offset:20 glc dlc
	s_waitcnt vmcnt(0)
	buffer_gl1_inv
	buffer_gl0_inv
	v_and_b32_e32 v0, 1, v0
	s_branch .LBB3_1670
.LBB3_1675:
	s_and_saveexec_b32 s5, s4
	s_cbranch_execz .LBB3_1679
; %bb.1676:
	v_mov_b32_e32 v6, 0
	s_clause 0x2
	global_load_dwordx2 v[2:3], v6, s[26:27] offset:40
	global_load_dwordx2 v[7:8], v6, s[26:27] offset:24 glc dlc
	global_load_dwordx2 v[4:5], v6, s[26:27]
	s_waitcnt vmcnt(2)
	v_add_co_u32 v9, vcc_lo, v2, 1
	v_add_co_ci_u32_e32 v10, vcc_lo, 0, v3, vcc_lo
	v_add_co_u32 v0, vcc_lo, v9, s6
	v_add_co_ci_u32_e32 v1, vcc_lo, s7, v10, vcc_lo
	v_cmp_eq_u64_e32 vcc_lo, 0, v[0:1]
	v_cndmask_b32_e32 v1, v1, v10, vcc_lo
	v_cndmask_b32_e32 v0, v0, v9, vcc_lo
	v_and_b32_e32 v3, v1, v3
	v_and_b32_e32 v2, v0, v2
	v_mul_lo_u32 v3, v3, 24
	v_mul_hi_u32 v9, v2, 24
	v_mul_lo_u32 v2, v2, 24
	v_add_nc_u32_e32 v3, v9, v3
	s_waitcnt vmcnt(0)
	v_add_co_u32 v4, vcc_lo, v4, v2
	v_mov_b32_e32 v2, v7
	v_add_co_ci_u32_e32 v5, vcc_lo, v5, v3, vcc_lo
	v_mov_b32_e32 v3, v8
	global_store_dwordx2 v[4:5], v[7:8], off
	s_waitcnt_vscnt null, 0x0
	global_atomic_cmpswap_x2 v[2:3], v6, v[0:3], s[26:27] offset:24 glc
	s_waitcnt vmcnt(0)
	v_cmp_ne_u64_e32 vcc_lo, v[2:3], v[7:8]
	s_and_b32 exec_lo, exec_lo, vcc_lo
	s_cbranch_execz .LBB3_1679
; %bb.1677:
	s_mov_b32 s4, 0
.LBB3_1678:                             ; =>This Inner Loop Header: Depth=1
	s_sleep 1
	global_store_dwordx2 v[4:5], v[2:3], off
	s_waitcnt_vscnt null, 0x0
	global_atomic_cmpswap_x2 v[7:8], v6, v[0:3], s[26:27] offset:24 glc
	s_waitcnt vmcnt(0)
	v_cmp_eq_u64_e32 vcc_lo, v[7:8], v[2:3]
	v_mov_b32_e32 v2, v7
	v_mov_b32_e32 v3, v8
	s_or_b32 s4, vcc_lo, s4
	s_andn2_b32 exec_lo, exec_lo, s4
	s_cbranch_execnz .LBB3_1678
.LBB3_1679:
	s_or_b32 exec_lo, exec_lo, s5
	flat_load_dwordx2 v[0:1], v[36:37]
	s_waitcnt vmcnt(0) lgkmcnt(0)
	flat_load_dword v2, v[0:1]
	s_waitcnt vmcnt(0) lgkmcnt(0)
	v_add_nc_u32_e32 v2, 1, v2
	flat_store_dword v[0:1], v2
.LBB3_1680:
	s_or_b32 exec_lo, exec_lo, s29
	s_getpc_b64 s[4:5]
	s_add_u32 s4, s4, _ZN8migraphx4test4failEv@rel32@lo+4
	s_addc_u32 s5, s5, _ZN8migraphx4test4failEv@rel32@hi+12
	s_swappc_b64 s[30:31], s[4:5]
	; divergent unreachable
.LBB3_1681:
	s_andn2_saveexec_b32 s4, s28
	s_or_b32 exec_lo, exec_lo, s4
	v_readlane_b32 s30, v40, 0
	v_readlane_b32 s31, v40, 1
	v_readlane_b32 s4, v40, 2
	s_or_saveexec_b32 s5, -1
	buffer_load_dword v40, off, s[0:3], s33 offset:12 ; 4-byte Folded Reload
	s_mov_b32 exec_lo, s5
	s_addk_i32 s32, 0xfc00
	s_mov_b32 s33, s4
	s_waitcnt vmcnt(0)
	s_setpc_b64 s[30:31]
.Lfunc_end3:
	.size	_ZL21upper_bound_all_equalRN8migraphx4test12test_managerE, .Lfunc_end3-_ZL21upper_bound_all_equalRN8migraphx4test12test_managerE
                                        ; -- End function
	.section	.AMDGPU.csdata,"",@progbits
; Function info:
; codeLenInByte = 60720
; NumSgprs: 46
; NumVgprs: 50
; ScratchSize: 32
; MemoryBound: 0
	.text
	.p2align	2                               ; -- Begin function _ZL31upper_bound_multiple_duplicatesRN8migraphx4test12test_managerE
	.type	_ZL31upper_bound_multiple_duplicatesRN8migraphx4test12test_managerE,@function
_ZL31upper_bound_multiple_duplicatesRN8migraphx4test12test_managerE: ; @_ZL31upper_bound_multiple_duplicatesRN8migraphx4test12test_managerE
; %bb.0:
	s_waitcnt vmcnt(0) expcnt(0) lgkmcnt(0)
	s_mov_b32 s4, s33
	s_mov_b32 s33, s32
	s_or_saveexec_b32 s5, -1
	buffer_store_dword v40, off, s[0:3], s33 offset:32 ; 4-byte Folded Spill
	s_mov_b32 exec_lo, s5
	v_writelane_b32 v40, s4, 2
	v_writelane_b32 v40, s30, 0
	s_addk_i32 s32, 0x600
	v_writelane_b32 v40, s31, 1
	v_mov_b32_e32 v36, v0
	v_mov_b32_e32 v0, 1
	;; [unrolled: 1-line block ×5, first 2 shown]
	buffer_store_dword v0, off, s[0:3], s33
	buffer_store_dword v1, off, s[0:3], s33 offset:4
	buffer_store_dword v1, off, s[0:3], s33 offset:8
	;; [unrolled: 1-line block ×4, first 2 shown]
	v_lshrrev_b32_e64 v0, 5, s33
	v_mov_b32_e32 v4, 5
	v_lshrrev_b32_e64 v39, 5, s33
	v_mov_b32_e32 v3, 4
	s_mov_b32 s5, 0
	v_add_nc_u32_e32 v38, 20, v0
	v_mov_b32_e32 v0, 8
	v_mov_b32_e32 v1, 0
	buffer_store_dword v2, off, s[0:3], s33 offset:20
	buffer_store_dword v3, off, s[0:3], s33 offset:24
	;; [unrolled: 1-line block ×3, first 2 shown]
	.p2align	6
.LBB4_1:                                ; =>This Inner Loop Header: Depth=1
	v_alignbit_b32 v2, v1, v0, 1
	v_lshl_add_u32 v4, v2, 2, v39
	v_lshrrev_b64 v[2:3], 1, v[0:1]
	buffer_load_dword v5, v4, s[0:3], 0 offen
	v_not_b32_e32 v6, v2
	v_not_b32_e32 v7, v3
	v_add_co_u32 v0, vcc_lo, v0, v6
	v_add_co_ci_u32_e32 v1, vcc_lo, v1, v7, vcc_lo
	s_waitcnt vmcnt(0)
	v_cmp_lt_i32_e32 vcc_lo, 2, v5
	v_cndmask_b32_e32 v1, v1, v3, vcc_lo
	v_cndmask_b32_e32 v0, v0, v2, vcc_lo
	v_add_nc_u32_e32 v2, 4, v4
	v_cmp_gt_i64_e64 s4, 1, v[0:1]
	v_cndmask_b32_e32 v39, v2, v39, vcc_lo
	s_or_b32 s5, s4, s5
	s_andn2_b32 exec_lo, exec_lo, s5
	s_cbranch_execnz .LBB4_1
; %bb.2:
	s_or_b32 exec_lo, exec_lo, s5
	s_mov_b32 s4, exec_lo
	v_cmpx_ne_u32_e64 v38, v39
	s_xor_b32 s28, exec_lo, s4
	s_cbranch_execz .LBB4_1681
; %bb.3:
	v_and_b32_e32 v0, 0x3ff, v31
	s_mov_b32 s29, exec_lo
	v_cmpx_eq_u32_e32 0, v0
	s_cbranch_execz .LBB4_1680
; %bb.4:
	s_load_dwordx2 s[26:27], s[8:9], 0x50
	v_mbcnt_lo_u32_b32 v49, -1, 0
	v_mov_b32_e32 v6, 0
	v_mov_b32_e32 v7, 0
	v_readfirstlane_b32 s4, v49
	v_cmp_eq_u32_e64 s4, s4, v49
	s_and_saveexec_b32 s5, s4
	s_cbranch_execz .LBB4_10
; %bb.5:
	v_mov_b32_e32 v0, 0
	s_mov_b32 s6, exec_lo
	s_waitcnt lgkmcnt(0)
	global_load_dwordx2 v[3:4], v0, s[26:27] offset:24 glc dlc
	s_waitcnt vmcnt(0)
	buffer_gl1_inv
	buffer_gl0_inv
	s_clause 0x1
	global_load_dwordx2 v[1:2], v0, s[26:27] offset:40
	global_load_dwordx2 v[5:6], v0, s[26:27]
	s_waitcnt vmcnt(1)
	v_and_b32_e32 v2, v2, v4
	v_and_b32_e32 v1, v1, v3
	v_mul_lo_u32 v2, v2, 24
	v_mul_hi_u32 v7, v1, 24
	v_mul_lo_u32 v1, v1, 24
	v_add_nc_u32_e32 v2, v7, v2
	s_waitcnt vmcnt(0)
	v_add_co_u32 v1, vcc_lo, v5, v1
	v_add_co_ci_u32_e32 v2, vcc_lo, v6, v2, vcc_lo
	global_load_dwordx2 v[1:2], v[1:2], off glc dlc
	s_waitcnt vmcnt(0)
	global_atomic_cmpswap_x2 v[6:7], v0, v[1:4], s[26:27] offset:24 glc
	s_waitcnt vmcnt(0)
	buffer_gl1_inv
	buffer_gl0_inv
	v_cmpx_ne_u64_e64 v[6:7], v[3:4]
	s_cbranch_execz .LBB4_9
; %bb.6:
	s_mov_b32 s7, 0
	.p2align	6
.LBB4_7:                                ; =>This Inner Loop Header: Depth=1
	s_sleep 1
	s_clause 0x1
	global_load_dwordx2 v[1:2], v0, s[26:27] offset:40
	global_load_dwordx2 v[8:9], v0, s[26:27]
	v_mov_b32_e32 v3, v6
	v_mov_b32_e32 v4, v7
	s_waitcnt vmcnt(1)
	v_and_b32_e32 v1, v1, v3
	v_and_b32_e32 v2, v2, v4
	s_waitcnt vmcnt(0)
	v_mad_u64_u32 v[5:6], null, v1, 24, v[8:9]
	v_mov_b32_e32 v1, v6
	v_mad_u64_u32 v[1:2], null, v2, 24, v[1:2]
	v_mov_b32_e32 v6, v1
	global_load_dwordx2 v[1:2], v[5:6], off glc dlc
	s_waitcnt vmcnt(0)
	global_atomic_cmpswap_x2 v[6:7], v0, v[1:4], s[26:27] offset:24 glc
	s_waitcnt vmcnt(0)
	buffer_gl1_inv
	buffer_gl0_inv
	v_cmp_eq_u64_e32 vcc_lo, v[6:7], v[3:4]
	s_or_b32 s7, vcc_lo, s7
	s_andn2_b32 exec_lo, exec_lo, s7
	s_cbranch_execnz .LBB4_7
; %bb.8:
	s_or_b32 exec_lo, exec_lo, s7
.LBB4_9:
	s_or_b32 exec_lo, exec_lo, s6
.LBB4_10:
	s_or_b32 exec_lo, exec_lo, s5
	v_mov_b32_e32 v5, 0
	v_readfirstlane_b32 s6, v6
	v_readfirstlane_b32 s7, v7
	s_mov_b32 s5, exec_lo
	s_waitcnt lgkmcnt(0)
	s_clause 0x1
	global_load_dwordx2 v[8:9], v5, s[26:27] offset:40
	global_load_dwordx4 v[0:3], v5, s[26:27]
	s_waitcnt vmcnt(1)
	v_readfirstlane_b32 s10, v8
	v_readfirstlane_b32 s11, v9
	s_and_b64 s[10:11], s[6:7], s[10:11]
	s_mul_i32 s15, s11, 24
	s_mul_hi_u32 s16, s10, 24
	s_mul_i32 s17, s10, 24
	s_add_i32 s16, s16, s15
	s_waitcnt vmcnt(0)
	v_add_co_u32 v8, vcc_lo, v0, s17
	v_add_co_ci_u32_e32 v9, vcc_lo, s16, v1, vcc_lo
	s_and_saveexec_b32 s15, s4
	s_cbranch_execz .LBB4_12
; %bb.11:
	v_mov_b32_e32 v4, s5
	v_mov_b32_e32 v6, 2
	;; [unrolled: 1-line block ×3, first 2 shown]
	global_store_dwordx4 v[8:9], v[4:7], off offset:8
.LBB4_12:
	s_or_b32 exec_lo, exec_lo, s15
	s_lshl_b64 s[10:11], s[10:11], 12
	v_lshlrev_b32_e32 v48, 6, v49
	v_add_co_u32 v2, vcc_lo, v2, s10
	v_add_co_ci_u32_e32 v3, vcc_lo, s11, v3, vcc_lo
	s_mov_b32 s16, 0
	v_add_co_u32 v10, vcc_lo, v2, v48
	s_mov_b32 s17, s16
	s_mov_b32 s18, s16
	;; [unrolled: 1-line block ×3, first 2 shown]
	v_mov_b32_e32 v4, 33
	v_mov_b32_e32 v6, v5
	;; [unrolled: 1-line block ×3, first 2 shown]
	v_readfirstlane_b32 s10, v2
	v_readfirstlane_b32 s11, v3
	v_mov_b32_e32 v12, s16
	v_add_co_ci_u32_e32 v11, vcc_lo, 0, v3, vcc_lo
	v_mov_b32_e32 v13, s17
	v_mov_b32_e32 v14, s18
	;; [unrolled: 1-line block ×3, first 2 shown]
	global_store_dwordx4 v48, v[4:7], s[10:11]
	global_store_dwordx4 v48, v[12:15], s[10:11] offset:16
	global_store_dwordx4 v48, v[12:15], s[10:11] offset:32
	;; [unrolled: 1-line block ×3, first 2 shown]
	s_and_saveexec_b32 s5, s4
	s_cbranch_execz .LBB4_20
; %bb.13:
	v_mov_b32_e32 v6, 0
	v_mov_b32_e32 v12, s6
	;; [unrolled: 1-line block ×3, first 2 shown]
	s_mov_b32 s10, exec_lo
	s_clause 0x1
	global_load_dwordx2 v[14:15], v6, s[26:27] offset:32 glc dlc
	global_load_dwordx2 v[2:3], v6, s[26:27] offset:40
	s_waitcnt vmcnt(0)
	v_and_b32_e32 v3, s7, v3
	v_and_b32_e32 v2, s6, v2
	v_mul_lo_u32 v3, v3, 24
	v_mul_hi_u32 v4, v2, 24
	v_mul_lo_u32 v2, v2, 24
	v_add_nc_u32_e32 v3, v4, v3
	v_add_co_u32 v4, vcc_lo, v0, v2
	v_add_co_ci_u32_e32 v5, vcc_lo, v1, v3, vcc_lo
	global_store_dwordx2 v[4:5], v[14:15], off
	s_waitcnt_vscnt null, 0x0
	global_atomic_cmpswap_x2 v[2:3], v6, v[12:15], s[26:27] offset:32 glc
	s_waitcnt vmcnt(0)
	v_cmpx_ne_u64_e64 v[2:3], v[14:15]
	s_cbranch_execz .LBB4_16
; %bb.14:
	s_mov_b32 s11, 0
.LBB4_15:                               ; =>This Inner Loop Header: Depth=1
	v_mov_b32_e32 v0, s6
	v_mov_b32_e32 v1, s7
	s_sleep 1
	global_store_dwordx2 v[4:5], v[2:3], off
	s_waitcnt_vscnt null, 0x0
	global_atomic_cmpswap_x2 v[0:1], v6, v[0:3], s[26:27] offset:32 glc
	s_waitcnt vmcnt(0)
	v_cmp_eq_u64_e32 vcc_lo, v[0:1], v[2:3]
	v_mov_b32_e32 v3, v1
	v_mov_b32_e32 v2, v0
	s_or_b32 s11, vcc_lo, s11
	s_andn2_b32 exec_lo, exec_lo, s11
	s_cbranch_execnz .LBB4_15
.LBB4_16:
	s_or_b32 exec_lo, exec_lo, s10
	v_mov_b32_e32 v3, 0
	s_mov_b32 s11, exec_lo
	s_mov_b32 s10, exec_lo
	v_mbcnt_lo_u32_b32 v2, s11, 0
	global_load_dwordx2 v[0:1], v3, s[26:27] offset:16
	v_cmpx_eq_u32_e32 0, v2
	s_cbranch_execz .LBB4_18
; %bb.17:
	s_bcnt1_i32_b32 s11, s11
	v_mov_b32_e32 v2, s11
	s_waitcnt vmcnt(0)
	global_atomic_add_x2 v[0:1], v[2:3], off offset:8
.LBB4_18:
	s_or_b32 exec_lo, exec_lo, s10
	s_waitcnt vmcnt(0)
	global_load_dwordx2 v[2:3], v[0:1], off offset:16
	s_waitcnt vmcnt(0)
	v_cmp_eq_u64_e32 vcc_lo, 0, v[2:3]
	s_cbranch_vccnz .LBB4_20
; %bb.19:
	global_load_dword v0, v[0:1], off offset:24
	v_mov_b32_e32 v1, 0
	s_waitcnt vmcnt(0)
	v_and_b32_e32 v4, 0x7fffff, v0
	s_waitcnt_vscnt null, 0x0
	global_store_dwordx2 v[2:3], v[0:1], off
	v_readfirstlane_b32 m0, v4
	s_sendmsg sendmsg(MSG_INTERRUPT)
.LBB4_20:
	s_or_b32 exec_lo, exec_lo, s5
	s_branch .LBB4_24
	.p2align	6
.LBB4_21:                               ;   in Loop: Header=BB4_24 Depth=1
	s_or_b32 exec_lo, exec_lo, s5
	v_readfirstlane_b32 s5, v0
	s_cmp_eq_u32 s5, 0
	s_cbranch_scc1 .LBB4_23
; %bb.22:                               ;   in Loop: Header=BB4_24 Depth=1
	s_sleep 1
	s_cbranch_execnz .LBB4_24
	s_branch .LBB4_26
	.p2align	6
.LBB4_23:
	s_branch .LBB4_26
.LBB4_24:                               ; =>This Inner Loop Header: Depth=1
	v_mov_b32_e32 v0, 1
	s_and_saveexec_b32 s5, s4
	s_cbranch_execz .LBB4_21
; %bb.25:                               ;   in Loop: Header=BB4_24 Depth=1
	global_load_dword v0, v[8:9], off offset:20 glc dlc
	s_waitcnt vmcnt(0)
	buffer_gl1_inv
	buffer_gl0_inv
	v_and_b32_e32 v0, 1, v0
	s_branch .LBB4_21
.LBB4_26:
	global_load_dwordx2 v[4:5], v[10:11], off
	s_and_saveexec_b32 s5, s4
	s_cbranch_execz .LBB4_30
; %bb.27:
	v_mov_b32_e32 v8, 0
	s_clause 0x2
	global_load_dwordx2 v[2:3], v8, s[26:27] offset:40
	global_load_dwordx2 v[9:10], v8, s[26:27] offset:24 glc dlc
	global_load_dwordx2 v[6:7], v8, s[26:27]
	s_waitcnt vmcnt(2)
	v_add_co_u32 v11, vcc_lo, v2, 1
	v_add_co_ci_u32_e32 v12, vcc_lo, 0, v3, vcc_lo
	v_add_co_u32 v0, vcc_lo, v11, s6
	v_add_co_ci_u32_e32 v1, vcc_lo, s7, v12, vcc_lo
	v_cmp_eq_u64_e32 vcc_lo, 0, v[0:1]
	v_cndmask_b32_e32 v1, v1, v12, vcc_lo
	v_cndmask_b32_e32 v0, v0, v11, vcc_lo
	v_and_b32_e32 v3, v1, v3
	v_and_b32_e32 v2, v0, v2
	v_mul_lo_u32 v3, v3, 24
	v_mul_hi_u32 v11, v2, 24
	v_mul_lo_u32 v2, v2, 24
	v_add_nc_u32_e32 v3, v11, v3
	s_waitcnt vmcnt(0)
	v_add_co_u32 v6, vcc_lo, v6, v2
	v_mov_b32_e32 v2, v9
	v_add_co_ci_u32_e32 v7, vcc_lo, v7, v3, vcc_lo
	v_mov_b32_e32 v3, v10
	global_store_dwordx2 v[6:7], v[9:10], off
	s_waitcnt_vscnt null, 0x0
	global_atomic_cmpswap_x2 v[2:3], v8, v[0:3], s[26:27] offset:24 glc
	s_waitcnt vmcnt(0)
	v_cmp_ne_u64_e32 vcc_lo, v[2:3], v[9:10]
	s_and_b32 exec_lo, exec_lo, vcc_lo
	s_cbranch_execz .LBB4_30
; %bb.28:
	s_mov_b32 s4, 0
.LBB4_29:                               ; =>This Inner Loop Header: Depth=1
	s_sleep 1
	global_store_dwordx2 v[6:7], v[2:3], off
	s_waitcnt_vscnt null, 0x0
	global_atomic_cmpswap_x2 v[9:10], v8, v[0:3], s[26:27] offset:24 glc
	s_waitcnt vmcnt(0)
	v_cmp_eq_u64_e32 vcc_lo, v[9:10], v[2:3]
	v_mov_b32_e32 v2, v9
	v_mov_b32_e32 v3, v10
	s_or_b32 s4, vcc_lo, s4
	s_andn2_b32 exec_lo, exec_lo, s4
	s_cbranch_execnz .LBB4_29
.LBB4_30:
	s_or_b32 exec_lo, exec_lo, s5
	s_getpc_b64 s[6:7]
	s_add_u32 s6, s6, .str.5@rel32@lo+4
	s_addc_u32 s7, s7, .str.5@rel32@hi+12
	s_cmp_lg_u64 s[6:7], 0
	s_cselect_b32 s15, -1, 0
	s_and_b32 vcc_lo, exec_lo, s15
	s_cbranch_vccz .LBB4_109
; %bb.31:
	s_waitcnt vmcnt(0)
	v_and_b32_e32 v28, 2, v4
	v_mov_b32_e32 v7, 0
	v_and_b32_e32 v0, -3, v4
	v_mov_b32_e32 v1, v5
	v_mov_b32_e32 v8, 2
	;; [unrolled: 1-line block ×3, first 2 shown]
	s_mov_b64 s[10:11], 3
	s_branch .LBB4_33
.LBB4_32:                               ;   in Loop: Header=BB4_33 Depth=1
	s_or_b32 exec_lo, exec_lo, s5
	s_sub_u32 s10, s10, s16
	s_subb_u32 s11, s11, s17
	s_add_u32 s6, s6, s16
	s_addc_u32 s7, s7, s17
	s_cmp_lg_u64 s[10:11], 0
	s_cbranch_scc0 .LBB4_108
.LBB4_33:                               ; =>This Loop Header: Depth=1
                                        ;     Child Loop BB4_42 Depth 2
                                        ;     Child Loop BB4_38 Depth 2
	;; [unrolled: 1-line block ×11, first 2 shown]
	v_cmp_lt_u64_e64 s4, s[10:11], 56
	v_cmp_gt_u64_e64 s5, s[10:11], 7
                                        ; implicit-def: $vgpr2_vgpr3
                                        ; implicit-def: $sgpr22
	s_and_b32 s4, s4, exec_lo
	s_cselect_b32 s17, s11, 0
	s_cselect_b32 s16, s10, 56
	s_and_b32 vcc_lo, exec_lo, s5
	s_mov_b32 s4, -1
	s_cbranch_vccz .LBB4_40
; %bb.34:                               ;   in Loop: Header=BB4_33 Depth=1
	s_andn2_b32 vcc_lo, exec_lo, s4
	s_mov_b64 s[4:5], s[6:7]
	s_cbranch_vccz .LBB4_44
.LBB4_35:                               ;   in Loop: Header=BB4_33 Depth=1
	s_cmp_gt_u32 s22, 7
	s_cbranch_scc1 .LBB4_45
.LBB4_36:                               ;   in Loop: Header=BB4_33 Depth=1
	v_mov_b32_e32 v10, 0
	v_mov_b32_e32 v11, 0
	s_cmp_eq_u32 s22, 0
	s_cbranch_scc1 .LBB4_39
; %bb.37:                               ;   in Loop: Header=BB4_33 Depth=1
	s_mov_b64 s[18:19], 0
	s_mov_b64 s[20:21], 0
.LBB4_38:                               ;   Parent Loop BB4_33 Depth=1
                                        ; =>  This Inner Loop Header: Depth=2
	s_add_u32 s24, s4, s20
	s_addc_u32 s25, s5, s21
	s_add_u32 s20, s20, 1
	global_load_ubyte v6, v7, s[24:25]
	s_addc_u32 s21, s21, 0
	s_waitcnt vmcnt(0)
	v_and_b32_e32 v6, 0xffff, v6
	v_lshlrev_b64 v[12:13], s18, v[6:7]
	s_add_u32 s18, s18, 8
	s_addc_u32 s19, s19, 0
	s_cmp_lg_u32 s22, s20
	v_or_b32_e32 v10, v12, v10
	v_or_b32_e32 v11, v13, v11
	s_cbranch_scc1 .LBB4_38
.LBB4_39:                               ;   in Loop: Header=BB4_33 Depth=1
	s_mov_b32 s23, 0
	s_cbranch_execz .LBB4_46
	s_branch .LBB4_47
.LBB4_40:                               ;   in Loop: Header=BB4_33 Depth=1
	s_waitcnt vmcnt(0)
	v_mov_b32_e32 v2, 0
	v_mov_b32_e32 v3, 0
	s_cmp_eq_u64 s[10:11], 0
	s_mov_b64 s[4:5], 0
	s_cbranch_scc1 .LBB4_43
; %bb.41:                               ;   in Loop: Header=BB4_33 Depth=1
	v_mov_b32_e32 v2, 0
	v_mov_b32_e32 v3, 0
	s_lshl_b64 s[18:19], s[16:17], 3
	s_mov_b64 s[20:21], s[6:7]
.LBB4_42:                               ;   Parent Loop BB4_33 Depth=1
                                        ; =>  This Inner Loop Header: Depth=2
	global_load_ubyte v6, v7, s[20:21]
	s_waitcnt vmcnt(0)
	v_and_b32_e32 v6, 0xffff, v6
	v_lshlrev_b64 v[10:11], s4, v[6:7]
	s_add_u32 s4, s4, 8
	s_addc_u32 s5, s5, 0
	s_add_u32 s20, s20, 1
	s_addc_u32 s21, s21, 0
	s_cmp_lg_u32 s18, s4
	v_or_b32_e32 v2, v10, v2
	v_or_b32_e32 v3, v11, v3
	s_cbranch_scc1 .LBB4_42
.LBB4_43:                               ;   in Loop: Header=BB4_33 Depth=1
	s_mov_b32 s22, 0
	s_mov_b64 s[4:5], s[6:7]
	s_cbranch_execnz .LBB4_35
.LBB4_44:                               ;   in Loop: Header=BB4_33 Depth=1
	global_load_dwordx2 v[2:3], v7, s[6:7]
	s_add_i32 s22, s16, -8
	s_add_u32 s4, s6, 8
	s_addc_u32 s5, s7, 0
	s_cmp_gt_u32 s22, 7
	s_cbranch_scc0 .LBB4_36
.LBB4_45:                               ;   in Loop: Header=BB4_33 Depth=1
                                        ; implicit-def: $vgpr10_vgpr11
                                        ; implicit-def: $sgpr23
.LBB4_46:                               ;   in Loop: Header=BB4_33 Depth=1
	global_load_dwordx2 v[10:11], v7, s[4:5]
	s_add_i32 s23, s22, -8
	s_add_u32 s4, s4, 8
	s_addc_u32 s5, s5, 0
.LBB4_47:                               ;   in Loop: Header=BB4_33 Depth=1
	s_cmp_gt_u32 s23, 7
	s_cbranch_scc1 .LBB4_52
; %bb.48:                               ;   in Loop: Header=BB4_33 Depth=1
	v_mov_b32_e32 v12, 0
	v_mov_b32_e32 v13, 0
	s_cmp_eq_u32 s23, 0
	s_cbranch_scc1 .LBB4_51
; %bb.49:                               ;   in Loop: Header=BB4_33 Depth=1
	s_mov_b64 s[18:19], 0
	s_mov_b64 s[20:21], 0
.LBB4_50:                               ;   Parent Loop BB4_33 Depth=1
                                        ; =>  This Inner Loop Header: Depth=2
	s_add_u32 s24, s4, s20
	s_addc_u32 s25, s5, s21
	s_add_u32 s20, s20, 1
	global_load_ubyte v6, v7, s[24:25]
	s_addc_u32 s21, s21, 0
	s_waitcnt vmcnt(0)
	v_and_b32_e32 v6, 0xffff, v6
	v_lshlrev_b64 v[14:15], s18, v[6:7]
	s_add_u32 s18, s18, 8
	s_addc_u32 s19, s19, 0
	s_cmp_lg_u32 s23, s20
	v_or_b32_e32 v12, v14, v12
	v_or_b32_e32 v13, v15, v13
	s_cbranch_scc1 .LBB4_50
.LBB4_51:                               ;   in Loop: Header=BB4_33 Depth=1
	s_mov_b32 s22, 0
	s_cbranch_execz .LBB4_53
	s_branch .LBB4_54
.LBB4_52:                               ;   in Loop: Header=BB4_33 Depth=1
                                        ; implicit-def: $sgpr22
.LBB4_53:                               ;   in Loop: Header=BB4_33 Depth=1
	global_load_dwordx2 v[12:13], v7, s[4:5]
	s_add_i32 s22, s23, -8
	s_add_u32 s4, s4, 8
	s_addc_u32 s5, s5, 0
.LBB4_54:                               ;   in Loop: Header=BB4_33 Depth=1
	s_cmp_gt_u32 s22, 7
	s_cbranch_scc1 .LBB4_59
; %bb.55:                               ;   in Loop: Header=BB4_33 Depth=1
	v_mov_b32_e32 v14, 0
	v_mov_b32_e32 v15, 0
	s_cmp_eq_u32 s22, 0
	s_cbranch_scc1 .LBB4_58
; %bb.56:                               ;   in Loop: Header=BB4_33 Depth=1
	s_mov_b64 s[18:19], 0
	s_mov_b64 s[20:21], 0
.LBB4_57:                               ;   Parent Loop BB4_33 Depth=1
                                        ; =>  This Inner Loop Header: Depth=2
	s_add_u32 s24, s4, s20
	s_addc_u32 s25, s5, s21
	s_add_u32 s20, s20, 1
	global_load_ubyte v6, v7, s[24:25]
	s_addc_u32 s21, s21, 0
	s_waitcnt vmcnt(0)
	v_and_b32_e32 v6, 0xffff, v6
	v_lshlrev_b64 v[16:17], s18, v[6:7]
	s_add_u32 s18, s18, 8
	s_addc_u32 s19, s19, 0
	s_cmp_lg_u32 s22, s20
	v_or_b32_e32 v14, v16, v14
	v_or_b32_e32 v15, v17, v15
	s_cbranch_scc1 .LBB4_57
.LBB4_58:                               ;   in Loop: Header=BB4_33 Depth=1
	s_mov_b32 s23, 0
	s_cbranch_execz .LBB4_60
	s_branch .LBB4_61
.LBB4_59:                               ;   in Loop: Header=BB4_33 Depth=1
                                        ; implicit-def: $vgpr14_vgpr15
                                        ; implicit-def: $sgpr23
.LBB4_60:                               ;   in Loop: Header=BB4_33 Depth=1
	global_load_dwordx2 v[14:15], v7, s[4:5]
	s_add_i32 s23, s22, -8
	s_add_u32 s4, s4, 8
	s_addc_u32 s5, s5, 0
.LBB4_61:                               ;   in Loop: Header=BB4_33 Depth=1
	s_cmp_gt_u32 s23, 7
	s_cbranch_scc1 .LBB4_66
; %bb.62:                               ;   in Loop: Header=BB4_33 Depth=1
	v_mov_b32_e32 v16, 0
	v_mov_b32_e32 v17, 0
	s_cmp_eq_u32 s23, 0
	s_cbranch_scc1 .LBB4_65
; %bb.63:                               ;   in Loop: Header=BB4_33 Depth=1
	s_mov_b64 s[18:19], 0
	s_mov_b64 s[20:21], 0
.LBB4_64:                               ;   Parent Loop BB4_33 Depth=1
                                        ; =>  This Inner Loop Header: Depth=2
	s_add_u32 s24, s4, s20
	s_addc_u32 s25, s5, s21
	s_add_u32 s20, s20, 1
	global_load_ubyte v6, v7, s[24:25]
	s_addc_u32 s21, s21, 0
	s_waitcnt vmcnt(0)
	v_and_b32_e32 v6, 0xffff, v6
	v_lshlrev_b64 v[18:19], s18, v[6:7]
	s_add_u32 s18, s18, 8
	s_addc_u32 s19, s19, 0
	s_cmp_lg_u32 s23, s20
	v_or_b32_e32 v16, v18, v16
	v_or_b32_e32 v17, v19, v17
	s_cbranch_scc1 .LBB4_64
.LBB4_65:                               ;   in Loop: Header=BB4_33 Depth=1
	s_mov_b32 s22, 0
	s_cbranch_execz .LBB4_67
	s_branch .LBB4_68
.LBB4_66:                               ;   in Loop: Header=BB4_33 Depth=1
                                        ; implicit-def: $sgpr22
.LBB4_67:                               ;   in Loop: Header=BB4_33 Depth=1
	global_load_dwordx2 v[16:17], v7, s[4:5]
	s_add_i32 s22, s23, -8
	s_add_u32 s4, s4, 8
	s_addc_u32 s5, s5, 0
.LBB4_68:                               ;   in Loop: Header=BB4_33 Depth=1
	s_cmp_gt_u32 s22, 7
	s_cbranch_scc1 .LBB4_73
; %bb.69:                               ;   in Loop: Header=BB4_33 Depth=1
	v_mov_b32_e32 v18, 0
	v_mov_b32_e32 v19, 0
	s_cmp_eq_u32 s22, 0
	s_cbranch_scc1 .LBB4_72
; %bb.70:                               ;   in Loop: Header=BB4_33 Depth=1
	s_mov_b64 s[18:19], 0
	s_mov_b64 s[20:21], 0
.LBB4_71:                               ;   Parent Loop BB4_33 Depth=1
                                        ; =>  This Inner Loop Header: Depth=2
	s_add_u32 s24, s4, s20
	s_addc_u32 s25, s5, s21
	s_add_u32 s20, s20, 1
	global_load_ubyte v6, v7, s[24:25]
	s_addc_u32 s21, s21, 0
	s_waitcnt vmcnt(0)
	v_and_b32_e32 v6, 0xffff, v6
	v_lshlrev_b64 v[20:21], s18, v[6:7]
	s_add_u32 s18, s18, 8
	s_addc_u32 s19, s19, 0
	s_cmp_lg_u32 s22, s20
	v_or_b32_e32 v18, v20, v18
	v_or_b32_e32 v19, v21, v19
	s_cbranch_scc1 .LBB4_71
.LBB4_72:                               ;   in Loop: Header=BB4_33 Depth=1
	s_mov_b32 s23, 0
	s_cbranch_execz .LBB4_74
	s_branch .LBB4_75
.LBB4_73:                               ;   in Loop: Header=BB4_33 Depth=1
                                        ; implicit-def: $vgpr18_vgpr19
                                        ; implicit-def: $sgpr23
.LBB4_74:                               ;   in Loop: Header=BB4_33 Depth=1
	global_load_dwordx2 v[18:19], v7, s[4:5]
	s_add_i32 s23, s22, -8
	s_add_u32 s4, s4, 8
	s_addc_u32 s5, s5, 0
.LBB4_75:                               ;   in Loop: Header=BB4_33 Depth=1
	s_cmp_gt_u32 s23, 7
	s_cbranch_scc1 .LBB4_80
; %bb.76:                               ;   in Loop: Header=BB4_33 Depth=1
	v_mov_b32_e32 v20, 0
	v_mov_b32_e32 v21, 0
	s_cmp_eq_u32 s23, 0
	s_cbranch_scc1 .LBB4_79
; %bb.77:                               ;   in Loop: Header=BB4_33 Depth=1
	s_mov_b64 s[18:19], 0
	s_mov_b64 s[20:21], s[4:5]
.LBB4_78:                               ;   Parent Loop BB4_33 Depth=1
                                        ; =>  This Inner Loop Header: Depth=2
	global_load_ubyte v6, v7, s[20:21]
	s_add_i32 s23, s23, -1
	s_waitcnt vmcnt(0)
	v_and_b32_e32 v6, 0xffff, v6
	v_lshlrev_b64 v[22:23], s18, v[6:7]
	s_add_u32 s18, s18, 8
	s_addc_u32 s19, s19, 0
	s_add_u32 s20, s20, 1
	s_addc_u32 s21, s21, 0
	s_cmp_lg_u32 s23, 0
	v_or_b32_e32 v20, v22, v20
	v_or_b32_e32 v21, v23, v21
	s_cbranch_scc1 .LBB4_78
.LBB4_79:                               ;   in Loop: Header=BB4_33 Depth=1
	s_cbranch_execz .LBB4_81
	s_branch .LBB4_82
.LBB4_80:                               ;   in Loop: Header=BB4_33 Depth=1
.LBB4_81:                               ;   in Loop: Header=BB4_33 Depth=1
	global_load_dwordx2 v[20:21], v7, s[4:5]
.LBB4_82:                               ;   in Loop: Header=BB4_33 Depth=1
	v_readfirstlane_b32 s4, v49
	v_mov_b32_e32 v26, 0
	v_mov_b32_e32 v27, 0
	v_cmp_eq_u32_e64 s4, s4, v49
	s_and_saveexec_b32 s5, s4
	s_cbranch_execz .LBB4_88
; %bb.83:                               ;   in Loop: Header=BB4_33 Depth=1
	global_load_dwordx2 v[24:25], v7, s[26:27] offset:24 glc dlc
	s_waitcnt vmcnt(0)
	buffer_gl1_inv
	buffer_gl0_inv
	s_clause 0x1
	global_load_dwordx2 v[22:23], v7, s[26:27] offset:40
	global_load_dwordx2 v[26:27], v7, s[26:27]
	s_mov_b32 s18, exec_lo
	s_waitcnt vmcnt(1)
	v_and_b32_e32 v6, v23, v25
	v_and_b32_e32 v22, v22, v24
	v_mul_lo_u32 v6, v6, 24
	v_mul_hi_u32 v23, v22, 24
	v_mul_lo_u32 v22, v22, 24
	v_add_nc_u32_e32 v6, v23, v6
	s_waitcnt vmcnt(0)
	v_add_co_u32 v22, vcc_lo, v26, v22
	v_add_co_ci_u32_e32 v23, vcc_lo, v27, v6, vcc_lo
	global_load_dwordx2 v[22:23], v[22:23], off glc dlc
	s_waitcnt vmcnt(0)
	global_atomic_cmpswap_x2 v[26:27], v7, v[22:25], s[26:27] offset:24 glc
	s_waitcnt vmcnt(0)
	buffer_gl1_inv
	buffer_gl0_inv
	v_cmpx_ne_u64_e64 v[26:27], v[24:25]
	s_cbranch_execz .LBB4_87
; %bb.84:                               ;   in Loop: Header=BB4_33 Depth=1
	s_mov_b32 s19, 0
	.p2align	6
.LBB4_85:                               ;   Parent Loop BB4_33 Depth=1
                                        ; =>  This Inner Loop Header: Depth=2
	s_sleep 1
	s_clause 0x1
	global_load_dwordx2 v[22:23], v7, s[26:27] offset:40
	global_load_dwordx2 v[29:30], v7, s[26:27]
	v_mov_b32_e32 v24, v26
	v_mov_b32_e32 v25, v27
	s_waitcnt vmcnt(1)
	v_and_b32_e32 v6, v22, v24
	v_and_b32_e32 v22, v23, v25
	s_waitcnt vmcnt(0)
	v_mad_u64_u32 v[26:27], null, v6, 24, v[29:30]
	v_mov_b32_e32 v6, v27
	v_mad_u64_u32 v[22:23], null, v22, 24, v[6:7]
	v_mov_b32_e32 v27, v22
	global_load_dwordx2 v[22:23], v[26:27], off glc dlc
	s_waitcnt vmcnt(0)
	global_atomic_cmpswap_x2 v[26:27], v7, v[22:25], s[26:27] offset:24 glc
	s_waitcnt vmcnt(0)
	buffer_gl1_inv
	buffer_gl0_inv
	v_cmp_eq_u64_e32 vcc_lo, v[26:27], v[24:25]
	s_or_b32 s19, vcc_lo, s19
	s_andn2_b32 exec_lo, exec_lo, s19
	s_cbranch_execnz .LBB4_85
; %bb.86:                               ;   in Loop: Header=BB4_33 Depth=1
	s_or_b32 exec_lo, exec_lo, s19
.LBB4_87:                               ;   in Loop: Header=BB4_33 Depth=1
	s_or_b32 exec_lo, exec_lo, s18
.LBB4_88:                               ;   in Loop: Header=BB4_33 Depth=1
	s_or_b32 exec_lo, exec_lo, s5
	s_clause 0x1
	global_load_dwordx2 v[29:30], v7, s[26:27] offset:40
	global_load_dwordx4 v[22:25], v7, s[26:27]
	v_readfirstlane_b32 s18, v26
	v_readfirstlane_b32 s19, v27
	s_mov_b32 s5, exec_lo
	s_waitcnt vmcnt(1)
	v_readfirstlane_b32 s20, v29
	v_readfirstlane_b32 s21, v30
	s_and_b64 s[20:21], s[18:19], s[20:21]
	s_mul_i32 s22, s21, 24
	s_mul_hi_u32 s23, s20, 24
	s_mul_i32 s24, s20, 24
	s_add_i32 s23, s23, s22
	s_waitcnt vmcnt(0)
	v_add_co_u32 v26, vcc_lo, v22, s24
	v_add_co_ci_u32_e32 v27, vcc_lo, s23, v23, vcc_lo
	s_and_saveexec_b32 s22, s4
	s_cbranch_execz .LBB4_90
; %bb.89:                               ;   in Loop: Header=BB4_33 Depth=1
	v_mov_b32_e32 v6, s5
	global_store_dwordx4 v[26:27], v[6:9], off offset:8
.LBB4_90:                               ;   in Loop: Header=BB4_33 Depth=1
	s_or_b32 exec_lo, exec_lo, s22
	s_lshl_b64 s[20:21], s[20:21], 12
	v_cmp_gt_u64_e64 vcc_lo, s[10:11], 56
	v_or_b32_e32 v29, v0, v28
	v_add_co_u32 v24, s5, v24, s20
	v_add_co_ci_u32_e64 v25, s5, s21, v25, s5
	s_lshl_b32 s5, s16, 2
	v_or_b32_e32 v6, 0, v1
	v_cndmask_b32_e32 v0, v29, v0, vcc_lo
	s_add_i32 s5, s5, 28
	v_readfirstlane_b32 s20, v24
	s_and_b32 s5, s5, 0x1e0
	v_cndmask_b32_e32 v1, v6, v1, vcc_lo
	v_readfirstlane_b32 s21, v25
	v_and_or_b32 v0, 0xffffff1f, v0, s5
	global_store_dwordx4 v48, v[0:3], s[20:21]
	global_store_dwordx4 v48, v[10:13], s[20:21] offset:16
	global_store_dwordx4 v48, v[14:17], s[20:21] offset:32
	;; [unrolled: 1-line block ×3, first 2 shown]
	s_and_saveexec_b32 s5, s4
	s_cbranch_execz .LBB4_98
; %bb.91:                               ;   in Loop: Header=BB4_33 Depth=1
	s_clause 0x1
	global_load_dwordx2 v[14:15], v7, s[26:27] offset:32 glc dlc
	global_load_dwordx2 v[0:1], v7, s[26:27] offset:40
	v_mov_b32_e32 v12, s18
	v_mov_b32_e32 v13, s19
	s_waitcnt vmcnt(0)
	v_readfirstlane_b32 s20, v0
	v_readfirstlane_b32 s21, v1
	s_and_b64 s[20:21], s[20:21], s[18:19]
	s_mul_i32 s21, s21, 24
	s_mul_hi_u32 s22, s20, 24
	s_mul_i32 s20, s20, 24
	s_add_i32 s22, s22, s21
	v_add_co_u32 v10, vcc_lo, v22, s20
	v_add_co_ci_u32_e32 v11, vcc_lo, s22, v23, vcc_lo
	s_mov_b32 s20, exec_lo
	global_store_dwordx2 v[10:11], v[14:15], off
	s_waitcnt_vscnt null, 0x0
	global_atomic_cmpswap_x2 v[2:3], v7, v[12:15], s[26:27] offset:32 glc
	s_waitcnt vmcnt(0)
	v_cmpx_ne_u64_e64 v[2:3], v[14:15]
	s_cbranch_execz .LBB4_94
; %bb.92:                               ;   in Loop: Header=BB4_33 Depth=1
	s_mov_b32 s21, 0
.LBB4_93:                               ;   Parent Loop BB4_33 Depth=1
                                        ; =>  This Inner Loop Header: Depth=2
	v_mov_b32_e32 v0, s18
	v_mov_b32_e32 v1, s19
	s_sleep 1
	global_store_dwordx2 v[10:11], v[2:3], off
	s_waitcnt_vscnt null, 0x0
	global_atomic_cmpswap_x2 v[0:1], v7, v[0:3], s[26:27] offset:32 glc
	s_waitcnt vmcnt(0)
	v_cmp_eq_u64_e32 vcc_lo, v[0:1], v[2:3]
	v_mov_b32_e32 v3, v1
	v_mov_b32_e32 v2, v0
	s_or_b32 s21, vcc_lo, s21
	s_andn2_b32 exec_lo, exec_lo, s21
	s_cbranch_execnz .LBB4_93
.LBB4_94:                               ;   in Loop: Header=BB4_33 Depth=1
	s_or_b32 exec_lo, exec_lo, s20
	global_load_dwordx2 v[0:1], v7, s[26:27] offset:16
	s_mov_b32 s21, exec_lo
	s_mov_b32 s20, exec_lo
	v_mbcnt_lo_u32_b32 v2, s21, 0
	v_cmpx_eq_u32_e32 0, v2
	s_cbranch_execz .LBB4_96
; %bb.95:                               ;   in Loop: Header=BB4_33 Depth=1
	s_bcnt1_i32_b32 s21, s21
	v_mov_b32_e32 v6, s21
	s_waitcnt vmcnt(0)
	global_atomic_add_x2 v[0:1], v[6:7], off offset:8
.LBB4_96:                               ;   in Loop: Header=BB4_33 Depth=1
	s_or_b32 exec_lo, exec_lo, s20
	s_waitcnt vmcnt(0)
	global_load_dwordx2 v[2:3], v[0:1], off offset:16
	s_waitcnt vmcnt(0)
	v_cmp_eq_u64_e32 vcc_lo, 0, v[2:3]
	s_cbranch_vccnz .LBB4_98
; %bb.97:                               ;   in Loop: Header=BB4_33 Depth=1
	global_load_dword v6, v[0:1], off offset:24
	s_waitcnt vmcnt(0)
	v_and_b32_e32 v0, 0x7fffff, v6
	s_waitcnt_vscnt null, 0x0
	global_store_dwordx2 v[2:3], v[6:7], off
	v_readfirstlane_b32 m0, v0
	s_sendmsg sendmsg(MSG_INTERRUPT)
.LBB4_98:                               ;   in Loop: Header=BB4_33 Depth=1
	s_or_b32 exec_lo, exec_lo, s5
	v_add_co_u32 v0, vcc_lo, v24, v48
	v_add_co_ci_u32_e32 v1, vcc_lo, 0, v25, vcc_lo
	s_branch .LBB4_102
	.p2align	6
.LBB4_99:                               ;   in Loop: Header=BB4_102 Depth=2
	s_or_b32 exec_lo, exec_lo, s5
	v_readfirstlane_b32 s5, v2
	s_cmp_eq_u32 s5, 0
	s_cbranch_scc1 .LBB4_101
; %bb.100:                              ;   in Loop: Header=BB4_102 Depth=2
	s_sleep 1
	s_cbranch_execnz .LBB4_102
	s_branch .LBB4_104
	.p2align	6
.LBB4_101:                              ;   in Loop: Header=BB4_33 Depth=1
	s_branch .LBB4_104
.LBB4_102:                              ;   Parent Loop BB4_33 Depth=1
                                        ; =>  This Inner Loop Header: Depth=2
	v_mov_b32_e32 v2, 1
	s_and_saveexec_b32 s5, s4
	s_cbranch_execz .LBB4_99
; %bb.103:                              ;   in Loop: Header=BB4_102 Depth=2
	global_load_dword v2, v[26:27], off offset:20 glc dlc
	s_waitcnt vmcnt(0)
	buffer_gl1_inv
	buffer_gl0_inv
	v_and_b32_e32 v2, 1, v2
	s_branch .LBB4_99
.LBB4_104:                              ;   in Loop: Header=BB4_33 Depth=1
	global_load_dwordx4 v[0:3], v[0:1], off
	s_and_saveexec_b32 s5, s4
	s_cbranch_execz .LBB4_32
; %bb.105:                              ;   in Loop: Header=BB4_33 Depth=1
	s_clause 0x2
	global_load_dwordx2 v[2:3], v7, s[26:27] offset:40
	global_load_dwordx2 v[14:15], v7, s[26:27] offset:24 glc dlc
	global_load_dwordx2 v[12:13], v7, s[26:27]
	s_waitcnt vmcnt(2)
	v_add_co_u32 v6, vcc_lo, v2, 1
	v_add_co_ci_u32_e32 v16, vcc_lo, 0, v3, vcc_lo
	v_add_co_u32 v10, vcc_lo, v6, s18
	v_add_co_ci_u32_e32 v11, vcc_lo, s19, v16, vcc_lo
	v_cmp_eq_u64_e32 vcc_lo, 0, v[10:11]
	v_cndmask_b32_e32 v11, v11, v16, vcc_lo
	v_cndmask_b32_e32 v10, v10, v6, vcc_lo
	v_and_b32_e32 v3, v11, v3
	v_and_b32_e32 v2, v10, v2
	v_mul_lo_u32 v3, v3, 24
	v_mul_hi_u32 v6, v2, 24
	v_mul_lo_u32 v2, v2, 24
	v_add_nc_u32_e32 v3, v6, v3
	s_waitcnt vmcnt(0)
	v_add_co_u32 v2, vcc_lo, v12, v2
	v_mov_b32_e32 v12, v14
	v_add_co_ci_u32_e32 v3, vcc_lo, v13, v3, vcc_lo
	v_mov_b32_e32 v13, v15
	global_store_dwordx2 v[2:3], v[14:15], off
	s_waitcnt_vscnt null, 0x0
	global_atomic_cmpswap_x2 v[12:13], v7, v[10:13], s[26:27] offset:24 glc
	s_waitcnt vmcnt(0)
	v_cmp_ne_u64_e32 vcc_lo, v[12:13], v[14:15]
	s_and_b32 exec_lo, exec_lo, vcc_lo
	s_cbranch_execz .LBB4_32
; %bb.106:                              ;   in Loop: Header=BB4_33 Depth=1
	s_mov_b32 s4, 0
.LBB4_107:                              ;   Parent Loop BB4_33 Depth=1
                                        ; =>  This Inner Loop Header: Depth=2
	s_sleep 1
	global_store_dwordx2 v[2:3], v[12:13], off
	s_waitcnt_vscnt null, 0x0
	global_atomic_cmpswap_x2 v[14:15], v7, v[10:13], s[26:27] offset:24 glc
	s_waitcnt vmcnt(0)
	v_cmp_eq_u64_e32 vcc_lo, v[14:15], v[12:13]
	v_mov_b32_e32 v12, v14
	v_mov_b32_e32 v13, v15
	s_or_b32 s4, vcc_lo, s4
	s_andn2_b32 exec_lo, exec_lo, s4
	s_cbranch_execnz .LBB4_107
	s_branch .LBB4_32
.LBB4_108:
	s_branch .LBB4_137
.LBB4_109:
                                        ; implicit-def: $vgpr0_vgpr1
	s_cbranch_execz .LBB4_137
; %bb.110:
	v_readfirstlane_b32 s4, v49
	v_mov_b32_e32 v7, 0
	v_mov_b32_e32 v8, 0
	v_cmp_eq_u32_e64 s4, s4, v49
	s_and_saveexec_b32 s5, s4
	s_cbranch_execz .LBB4_116
; %bb.111:
	s_waitcnt vmcnt(0)
	v_mov_b32_e32 v0, 0
	s_mov_b32 s6, exec_lo
	global_load_dwordx2 v[9:10], v0, s[26:27] offset:24 glc dlc
	s_waitcnt vmcnt(0)
	buffer_gl1_inv
	buffer_gl0_inv
	s_clause 0x1
	global_load_dwordx2 v[1:2], v0, s[26:27] offset:40
	global_load_dwordx2 v[6:7], v0, s[26:27]
	s_waitcnt vmcnt(1)
	v_and_b32_e32 v2, v2, v10
	v_and_b32_e32 v1, v1, v9
	v_mul_lo_u32 v2, v2, 24
	v_mul_hi_u32 v3, v1, 24
	v_mul_lo_u32 v1, v1, 24
	v_add_nc_u32_e32 v2, v3, v2
	s_waitcnt vmcnt(0)
	v_add_co_u32 v1, vcc_lo, v6, v1
	v_add_co_ci_u32_e32 v2, vcc_lo, v7, v2, vcc_lo
	global_load_dwordx2 v[7:8], v[1:2], off glc dlc
	s_waitcnt vmcnt(0)
	global_atomic_cmpswap_x2 v[7:8], v0, v[7:10], s[26:27] offset:24 glc
	s_waitcnt vmcnt(0)
	buffer_gl1_inv
	buffer_gl0_inv
	v_cmpx_ne_u64_e64 v[7:8], v[9:10]
	s_cbranch_execz .LBB4_115
; %bb.112:
	s_mov_b32 s7, 0
	.p2align	6
.LBB4_113:                              ; =>This Inner Loop Header: Depth=1
	s_sleep 1
	s_clause 0x1
	global_load_dwordx2 v[1:2], v0, s[26:27] offset:40
	global_load_dwordx2 v[11:12], v0, s[26:27]
	v_mov_b32_e32 v10, v8
	v_mov_b32_e32 v9, v7
	s_waitcnt vmcnt(1)
	v_and_b32_e32 v1, v1, v9
	v_and_b32_e32 v2, v2, v10
	s_waitcnt vmcnt(0)
	v_mad_u64_u32 v[6:7], null, v1, 24, v[11:12]
	v_mov_b32_e32 v1, v7
	v_mad_u64_u32 v[1:2], null, v2, 24, v[1:2]
	v_mov_b32_e32 v7, v1
	global_load_dwordx2 v[7:8], v[6:7], off glc dlc
	s_waitcnt vmcnt(0)
	global_atomic_cmpswap_x2 v[7:8], v0, v[7:10], s[26:27] offset:24 glc
	s_waitcnt vmcnt(0)
	buffer_gl1_inv
	buffer_gl0_inv
	v_cmp_eq_u64_e32 vcc_lo, v[7:8], v[9:10]
	s_or_b32 s7, vcc_lo, s7
	s_andn2_b32 exec_lo, exec_lo, s7
	s_cbranch_execnz .LBB4_113
; %bb.114:
	s_or_b32 exec_lo, exec_lo, s7
.LBB4_115:
	s_or_b32 exec_lo, exec_lo, s6
.LBB4_116:
	s_or_b32 exec_lo, exec_lo, s5
	v_mov_b32_e32 v6, 0
	v_readfirstlane_b32 s6, v7
	v_readfirstlane_b32 s7, v8
	s_mov_b32 s5, exec_lo
	s_clause 0x1
	global_load_dwordx2 v[9:10], v6, s[26:27] offset:40
	global_load_dwordx4 v[0:3], v6, s[26:27]
	s_waitcnt vmcnt(1)
	v_readfirstlane_b32 s10, v9
	v_readfirstlane_b32 s11, v10
	s_and_b64 s[10:11], s[6:7], s[10:11]
	s_mul_i32 s16, s11, 24
	s_mul_hi_u32 s17, s10, 24
	s_mul_i32 s18, s10, 24
	s_add_i32 s17, s17, s16
	s_waitcnt vmcnt(0)
	v_add_co_u32 v8, vcc_lo, v0, s18
	v_add_co_ci_u32_e32 v9, vcc_lo, s17, v1, vcc_lo
	s_and_saveexec_b32 s16, s4
	s_cbranch_execz .LBB4_118
; %bb.117:
	v_mov_b32_e32 v10, s5
	v_mov_b32_e32 v11, v6
	v_mov_b32_e32 v12, 2
	v_mov_b32_e32 v13, 1
	global_store_dwordx4 v[8:9], v[10:13], off offset:8
.LBB4_118:
	s_or_b32 exec_lo, exec_lo, s16
	s_lshl_b64 s[10:11], s[10:11], 12
	s_mov_b32 s16, 0
	v_add_co_u32 v2, vcc_lo, v2, s10
	v_add_co_ci_u32_e32 v3, vcc_lo, s11, v3, vcc_lo
	s_mov_b32 s17, s16
	v_add_co_u32 v10, vcc_lo, v2, v48
	s_mov_b32 s18, s16
	s_mov_b32 s19, s16
	v_and_or_b32 v4, 0xffffff1f, v4, 32
	v_mov_b32_e32 v7, v6
	v_readfirstlane_b32 s10, v2
	v_readfirstlane_b32 s11, v3
	v_mov_b32_e32 v12, s16
	v_add_co_ci_u32_e32 v11, vcc_lo, 0, v3, vcc_lo
	v_mov_b32_e32 v13, s17
	v_mov_b32_e32 v14, s18
	;; [unrolled: 1-line block ×3, first 2 shown]
	global_store_dwordx4 v48, v[4:7], s[10:11]
	global_store_dwordx4 v48, v[12:15], s[10:11] offset:16
	global_store_dwordx4 v48, v[12:15], s[10:11] offset:32
	;; [unrolled: 1-line block ×3, first 2 shown]
	s_and_saveexec_b32 s5, s4
	s_cbranch_execz .LBB4_126
; %bb.119:
	v_mov_b32_e32 v6, 0
	v_mov_b32_e32 v12, s6
	;; [unrolled: 1-line block ×3, first 2 shown]
	s_clause 0x1
	global_load_dwordx2 v[14:15], v6, s[26:27] offset:32 glc dlc
	global_load_dwordx2 v[2:3], v6, s[26:27] offset:40
	s_waitcnt vmcnt(0)
	v_readfirstlane_b32 s10, v2
	v_readfirstlane_b32 s11, v3
	s_and_b64 s[10:11], s[10:11], s[6:7]
	s_mul_i32 s11, s11, 24
	s_mul_hi_u32 s16, s10, 24
	s_mul_i32 s10, s10, 24
	s_add_i32 s16, s16, s11
	v_add_co_u32 v4, vcc_lo, v0, s10
	v_add_co_ci_u32_e32 v5, vcc_lo, s16, v1, vcc_lo
	s_mov_b32 s10, exec_lo
	global_store_dwordx2 v[4:5], v[14:15], off
	s_waitcnt_vscnt null, 0x0
	global_atomic_cmpswap_x2 v[2:3], v6, v[12:15], s[26:27] offset:32 glc
	s_waitcnt vmcnt(0)
	v_cmpx_ne_u64_e64 v[2:3], v[14:15]
	s_cbranch_execz .LBB4_122
; %bb.120:
	s_mov_b32 s11, 0
.LBB4_121:                              ; =>This Inner Loop Header: Depth=1
	v_mov_b32_e32 v0, s6
	v_mov_b32_e32 v1, s7
	s_sleep 1
	global_store_dwordx2 v[4:5], v[2:3], off
	s_waitcnt_vscnt null, 0x0
	global_atomic_cmpswap_x2 v[0:1], v6, v[0:3], s[26:27] offset:32 glc
	s_waitcnt vmcnt(0)
	v_cmp_eq_u64_e32 vcc_lo, v[0:1], v[2:3]
	v_mov_b32_e32 v3, v1
	v_mov_b32_e32 v2, v0
	s_or_b32 s11, vcc_lo, s11
	s_andn2_b32 exec_lo, exec_lo, s11
	s_cbranch_execnz .LBB4_121
.LBB4_122:
	s_or_b32 exec_lo, exec_lo, s10
	v_mov_b32_e32 v3, 0
	s_mov_b32 s11, exec_lo
	s_mov_b32 s10, exec_lo
	v_mbcnt_lo_u32_b32 v2, s11, 0
	global_load_dwordx2 v[0:1], v3, s[26:27] offset:16
	v_cmpx_eq_u32_e32 0, v2
	s_cbranch_execz .LBB4_124
; %bb.123:
	s_bcnt1_i32_b32 s11, s11
	v_mov_b32_e32 v2, s11
	s_waitcnt vmcnt(0)
	global_atomic_add_x2 v[0:1], v[2:3], off offset:8
.LBB4_124:
	s_or_b32 exec_lo, exec_lo, s10
	s_waitcnt vmcnt(0)
	global_load_dwordx2 v[2:3], v[0:1], off offset:16
	s_waitcnt vmcnt(0)
	v_cmp_eq_u64_e32 vcc_lo, 0, v[2:3]
	s_cbranch_vccnz .LBB4_126
; %bb.125:
	global_load_dword v0, v[0:1], off offset:24
	v_mov_b32_e32 v1, 0
	s_waitcnt vmcnt(0)
	v_and_b32_e32 v4, 0x7fffff, v0
	s_waitcnt_vscnt null, 0x0
	global_store_dwordx2 v[2:3], v[0:1], off
	v_readfirstlane_b32 m0, v4
	s_sendmsg sendmsg(MSG_INTERRUPT)
.LBB4_126:
	s_or_b32 exec_lo, exec_lo, s5
	s_branch .LBB4_130
	.p2align	6
.LBB4_127:                              ;   in Loop: Header=BB4_130 Depth=1
	s_or_b32 exec_lo, exec_lo, s5
	v_readfirstlane_b32 s5, v0
	s_cmp_eq_u32 s5, 0
	s_cbranch_scc1 .LBB4_129
; %bb.128:                              ;   in Loop: Header=BB4_130 Depth=1
	s_sleep 1
	s_cbranch_execnz .LBB4_130
	s_branch .LBB4_132
	.p2align	6
.LBB4_129:
	s_branch .LBB4_132
.LBB4_130:                              ; =>This Inner Loop Header: Depth=1
	v_mov_b32_e32 v0, 1
	s_and_saveexec_b32 s5, s4
	s_cbranch_execz .LBB4_127
; %bb.131:                              ;   in Loop: Header=BB4_130 Depth=1
	global_load_dword v0, v[8:9], off offset:20 glc dlc
	s_waitcnt vmcnt(0)
	buffer_gl1_inv
	buffer_gl0_inv
	v_and_b32_e32 v0, 1, v0
	s_branch .LBB4_127
.LBB4_132:
	global_load_dwordx2 v[0:1], v[10:11], off
	s_and_saveexec_b32 s5, s4
	s_cbranch_execz .LBB4_136
; %bb.133:
	v_mov_b32_e32 v8, 0
	s_clause 0x2
	global_load_dwordx2 v[4:5], v8, s[26:27] offset:40
	global_load_dwordx2 v[9:10], v8, s[26:27] offset:24 glc dlc
	global_load_dwordx2 v[6:7], v8, s[26:27]
	s_waitcnt vmcnt(2)
	v_add_co_u32 v11, vcc_lo, v4, 1
	v_add_co_ci_u32_e32 v12, vcc_lo, 0, v5, vcc_lo
	v_add_co_u32 v2, vcc_lo, v11, s6
	v_add_co_ci_u32_e32 v3, vcc_lo, s7, v12, vcc_lo
	v_cmp_eq_u64_e32 vcc_lo, 0, v[2:3]
	v_cndmask_b32_e32 v3, v3, v12, vcc_lo
	v_cndmask_b32_e32 v2, v2, v11, vcc_lo
	v_and_b32_e32 v5, v3, v5
	v_and_b32_e32 v4, v2, v4
	v_mul_lo_u32 v5, v5, 24
	v_mul_hi_u32 v11, v4, 24
	v_mul_lo_u32 v4, v4, 24
	v_add_nc_u32_e32 v5, v11, v5
	s_waitcnt vmcnt(0)
	v_add_co_u32 v6, vcc_lo, v6, v4
	v_mov_b32_e32 v4, v9
	v_add_co_ci_u32_e32 v7, vcc_lo, v7, v5, vcc_lo
	v_mov_b32_e32 v5, v10
	global_store_dwordx2 v[6:7], v[9:10], off
	s_waitcnt_vscnt null, 0x0
	global_atomic_cmpswap_x2 v[4:5], v8, v[2:5], s[26:27] offset:24 glc
	s_waitcnt vmcnt(0)
	v_cmp_ne_u64_e32 vcc_lo, v[4:5], v[9:10]
	s_and_b32 exec_lo, exec_lo, vcc_lo
	s_cbranch_execz .LBB4_136
; %bb.134:
	s_mov_b32 s4, 0
.LBB4_135:                              ; =>This Inner Loop Header: Depth=1
	s_sleep 1
	global_store_dwordx2 v[6:7], v[4:5], off
	s_waitcnt_vscnt null, 0x0
	global_atomic_cmpswap_x2 v[9:10], v8, v[2:5], s[26:27] offset:24 glc
	s_waitcnt vmcnt(0)
	v_cmp_eq_u64_e32 vcc_lo, v[9:10], v[4:5]
	v_mov_b32_e32 v4, v9
	v_mov_b32_e32 v5, v10
	s_or_b32 s4, vcc_lo, s4
	s_andn2_b32 exec_lo, exec_lo, s4
	s_cbranch_execnz .LBB4_135
.LBB4_136:
	s_or_b32 exec_lo, exec_lo, s5
.LBB4_137:
	s_getpc_b64 s[6:7]
	s_add_u32 s6, s6, __PRETTY_FUNCTION__._ZL31upper_bound_multiple_duplicatesRN8migraphx4test12test_managerE@rel32@lo+4
	s_addc_u32 s7, s7, __PRETTY_FUNCTION__._ZL31upper_bound_multiple_duplicatesRN8migraphx4test12test_managerE@rel32@hi+12
	s_cmp_lg_u64 s[6:7], 0
	s_cbranch_scc0 .LBB4_216
; %bb.138:
	s_waitcnt vmcnt(0)
	v_and_b32_e32 v6, -3, v0
	v_mov_b32_e32 v7, v1
	v_mov_b32_e32 v3, 0
	;; [unrolled: 1-line block ×4, first 2 shown]
	s_mov_b64 s[10:11], 0x45
	s_branch .LBB4_140
.LBB4_139:                              ;   in Loop: Header=BB4_140 Depth=1
	s_or_b32 exec_lo, exec_lo, s5
	s_sub_u32 s10, s10, s16
	s_subb_u32 s11, s11, s17
	s_add_u32 s6, s6, s16
	s_addc_u32 s7, s7, s17
	s_cmp_lg_u64 s[10:11], 0
	s_cbranch_scc0 .LBB4_215
.LBB4_140:                              ; =>This Loop Header: Depth=1
                                        ;     Child Loop BB4_149 Depth 2
                                        ;     Child Loop BB4_145 Depth 2
	;; [unrolled: 1-line block ×11, first 2 shown]
	v_cmp_lt_u64_e64 s4, s[10:11], 56
	v_cmp_gt_u64_e64 s5, s[10:11], 7
                                        ; implicit-def: $sgpr22
	s_and_b32 s4, s4, exec_lo
	s_cselect_b32 s17, s11, 0
	s_cselect_b32 s16, s10, 56
	s_and_b32 vcc_lo, exec_lo, s5
	s_mov_b32 s4, -1
	s_cbranch_vccz .LBB4_147
; %bb.141:                              ;   in Loop: Header=BB4_140 Depth=1
	s_andn2_b32 vcc_lo, exec_lo, s4
	s_mov_b64 s[4:5], s[6:7]
	s_cbranch_vccz .LBB4_151
.LBB4_142:                              ;   in Loop: Header=BB4_140 Depth=1
	s_cmp_gt_u32 s22, 7
	s_cbranch_scc1 .LBB4_152
.LBB4_143:                              ;   in Loop: Header=BB4_140 Depth=1
	v_mov_b32_e32 v10, 0
	v_mov_b32_e32 v11, 0
	s_cmp_eq_u32 s22, 0
	s_cbranch_scc1 .LBB4_146
; %bb.144:                              ;   in Loop: Header=BB4_140 Depth=1
	s_mov_b64 s[18:19], 0
	s_mov_b64 s[20:21], 0
.LBB4_145:                              ;   Parent Loop BB4_140 Depth=1
                                        ; =>  This Inner Loop Header: Depth=2
	s_add_u32 s24, s4, s20
	s_addc_u32 s25, s5, s21
	s_add_u32 s20, s20, 1
	global_load_ubyte v2, v3, s[24:25]
	s_addc_u32 s21, s21, 0
	s_waitcnt vmcnt(0)
	v_and_b32_e32 v2, 0xffff, v2
	v_lshlrev_b64 v[12:13], s18, v[2:3]
	s_add_u32 s18, s18, 8
	s_addc_u32 s19, s19, 0
	s_cmp_lg_u32 s22, s20
	v_or_b32_e32 v10, v12, v10
	v_or_b32_e32 v11, v13, v11
	s_cbranch_scc1 .LBB4_145
.LBB4_146:                              ;   in Loop: Header=BB4_140 Depth=1
	s_mov_b32 s23, 0
	s_cbranch_execz .LBB4_153
	s_branch .LBB4_154
.LBB4_147:                              ;   in Loop: Header=BB4_140 Depth=1
	s_waitcnt vmcnt(0)
	v_mov_b32_e32 v8, 0
	v_mov_b32_e32 v9, 0
	s_cmp_eq_u64 s[10:11], 0
	s_mov_b64 s[4:5], 0
	s_cbranch_scc1 .LBB4_150
; %bb.148:                              ;   in Loop: Header=BB4_140 Depth=1
	v_mov_b32_e32 v8, 0
	v_mov_b32_e32 v9, 0
	s_lshl_b64 s[18:19], s[16:17], 3
	s_mov_b64 s[20:21], s[6:7]
.LBB4_149:                              ;   Parent Loop BB4_140 Depth=1
                                        ; =>  This Inner Loop Header: Depth=2
	global_load_ubyte v2, v3, s[20:21]
	s_waitcnt vmcnt(0)
	v_and_b32_e32 v2, 0xffff, v2
	v_lshlrev_b64 v[10:11], s4, v[2:3]
	s_add_u32 s4, s4, 8
	s_addc_u32 s5, s5, 0
	s_add_u32 s20, s20, 1
	s_addc_u32 s21, s21, 0
	s_cmp_lg_u32 s18, s4
	v_or_b32_e32 v8, v10, v8
	v_or_b32_e32 v9, v11, v9
	s_cbranch_scc1 .LBB4_149
.LBB4_150:                              ;   in Loop: Header=BB4_140 Depth=1
	s_mov_b32 s22, 0
	s_mov_b64 s[4:5], s[6:7]
	s_cbranch_execnz .LBB4_142
.LBB4_151:                              ;   in Loop: Header=BB4_140 Depth=1
	global_load_dwordx2 v[8:9], v3, s[6:7]
	s_add_i32 s22, s16, -8
	s_add_u32 s4, s6, 8
	s_addc_u32 s5, s7, 0
	s_cmp_gt_u32 s22, 7
	s_cbranch_scc0 .LBB4_143
.LBB4_152:                              ;   in Loop: Header=BB4_140 Depth=1
                                        ; implicit-def: $vgpr10_vgpr11
                                        ; implicit-def: $sgpr23
.LBB4_153:                              ;   in Loop: Header=BB4_140 Depth=1
	global_load_dwordx2 v[10:11], v3, s[4:5]
	s_add_i32 s23, s22, -8
	s_add_u32 s4, s4, 8
	s_addc_u32 s5, s5, 0
.LBB4_154:                              ;   in Loop: Header=BB4_140 Depth=1
	s_cmp_gt_u32 s23, 7
	s_cbranch_scc1 .LBB4_159
; %bb.155:                              ;   in Loop: Header=BB4_140 Depth=1
	v_mov_b32_e32 v12, 0
	v_mov_b32_e32 v13, 0
	s_cmp_eq_u32 s23, 0
	s_cbranch_scc1 .LBB4_158
; %bb.156:                              ;   in Loop: Header=BB4_140 Depth=1
	s_mov_b64 s[18:19], 0
	s_mov_b64 s[20:21], 0
.LBB4_157:                              ;   Parent Loop BB4_140 Depth=1
                                        ; =>  This Inner Loop Header: Depth=2
	s_add_u32 s24, s4, s20
	s_addc_u32 s25, s5, s21
	s_add_u32 s20, s20, 1
	global_load_ubyte v2, v3, s[24:25]
	s_addc_u32 s21, s21, 0
	s_waitcnt vmcnt(0)
	v_and_b32_e32 v2, 0xffff, v2
	v_lshlrev_b64 v[14:15], s18, v[2:3]
	s_add_u32 s18, s18, 8
	s_addc_u32 s19, s19, 0
	s_cmp_lg_u32 s23, s20
	v_or_b32_e32 v12, v14, v12
	v_or_b32_e32 v13, v15, v13
	s_cbranch_scc1 .LBB4_157
.LBB4_158:                              ;   in Loop: Header=BB4_140 Depth=1
	s_mov_b32 s22, 0
	s_cbranch_execz .LBB4_160
	s_branch .LBB4_161
.LBB4_159:                              ;   in Loop: Header=BB4_140 Depth=1
                                        ; implicit-def: $sgpr22
.LBB4_160:                              ;   in Loop: Header=BB4_140 Depth=1
	global_load_dwordx2 v[12:13], v3, s[4:5]
	s_add_i32 s22, s23, -8
	s_add_u32 s4, s4, 8
	s_addc_u32 s5, s5, 0
.LBB4_161:                              ;   in Loop: Header=BB4_140 Depth=1
	s_cmp_gt_u32 s22, 7
	s_cbranch_scc1 .LBB4_166
; %bb.162:                              ;   in Loop: Header=BB4_140 Depth=1
	v_mov_b32_e32 v14, 0
	v_mov_b32_e32 v15, 0
	s_cmp_eq_u32 s22, 0
	s_cbranch_scc1 .LBB4_165
; %bb.163:                              ;   in Loop: Header=BB4_140 Depth=1
	s_mov_b64 s[18:19], 0
	s_mov_b64 s[20:21], 0
.LBB4_164:                              ;   Parent Loop BB4_140 Depth=1
                                        ; =>  This Inner Loop Header: Depth=2
	s_add_u32 s24, s4, s20
	s_addc_u32 s25, s5, s21
	s_add_u32 s20, s20, 1
	global_load_ubyte v2, v3, s[24:25]
	s_addc_u32 s21, s21, 0
	s_waitcnt vmcnt(0)
	v_and_b32_e32 v2, 0xffff, v2
	v_lshlrev_b64 v[16:17], s18, v[2:3]
	s_add_u32 s18, s18, 8
	s_addc_u32 s19, s19, 0
	s_cmp_lg_u32 s22, s20
	v_or_b32_e32 v14, v16, v14
	v_or_b32_e32 v15, v17, v15
	s_cbranch_scc1 .LBB4_164
.LBB4_165:                              ;   in Loop: Header=BB4_140 Depth=1
	s_mov_b32 s23, 0
	s_cbranch_execz .LBB4_167
	s_branch .LBB4_168
.LBB4_166:                              ;   in Loop: Header=BB4_140 Depth=1
                                        ; implicit-def: $vgpr14_vgpr15
                                        ; implicit-def: $sgpr23
.LBB4_167:                              ;   in Loop: Header=BB4_140 Depth=1
	global_load_dwordx2 v[14:15], v3, s[4:5]
	s_add_i32 s23, s22, -8
	s_add_u32 s4, s4, 8
	s_addc_u32 s5, s5, 0
.LBB4_168:                              ;   in Loop: Header=BB4_140 Depth=1
	s_cmp_gt_u32 s23, 7
	s_cbranch_scc1 .LBB4_173
; %bb.169:                              ;   in Loop: Header=BB4_140 Depth=1
	v_mov_b32_e32 v16, 0
	v_mov_b32_e32 v17, 0
	s_cmp_eq_u32 s23, 0
	s_cbranch_scc1 .LBB4_172
; %bb.170:                              ;   in Loop: Header=BB4_140 Depth=1
	s_mov_b64 s[18:19], 0
	s_mov_b64 s[20:21], 0
.LBB4_171:                              ;   Parent Loop BB4_140 Depth=1
                                        ; =>  This Inner Loop Header: Depth=2
	s_add_u32 s24, s4, s20
	s_addc_u32 s25, s5, s21
	s_add_u32 s20, s20, 1
	global_load_ubyte v2, v3, s[24:25]
	s_addc_u32 s21, s21, 0
	s_waitcnt vmcnt(0)
	v_and_b32_e32 v2, 0xffff, v2
	v_lshlrev_b64 v[18:19], s18, v[2:3]
	s_add_u32 s18, s18, 8
	s_addc_u32 s19, s19, 0
	s_cmp_lg_u32 s23, s20
	v_or_b32_e32 v16, v18, v16
	v_or_b32_e32 v17, v19, v17
	s_cbranch_scc1 .LBB4_171
.LBB4_172:                              ;   in Loop: Header=BB4_140 Depth=1
	s_mov_b32 s22, 0
	s_cbranch_execz .LBB4_174
	s_branch .LBB4_175
.LBB4_173:                              ;   in Loop: Header=BB4_140 Depth=1
                                        ; implicit-def: $sgpr22
.LBB4_174:                              ;   in Loop: Header=BB4_140 Depth=1
	global_load_dwordx2 v[16:17], v3, s[4:5]
	s_add_i32 s22, s23, -8
	s_add_u32 s4, s4, 8
	s_addc_u32 s5, s5, 0
.LBB4_175:                              ;   in Loop: Header=BB4_140 Depth=1
	s_cmp_gt_u32 s22, 7
	s_cbranch_scc1 .LBB4_180
; %bb.176:                              ;   in Loop: Header=BB4_140 Depth=1
	v_mov_b32_e32 v18, 0
	v_mov_b32_e32 v19, 0
	s_cmp_eq_u32 s22, 0
	s_cbranch_scc1 .LBB4_179
; %bb.177:                              ;   in Loop: Header=BB4_140 Depth=1
	s_mov_b64 s[18:19], 0
	s_mov_b64 s[20:21], 0
.LBB4_178:                              ;   Parent Loop BB4_140 Depth=1
                                        ; =>  This Inner Loop Header: Depth=2
	s_add_u32 s24, s4, s20
	s_addc_u32 s25, s5, s21
	s_add_u32 s20, s20, 1
	global_load_ubyte v2, v3, s[24:25]
	s_addc_u32 s21, s21, 0
	s_waitcnt vmcnt(0)
	v_and_b32_e32 v2, 0xffff, v2
	v_lshlrev_b64 v[20:21], s18, v[2:3]
	s_add_u32 s18, s18, 8
	s_addc_u32 s19, s19, 0
	s_cmp_lg_u32 s22, s20
	v_or_b32_e32 v18, v20, v18
	v_or_b32_e32 v19, v21, v19
	s_cbranch_scc1 .LBB4_178
.LBB4_179:                              ;   in Loop: Header=BB4_140 Depth=1
	s_mov_b32 s23, 0
	s_cbranch_execz .LBB4_181
	s_branch .LBB4_182
.LBB4_180:                              ;   in Loop: Header=BB4_140 Depth=1
                                        ; implicit-def: $vgpr18_vgpr19
                                        ; implicit-def: $sgpr23
.LBB4_181:                              ;   in Loop: Header=BB4_140 Depth=1
	global_load_dwordx2 v[18:19], v3, s[4:5]
	s_add_i32 s23, s22, -8
	s_add_u32 s4, s4, 8
	s_addc_u32 s5, s5, 0
.LBB4_182:                              ;   in Loop: Header=BB4_140 Depth=1
	s_cmp_gt_u32 s23, 7
	s_cbranch_scc1 .LBB4_187
; %bb.183:                              ;   in Loop: Header=BB4_140 Depth=1
	v_mov_b32_e32 v20, 0
	v_mov_b32_e32 v21, 0
	s_cmp_eq_u32 s23, 0
	s_cbranch_scc1 .LBB4_186
; %bb.184:                              ;   in Loop: Header=BB4_140 Depth=1
	s_mov_b64 s[18:19], 0
	s_mov_b64 s[20:21], s[4:5]
.LBB4_185:                              ;   Parent Loop BB4_140 Depth=1
                                        ; =>  This Inner Loop Header: Depth=2
	global_load_ubyte v2, v3, s[20:21]
	s_add_i32 s23, s23, -1
	s_waitcnt vmcnt(0)
	v_and_b32_e32 v2, 0xffff, v2
	v_lshlrev_b64 v[22:23], s18, v[2:3]
	s_add_u32 s18, s18, 8
	s_addc_u32 s19, s19, 0
	s_add_u32 s20, s20, 1
	s_addc_u32 s21, s21, 0
	s_cmp_lg_u32 s23, 0
	v_or_b32_e32 v20, v22, v20
	v_or_b32_e32 v21, v23, v21
	s_cbranch_scc1 .LBB4_185
.LBB4_186:                              ;   in Loop: Header=BB4_140 Depth=1
	s_cbranch_execz .LBB4_188
	s_branch .LBB4_189
.LBB4_187:                              ;   in Loop: Header=BB4_140 Depth=1
.LBB4_188:                              ;   in Loop: Header=BB4_140 Depth=1
	global_load_dwordx2 v[20:21], v3, s[4:5]
.LBB4_189:                              ;   in Loop: Header=BB4_140 Depth=1
	v_readfirstlane_b32 s4, v49
	v_mov_b32_e32 v26, 0
	v_mov_b32_e32 v27, 0
	v_cmp_eq_u32_e64 s4, s4, v49
	s_and_saveexec_b32 s5, s4
	s_cbranch_execz .LBB4_195
; %bb.190:                              ;   in Loop: Header=BB4_140 Depth=1
	global_load_dwordx2 v[24:25], v3, s[26:27] offset:24 glc dlc
	s_waitcnt vmcnt(0)
	buffer_gl1_inv
	buffer_gl0_inv
	s_clause 0x1
	global_load_dwordx2 v[22:23], v3, s[26:27] offset:40
	global_load_dwordx2 v[26:27], v3, s[26:27]
	s_mov_b32 s18, exec_lo
	s_waitcnt vmcnt(1)
	v_and_b32_e32 v2, v23, v25
	v_and_b32_e32 v22, v22, v24
	v_mul_lo_u32 v2, v2, 24
	v_mul_hi_u32 v23, v22, 24
	v_mul_lo_u32 v22, v22, 24
	v_add_nc_u32_e32 v2, v23, v2
	s_waitcnt vmcnt(0)
	v_add_co_u32 v22, vcc_lo, v26, v22
	v_add_co_ci_u32_e32 v23, vcc_lo, v27, v2, vcc_lo
	global_load_dwordx2 v[22:23], v[22:23], off glc dlc
	s_waitcnt vmcnt(0)
	global_atomic_cmpswap_x2 v[26:27], v3, v[22:25], s[26:27] offset:24 glc
	s_waitcnt vmcnt(0)
	buffer_gl1_inv
	buffer_gl0_inv
	v_cmpx_ne_u64_e64 v[26:27], v[24:25]
	s_cbranch_execz .LBB4_194
; %bb.191:                              ;   in Loop: Header=BB4_140 Depth=1
	s_mov_b32 s19, 0
	.p2align	6
.LBB4_192:                              ;   Parent Loop BB4_140 Depth=1
                                        ; =>  This Inner Loop Header: Depth=2
	s_sleep 1
	s_clause 0x1
	global_load_dwordx2 v[22:23], v3, s[26:27] offset:40
	global_load_dwordx2 v[28:29], v3, s[26:27]
	v_mov_b32_e32 v24, v26
	v_mov_b32_e32 v25, v27
	s_waitcnt vmcnt(1)
	v_and_b32_e32 v2, v22, v24
	v_and_b32_e32 v22, v23, v25
	s_waitcnt vmcnt(0)
	v_mad_u64_u32 v[26:27], null, v2, 24, v[28:29]
	v_mov_b32_e32 v2, v27
	v_mad_u64_u32 v[22:23], null, v22, 24, v[2:3]
	v_mov_b32_e32 v27, v22
	global_load_dwordx2 v[22:23], v[26:27], off glc dlc
	s_waitcnt vmcnt(0)
	global_atomic_cmpswap_x2 v[26:27], v3, v[22:25], s[26:27] offset:24 glc
	s_waitcnt vmcnt(0)
	buffer_gl1_inv
	buffer_gl0_inv
	v_cmp_eq_u64_e32 vcc_lo, v[26:27], v[24:25]
	s_or_b32 s19, vcc_lo, s19
	s_andn2_b32 exec_lo, exec_lo, s19
	s_cbranch_execnz .LBB4_192
; %bb.193:                              ;   in Loop: Header=BB4_140 Depth=1
	s_or_b32 exec_lo, exec_lo, s19
.LBB4_194:                              ;   in Loop: Header=BB4_140 Depth=1
	s_or_b32 exec_lo, exec_lo, s18
.LBB4_195:                              ;   in Loop: Header=BB4_140 Depth=1
	s_or_b32 exec_lo, exec_lo, s5
	s_clause 0x1
	global_load_dwordx2 v[28:29], v3, s[26:27] offset:40
	global_load_dwordx4 v[22:25], v3, s[26:27]
	v_readfirstlane_b32 s18, v26
	v_readfirstlane_b32 s19, v27
	s_mov_b32 s5, exec_lo
	s_waitcnt vmcnt(1)
	v_readfirstlane_b32 s20, v28
	v_readfirstlane_b32 s21, v29
	s_and_b64 s[20:21], s[18:19], s[20:21]
	s_mul_i32 s22, s21, 24
	s_mul_hi_u32 s23, s20, 24
	s_mul_i32 s24, s20, 24
	s_add_i32 s23, s23, s22
	s_waitcnt vmcnt(0)
	v_add_co_u32 v26, vcc_lo, v22, s24
	v_add_co_ci_u32_e32 v27, vcc_lo, s23, v23, vcc_lo
	s_and_saveexec_b32 s22, s4
	s_cbranch_execz .LBB4_197
; %bb.196:                              ;   in Loop: Header=BB4_140 Depth=1
	v_mov_b32_e32 v2, s5
	global_store_dwordx4 v[26:27], v[2:5], off offset:8
.LBB4_197:                              ;   in Loop: Header=BB4_140 Depth=1
	s_or_b32 exec_lo, exec_lo, s22
	s_lshl_b64 s[20:21], s[20:21], 12
	v_or_b32_e32 v2, 2, v6
	v_add_co_u32 v24, vcc_lo, v24, s20
	v_add_co_ci_u32_e32 v25, vcc_lo, s21, v25, vcc_lo
	v_cmp_gt_u64_e64 vcc_lo, s[10:11], 56
	s_lshl_b32 s5, s16, 2
	v_readfirstlane_b32 s20, v24
	s_add_i32 s5, s5, 28
	v_readfirstlane_b32 s21, v25
	s_and_b32 s5, s5, 0x1e0
	v_cndmask_b32_e32 v2, v2, v6, vcc_lo
	v_and_or_b32 v6, 0xffffff1f, v2, s5
	global_store_dwordx4 v48, v[10:13], s[20:21] offset:16
	global_store_dwordx4 v48, v[6:9], s[20:21]
	global_store_dwordx4 v48, v[14:17], s[20:21] offset:32
	global_store_dwordx4 v48, v[18:21], s[20:21] offset:48
	s_and_saveexec_b32 s5, s4
	s_cbranch_execz .LBB4_205
; %bb.198:                              ;   in Loop: Header=BB4_140 Depth=1
	s_clause 0x1
	global_load_dwordx2 v[14:15], v3, s[26:27] offset:32 glc dlc
	global_load_dwordx2 v[6:7], v3, s[26:27] offset:40
	v_mov_b32_e32 v12, s18
	v_mov_b32_e32 v13, s19
	s_waitcnt vmcnt(0)
	v_readfirstlane_b32 s20, v6
	v_readfirstlane_b32 s21, v7
	s_and_b64 s[20:21], s[20:21], s[18:19]
	s_mul_i32 s21, s21, 24
	s_mul_hi_u32 s22, s20, 24
	s_mul_i32 s20, s20, 24
	s_add_i32 s22, s22, s21
	v_add_co_u32 v10, vcc_lo, v22, s20
	v_add_co_ci_u32_e32 v11, vcc_lo, s22, v23, vcc_lo
	s_mov_b32 s20, exec_lo
	global_store_dwordx2 v[10:11], v[14:15], off
	s_waitcnt_vscnt null, 0x0
	global_atomic_cmpswap_x2 v[8:9], v3, v[12:15], s[26:27] offset:32 glc
	s_waitcnt vmcnt(0)
	v_cmpx_ne_u64_e64 v[8:9], v[14:15]
	s_cbranch_execz .LBB4_201
; %bb.199:                              ;   in Loop: Header=BB4_140 Depth=1
	s_mov_b32 s21, 0
.LBB4_200:                              ;   Parent Loop BB4_140 Depth=1
                                        ; =>  This Inner Loop Header: Depth=2
	v_mov_b32_e32 v6, s18
	v_mov_b32_e32 v7, s19
	s_sleep 1
	global_store_dwordx2 v[10:11], v[8:9], off
	s_waitcnt_vscnt null, 0x0
	global_atomic_cmpswap_x2 v[6:7], v3, v[6:9], s[26:27] offset:32 glc
	s_waitcnt vmcnt(0)
	v_cmp_eq_u64_e32 vcc_lo, v[6:7], v[8:9]
	v_mov_b32_e32 v9, v7
	v_mov_b32_e32 v8, v6
	s_or_b32 s21, vcc_lo, s21
	s_andn2_b32 exec_lo, exec_lo, s21
	s_cbranch_execnz .LBB4_200
.LBB4_201:                              ;   in Loop: Header=BB4_140 Depth=1
	s_or_b32 exec_lo, exec_lo, s20
	global_load_dwordx2 v[6:7], v3, s[26:27] offset:16
	s_mov_b32 s21, exec_lo
	s_mov_b32 s20, exec_lo
	v_mbcnt_lo_u32_b32 v2, s21, 0
	v_cmpx_eq_u32_e32 0, v2
	s_cbranch_execz .LBB4_203
; %bb.202:                              ;   in Loop: Header=BB4_140 Depth=1
	s_bcnt1_i32_b32 s21, s21
	v_mov_b32_e32 v2, s21
	s_waitcnt vmcnt(0)
	global_atomic_add_x2 v[6:7], v[2:3], off offset:8
.LBB4_203:                              ;   in Loop: Header=BB4_140 Depth=1
	s_or_b32 exec_lo, exec_lo, s20
	s_waitcnt vmcnt(0)
	global_load_dwordx2 v[8:9], v[6:7], off offset:16
	s_waitcnt vmcnt(0)
	v_cmp_eq_u64_e32 vcc_lo, 0, v[8:9]
	s_cbranch_vccnz .LBB4_205
; %bb.204:                              ;   in Loop: Header=BB4_140 Depth=1
	global_load_dword v2, v[6:7], off offset:24
	s_waitcnt vmcnt(0)
	v_and_b32_e32 v6, 0x7fffff, v2
	s_waitcnt_vscnt null, 0x0
	global_store_dwordx2 v[8:9], v[2:3], off
	v_readfirstlane_b32 m0, v6
	s_sendmsg sendmsg(MSG_INTERRUPT)
.LBB4_205:                              ;   in Loop: Header=BB4_140 Depth=1
	s_or_b32 exec_lo, exec_lo, s5
	v_add_co_u32 v6, vcc_lo, v24, v48
	v_add_co_ci_u32_e32 v7, vcc_lo, 0, v25, vcc_lo
	s_branch .LBB4_209
	.p2align	6
.LBB4_206:                              ;   in Loop: Header=BB4_209 Depth=2
	s_or_b32 exec_lo, exec_lo, s5
	v_readfirstlane_b32 s5, v2
	s_cmp_eq_u32 s5, 0
	s_cbranch_scc1 .LBB4_208
; %bb.207:                              ;   in Loop: Header=BB4_209 Depth=2
	s_sleep 1
	s_cbranch_execnz .LBB4_209
	s_branch .LBB4_211
	.p2align	6
.LBB4_208:                              ;   in Loop: Header=BB4_140 Depth=1
	s_branch .LBB4_211
.LBB4_209:                              ;   Parent Loop BB4_140 Depth=1
                                        ; =>  This Inner Loop Header: Depth=2
	v_mov_b32_e32 v2, 1
	s_and_saveexec_b32 s5, s4
	s_cbranch_execz .LBB4_206
; %bb.210:                              ;   in Loop: Header=BB4_209 Depth=2
	global_load_dword v2, v[26:27], off offset:20 glc dlc
	s_waitcnt vmcnt(0)
	buffer_gl1_inv
	buffer_gl0_inv
	v_and_b32_e32 v2, 1, v2
	s_branch .LBB4_206
.LBB4_211:                              ;   in Loop: Header=BB4_140 Depth=1
	global_load_dwordx4 v[6:9], v[6:7], off
	s_and_saveexec_b32 s5, s4
	s_cbranch_execz .LBB4_139
; %bb.212:                              ;   in Loop: Header=BB4_140 Depth=1
	s_clause 0x2
	global_load_dwordx2 v[10:11], v3, s[26:27] offset:40
	global_load_dwordx2 v[14:15], v3, s[26:27] offset:24 glc dlc
	global_load_dwordx2 v[12:13], v3, s[26:27]
	s_waitcnt vmcnt(2)
	v_add_co_u32 v2, vcc_lo, v10, 1
	v_add_co_ci_u32_e32 v16, vcc_lo, 0, v11, vcc_lo
	v_add_co_u32 v8, vcc_lo, v2, s18
	v_add_co_ci_u32_e32 v9, vcc_lo, s19, v16, vcc_lo
	v_cmp_eq_u64_e32 vcc_lo, 0, v[8:9]
	v_cndmask_b32_e32 v9, v9, v16, vcc_lo
	v_cndmask_b32_e32 v8, v8, v2, vcc_lo
	v_and_b32_e32 v2, v9, v11
	v_and_b32_e32 v10, v8, v10
	v_mul_lo_u32 v2, v2, 24
	v_mul_hi_u32 v11, v10, 24
	v_mul_lo_u32 v10, v10, 24
	v_add_nc_u32_e32 v2, v11, v2
	s_waitcnt vmcnt(0)
	v_add_co_u32 v12, vcc_lo, v12, v10
	v_mov_b32_e32 v10, v14
	v_mov_b32_e32 v11, v15
	v_add_co_ci_u32_e32 v13, vcc_lo, v13, v2, vcc_lo
	global_store_dwordx2 v[12:13], v[14:15], off
	s_waitcnt_vscnt null, 0x0
	global_atomic_cmpswap_x2 v[10:11], v3, v[8:11], s[26:27] offset:24 glc
	s_waitcnt vmcnt(0)
	v_cmp_ne_u64_e32 vcc_lo, v[10:11], v[14:15]
	s_and_b32 exec_lo, exec_lo, vcc_lo
	s_cbranch_execz .LBB4_139
; %bb.213:                              ;   in Loop: Header=BB4_140 Depth=1
	s_mov_b32 s4, 0
.LBB4_214:                              ;   Parent Loop BB4_140 Depth=1
                                        ; =>  This Inner Loop Header: Depth=2
	s_sleep 1
	global_store_dwordx2 v[12:13], v[10:11], off
	s_waitcnt_vscnt null, 0x0
	global_atomic_cmpswap_x2 v[14:15], v3, v[8:11], s[26:27] offset:24 glc
	s_waitcnt vmcnt(0)
	v_cmp_eq_u64_e32 vcc_lo, v[14:15], v[10:11]
	v_mov_b32_e32 v10, v14
	v_mov_b32_e32 v11, v15
	s_or_b32 s4, vcc_lo, s4
	s_andn2_b32 exec_lo, exec_lo, s4
	s_cbranch_execnz .LBB4_214
	s_branch .LBB4_139
.LBB4_215:
	s_branch .LBB4_244
.LBB4_216:
	s_cbranch_execz .LBB4_244
; %bb.217:
	v_readfirstlane_b32 s4, v49
	s_waitcnt vmcnt(0)
	v_mov_b32_e32 v8, 0
	v_mov_b32_e32 v9, 0
	v_cmp_eq_u32_e64 s4, s4, v49
	s_and_saveexec_b32 s5, s4
	s_cbranch_execz .LBB4_223
; %bb.218:
	v_mov_b32_e32 v2, 0
	s_mov_b32 s6, exec_lo
	global_load_dwordx2 v[5:6], v2, s[26:27] offset:24 glc dlc
	s_waitcnt vmcnt(0)
	buffer_gl1_inv
	buffer_gl0_inv
	s_clause 0x1
	global_load_dwordx2 v[3:4], v2, s[26:27] offset:40
	global_load_dwordx2 v[7:8], v2, s[26:27]
	s_waitcnt vmcnt(1)
	v_and_b32_e32 v4, v4, v6
	v_and_b32_e32 v3, v3, v5
	v_mul_lo_u32 v4, v4, 24
	v_mul_hi_u32 v9, v3, 24
	v_mul_lo_u32 v3, v3, 24
	v_add_nc_u32_e32 v4, v9, v4
	s_waitcnt vmcnt(0)
	v_add_co_u32 v3, vcc_lo, v7, v3
	v_add_co_ci_u32_e32 v4, vcc_lo, v8, v4, vcc_lo
	global_load_dwordx2 v[3:4], v[3:4], off glc dlc
	s_waitcnt vmcnt(0)
	global_atomic_cmpswap_x2 v[8:9], v2, v[3:6], s[26:27] offset:24 glc
	s_waitcnt vmcnt(0)
	buffer_gl1_inv
	buffer_gl0_inv
	v_cmpx_ne_u64_e64 v[8:9], v[5:6]
	s_cbranch_execz .LBB4_222
; %bb.219:
	s_mov_b32 s7, 0
	.p2align	6
.LBB4_220:                              ; =>This Inner Loop Header: Depth=1
	s_sleep 1
	s_clause 0x1
	global_load_dwordx2 v[3:4], v2, s[26:27] offset:40
	global_load_dwordx2 v[10:11], v2, s[26:27]
	v_mov_b32_e32 v5, v8
	v_mov_b32_e32 v6, v9
	s_waitcnt vmcnt(1)
	v_and_b32_e32 v3, v3, v5
	v_and_b32_e32 v4, v4, v6
	s_waitcnt vmcnt(0)
	v_mad_u64_u32 v[7:8], null, v3, 24, v[10:11]
	v_mov_b32_e32 v3, v8
	v_mad_u64_u32 v[3:4], null, v4, 24, v[3:4]
	v_mov_b32_e32 v8, v3
	global_load_dwordx2 v[3:4], v[7:8], off glc dlc
	s_waitcnt vmcnt(0)
	global_atomic_cmpswap_x2 v[8:9], v2, v[3:6], s[26:27] offset:24 glc
	s_waitcnt vmcnt(0)
	buffer_gl1_inv
	buffer_gl0_inv
	v_cmp_eq_u64_e32 vcc_lo, v[8:9], v[5:6]
	s_or_b32 s7, vcc_lo, s7
	s_andn2_b32 exec_lo, exec_lo, s7
	s_cbranch_execnz .LBB4_220
; %bb.221:
	s_or_b32 exec_lo, exec_lo, s7
.LBB4_222:
	s_or_b32 exec_lo, exec_lo, s6
.LBB4_223:
	s_or_b32 exec_lo, exec_lo, s5
	v_mov_b32_e32 v2, 0
	v_readfirstlane_b32 s6, v8
	v_readfirstlane_b32 s7, v9
	s_mov_b32 s5, exec_lo
	s_clause 0x1
	global_load_dwordx2 v[10:11], v2, s[26:27] offset:40
	global_load_dwordx4 v[4:7], v2, s[26:27]
	s_waitcnt vmcnt(1)
	v_readfirstlane_b32 s10, v10
	v_readfirstlane_b32 s11, v11
	s_and_b64 s[10:11], s[6:7], s[10:11]
	s_mul_i32 s16, s11, 24
	s_mul_hi_u32 s17, s10, 24
	s_mul_i32 s18, s10, 24
	s_add_i32 s17, s17, s16
	s_waitcnt vmcnt(0)
	v_add_co_u32 v8, vcc_lo, v4, s18
	v_add_co_ci_u32_e32 v9, vcc_lo, s17, v5, vcc_lo
	s_and_saveexec_b32 s16, s4
	s_cbranch_execz .LBB4_225
; %bb.224:
	v_mov_b32_e32 v10, s5
	v_mov_b32_e32 v11, v2
	;; [unrolled: 1-line block ×4, first 2 shown]
	global_store_dwordx4 v[8:9], v[10:13], off offset:8
.LBB4_225:
	s_or_b32 exec_lo, exec_lo, s16
	s_lshl_b64 s[10:11], s[10:11], 12
	s_mov_b32 s16, 0
	v_add_co_u32 v6, vcc_lo, v6, s10
	v_add_co_ci_u32_e32 v7, vcc_lo, s11, v7, vcc_lo
	s_mov_b32 s17, s16
	s_mov_b32 s18, s16
	;; [unrolled: 1-line block ×3, first 2 shown]
	v_and_or_b32 v0, 0xffffff1d, v0, 34
	v_mov_b32_e32 v3, v2
	v_readfirstlane_b32 s10, v6
	v_readfirstlane_b32 s11, v7
	v_mov_b32_e32 v10, s16
	v_mov_b32_e32 v11, s17
	;; [unrolled: 1-line block ×4, first 2 shown]
	global_store_dwordx4 v48, v[0:3], s[10:11]
	global_store_dwordx4 v48, v[10:13], s[10:11] offset:16
	global_store_dwordx4 v48, v[10:13], s[10:11] offset:32
	;; [unrolled: 1-line block ×3, first 2 shown]
	s_and_saveexec_b32 s5, s4
	s_cbranch_execz .LBB4_233
; %bb.226:
	v_mov_b32_e32 v6, 0
	v_mov_b32_e32 v10, s6
	;; [unrolled: 1-line block ×3, first 2 shown]
	s_clause 0x1
	global_load_dwordx2 v[12:13], v6, s[26:27] offset:32 glc dlc
	global_load_dwordx2 v[0:1], v6, s[26:27] offset:40
	s_waitcnt vmcnt(0)
	v_readfirstlane_b32 s10, v0
	v_readfirstlane_b32 s11, v1
	s_and_b64 s[10:11], s[10:11], s[6:7]
	s_mul_i32 s11, s11, 24
	s_mul_hi_u32 s16, s10, 24
	s_mul_i32 s10, s10, 24
	s_add_i32 s16, s16, s11
	v_add_co_u32 v4, vcc_lo, v4, s10
	v_add_co_ci_u32_e32 v5, vcc_lo, s16, v5, vcc_lo
	s_mov_b32 s10, exec_lo
	global_store_dwordx2 v[4:5], v[12:13], off
	s_waitcnt_vscnt null, 0x0
	global_atomic_cmpswap_x2 v[2:3], v6, v[10:13], s[26:27] offset:32 glc
	s_waitcnt vmcnt(0)
	v_cmpx_ne_u64_e64 v[2:3], v[12:13]
	s_cbranch_execz .LBB4_229
; %bb.227:
	s_mov_b32 s11, 0
.LBB4_228:                              ; =>This Inner Loop Header: Depth=1
	v_mov_b32_e32 v0, s6
	v_mov_b32_e32 v1, s7
	s_sleep 1
	global_store_dwordx2 v[4:5], v[2:3], off
	s_waitcnt_vscnt null, 0x0
	global_atomic_cmpswap_x2 v[0:1], v6, v[0:3], s[26:27] offset:32 glc
	s_waitcnt vmcnt(0)
	v_cmp_eq_u64_e32 vcc_lo, v[0:1], v[2:3]
	v_mov_b32_e32 v3, v1
	v_mov_b32_e32 v2, v0
	s_or_b32 s11, vcc_lo, s11
	s_andn2_b32 exec_lo, exec_lo, s11
	s_cbranch_execnz .LBB4_228
.LBB4_229:
	s_or_b32 exec_lo, exec_lo, s10
	v_mov_b32_e32 v3, 0
	s_mov_b32 s11, exec_lo
	s_mov_b32 s10, exec_lo
	v_mbcnt_lo_u32_b32 v2, s11, 0
	global_load_dwordx2 v[0:1], v3, s[26:27] offset:16
	v_cmpx_eq_u32_e32 0, v2
	s_cbranch_execz .LBB4_231
; %bb.230:
	s_bcnt1_i32_b32 s11, s11
	v_mov_b32_e32 v2, s11
	s_waitcnt vmcnt(0)
	global_atomic_add_x2 v[0:1], v[2:3], off offset:8
.LBB4_231:
	s_or_b32 exec_lo, exec_lo, s10
	s_waitcnt vmcnt(0)
	global_load_dwordx2 v[2:3], v[0:1], off offset:16
	s_waitcnt vmcnt(0)
	v_cmp_eq_u64_e32 vcc_lo, 0, v[2:3]
	s_cbranch_vccnz .LBB4_233
; %bb.232:
	global_load_dword v0, v[0:1], off offset:24
	v_mov_b32_e32 v1, 0
	s_waitcnt vmcnt(0)
	v_and_b32_e32 v4, 0x7fffff, v0
	s_waitcnt_vscnt null, 0x0
	global_store_dwordx2 v[2:3], v[0:1], off
	v_readfirstlane_b32 m0, v4
	s_sendmsg sendmsg(MSG_INTERRUPT)
.LBB4_233:
	s_or_b32 exec_lo, exec_lo, s5
	s_branch .LBB4_237
	.p2align	6
.LBB4_234:                              ;   in Loop: Header=BB4_237 Depth=1
	s_or_b32 exec_lo, exec_lo, s5
	v_readfirstlane_b32 s5, v0
	s_cmp_eq_u32 s5, 0
	s_cbranch_scc1 .LBB4_236
; %bb.235:                              ;   in Loop: Header=BB4_237 Depth=1
	s_sleep 1
	s_cbranch_execnz .LBB4_237
	s_branch .LBB4_239
	.p2align	6
.LBB4_236:
	s_branch .LBB4_239
.LBB4_237:                              ; =>This Inner Loop Header: Depth=1
	v_mov_b32_e32 v0, 1
	s_and_saveexec_b32 s5, s4
	s_cbranch_execz .LBB4_234
; %bb.238:                              ;   in Loop: Header=BB4_237 Depth=1
	global_load_dword v0, v[8:9], off offset:20 glc dlc
	s_waitcnt vmcnt(0)
	buffer_gl1_inv
	buffer_gl0_inv
	v_and_b32_e32 v0, 1, v0
	s_branch .LBB4_234
.LBB4_239:
	s_and_saveexec_b32 s5, s4
	s_cbranch_execz .LBB4_243
; %bb.240:
	v_mov_b32_e32 v6, 0
	s_clause 0x2
	global_load_dwordx2 v[2:3], v6, s[26:27] offset:40
	global_load_dwordx2 v[7:8], v6, s[26:27] offset:24 glc dlc
	global_load_dwordx2 v[4:5], v6, s[26:27]
	s_waitcnt vmcnt(2)
	v_add_co_u32 v9, vcc_lo, v2, 1
	v_add_co_ci_u32_e32 v10, vcc_lo, 0, v3, vcc_lo
	v_add_co_u32 v0, vcc_lo, v9, s6
	v_add_co_ci_u32_e32 v1, vcc_lo, s7, v10, vcc_lo
	v_cmp_eq_u64_e32 vcc_lo, 0, v[0:1]
	v_cndmask_b32_e32 v1, v1, v10, vcc_lo
	v_cndmask_b32_e32 v0, v0, v9, vcc_lo
	v_and_b32_e32 v3, v1, v3
	v_and_b32_e32 v2, v0, v2
	v_mul_lo_u32 v3, v3, 24
	v_mul_hi_u32 v9, v2, 24
	v_mul_lo_u32 v2, v2, 24
	v_add_nc_u32_e32 v3, v9, v3
	s_waitcnt vmcnt(0)
	v_add_co_u32 v4, vcc_lo, v4, v2
	v_mov_b32_e32 v2, v7
	v_add_co_ci_u32_e32 v5, vcc_lo, v5, v3, vcc_lo
	v_mov_b32_e32 v3, v8
	global_store_dwordx2 v[4:5], v[7:8], off
	s_waitcnt_vscnt null, 0x0
	global_atomic_cmpswap_x2 v[2:3], v6, v[0:3], s[26:27] offset:24 glc
	s_waitcnt vmcnt(0)
	v_cmp_ne_u64_e32 vcc_lo, v[2:3], v[7:8]
	s_and_b32 exec_lo, exec_lo, vcc_lo
	s_cbranch_execz .LBB4_243
; %bb.241:
	s_mov_b32 s4, 0
.LBB4_242:                              ; =>This Inner Loop Header: Depth=1
	s_sleep 1
	global_store_dwordx2 v[4:5], v[2:3], off
	s_waitcnt_vscnt null, 0x0
	global_atomic_cmpswap_x2 v[7:8], v6, v[0:3], s[26:27] offset:24 glc
	s_waitcnt vmcnt(0)
	v_cmp_eq_u64_e32 vcc_lo, v[7:8], v[2:3]
	v_mov_b32_e32 v2, v7
	v_mov_b32_e32 v3, v8
	s_or_b32 s4, vcc_lo, s4
	s_andn2_b32 exec_lo, exec_lo, s4
	s_cbranch_execnz .LBB4_242
.LBB4_243:
	s_or_b32 exec_lo, exec_lo, s5
.LBB4_244:
	v_readfirstlane_b32 s4, v49
	s_waitcnt vmcnt(0)
	v_mov_b32_e32 v6, 0
	v_mov_b32_e32 v7, 0
	v_cmp_eq_u32_e64 s4, s4, v49
	s_and_saveexec_b32 s5, s4
	s_cbranch_execz .LBB4_250
; %bb.245:
	v_mov_b32_e32 v0, 0
	s_mov_b32 s6, exec_lo
	global_load_dwordx2 v[3:4], v0, s[26:27] offset:24 glc dlc
	s_waitcnt vmcnt(0)
	buffer_gl1_inv
	buffer_gl0_inv
	s_clause 0x1
	global_load_dwordx2 v[1:2], v0, s[26:27] offset:40
	global_load_dwordx2 v[5:6], v0, s[26:27]
	s_waitcnt vmcnt(1)
	v_and_b32_e32 v2, v2, v4
	v_and_b32_e32 v1, v1, v3
	v_mul_lo_u32 v2, v2, 24
	v_mul_hi_u32 v7, v1, 24
	v_mul_lo_u32 v1, v1, 24
	v_add_nc_u32_e32 v2, v7, v2
	s_waitcnt vmcnt(0)
	v_add_co_u32 v1, vcc_lo, v5, v1
	v_add_co_ci_u32_e32 v2, vcc_lo, v6, v2, vcc_lo
	global_load_dwordx2 v[1:2], v[1:2], off glc dlc
	s_waitcnt vmcnt(0)
	global_atomic_cmpswap_x2 v[6:7], v0, v[1:4], s[26:27] offset:24 glc
	s_waitcnt vmcnt(0)
	buffer_gl1_inv
	buffer_gl0_inv
	v_cmpx_ne_u64_e64 v[6:7], v[3:4]
	s_cbranch_execz .LBB4_249
; %bb.246:
	s_mov_b32 s7, 0
	.p2align	6
.LBB4_247:                              ; =>This Inner Loop Header: Depth=1
	s_sleep 1
	s_clause 0x1
	global_load_dwordx2 v[1:2], v0, s[26:27] offset:40
	global_load_dwordx2 v[8:9], v0, s[26:27]
	v_mov_b32_e32 v3, v6
	v_mov_b32_e32 v4, v7
	s_waitcnt vmcnt(1)
	v_and_b32_e32 v1, v1, v3
	v_and_b32_e32 v2, v2, v4
	s_waitcnt vmcnt(0)
	v_mad_u64_u32 v[5:6], null, v1, 24, v[8:9]
	v_mov_b32_e32 v1, v6
	v_mad_u64_u32 v[1:2], null, v2, 24, v[1:2]
	v_mov_b32_e32 v6, v1
	global_load_dwordx2 v[1:2], v[5:6], off glc dlc
	s_waitcnt vmcnt(0)
	global_atomic_cmpswap_x2 v[6:7], v0, v[1:4], s[26:27] offset:24 glc
	s_waitcnt vmcnt(0)
	buffer_gl1_inv
	buffer_gl0_inv
	v_cmp_eq_u64_e32 vcc_lo, v[6:7], v[3:4]
	s_or_b32 s7, vcc_lo, s7
	s_andn2_b32 exec_lo, exec_lo, s7
	s_cbranch_execnz .LBB4_247
; %bb.248:
	s_or_b32 exec_lo, exec_lo, s7
.LBB4_249:
	s_or_b32 exec_lo, exec_lo, s6
.LBB4_250:
	s_or_b32 exec_lo, exec_lo, s5
	v_mov_b32_e32 v5, 0
	v_readfirstlane_b32 s6, v6
	v_readfirstlane_b32 s7, v7
	s_mov_b32 s5, exec_lo
	s_clause 0x1
	global_load_dwordx2 v[8:9], v5, s[26:27] offset:40
	global_load_dwordx4 v[0:3], v5, s[26:27]
	s_waitcnt vmcnt(1)
	v_readfirstlane_b32 s10, v8
	v_readfirstlane_b32 s11, v9
	s_and_b64 s[10:11], s[6:7], s[10:11]
	s_mul_i32 s16, s11, 24
	s_mul_hi_u32 s17, s10, 24
	s_mul_i32 s18, s10, 24
	s_add_i32 s17, s17, s16
	s_waitcnt vmcnt(0)
	v_add_co_u32 v8, vcc_lo, v0, s18
	v_add_co_ci_u32_e32 v9, vcc_lo, s17, v1, vcc_lo
	s_and_saveexec_b32 s16, s4
	s_cbranch_execz .LBB4_252
; %bb.251:
	v_mov_b32_e32 v4, s5
	v_mov_b32_e32 v6, 2
	;; [unrolled: 1-line block ×3, first 2 shown]
	global_store_dwordx4 v[8:9], v[4:7], off offset:8
.LBB4_252:
	s_or_b32 exec_lo, exec_lo, s16
	s_lshl_b64 s[10:11], s[10:11], 12
	s_mov_b32 s16, 0
	v_add_co_u32 v2, vcc_lo, v2, s10
	v_add_co_ci_u32_e32 v3, vcc_lo, s11, v3, vcc_lo
	s_mov_b32 s17, s16
	v_add_co_u32 v10, vcc_lo, v2, v48
	s_mov_b32 s18, s16
	s_mov_b32 s19, s16
	v_mov_b32_e32 v4, 33
	v_mov_b32_e32 v6, v5
	;; [unrolled: 1-line block ×3, first 2 shown]
	v_readfirstlane_b32 s10, v2
	v_readfirstlane_b32 s11, v3
	v_mov_b32_e32 v12, s16
	v_add_co_ci_u32_e32 v11, vcc_lo, 0, v3, vcc_lo
	v_mov_b32_e32 v13, s17
	v_mov_b32_e32 v14, s18
	;; [unrolled: 1-line block ×3, first 2 shown]
	global_store_dwordx4 v48, v[4:7], s[10:11]
	global_store_dwordx4 v48, v[12:15], s[10:11] offset:16
	global_store_dwordx4 v48, v[12:15], s[10:11] offset:32
	;; [unrolled: 1-line block ×3, first 2 shown]
	s_and_saveexec_b32 s5, s4
	s_cbranch_execz .LBB4_260
; %bb.253:
	v_mov_b32_e32 v6, 0
	v_mov_b32_e32 v12, s6
	;; [unrolled: 1-line block ×3, first 2 shown]
	s_clause 0x1
	global_load_dwordx2 v[14:15], v6, s[26:27] offset:32 glc dlc
	global_load_dwordx2 v[2:3], v6, s[26:27] offset:40
	s_waitcnt vmcnt(0)
	v_readfirstlane_b32 s10, v2
	v_readfirstlane_b32 s11, v3
	s_and_b64 s[10:11], s[10:11], s[6:7]
	s_mul_i32 s11, s11, 24
	s_mul_hi_u32 s16, s10, 24
	s_mul_i32 s10, s10, 24
	s_add_i32 s16, s16, s11
	v_add_co_u32 v4, vcc_lo, v0, s10
	v_add_co_ci_u32_e32 v5, vcc_lo, s16, v1, vcc_lo
	s_mov_b32 s10, exec_lo
	global_store_dwordx2 v[4:5], v[14:15], off
	s_waitcnt_vscnt null, 0x0
	global_atomic_cmpswap_x2 v[2:3], v6, v[12:15], s[26:27] offset:32 glc
	s_waitcnt vmcnt(0)
	v_cmpx_ne_u64_e64 v[2:3], v[14:15]
	s_cbranch_execz .LBB4_256
; %bb.254:
	s_mov_b32 s11, 0
.LBB4_255:                              ; =>This Inner Loop Header: Depth=1
	v_mov_b32_e32 v0, s6
	v_mov_b32_e32 v1, s7
	s_sleep 1
	global_store_dwordx2 v[4:5], v[2:3], off
	s_waitcnt_vscnt null, 0x0
	global_atomic_cmpswap_x2 v[0:1], v6, v[0:3], s[26:27] offset:32 glc
	s_waitcnt vmcnt(0)
	v_cmp_eq_u64_e32 vcc_lo, v[0:1], v[2:3]
	v_mov_b32_e32 v3, v1
	v_mov_b32_e32 v2, v0
	s_or_b32 s11, vcc_lo, s11
	s_andn2_b32 exec_lo, exec_lo, s11
	s_cbranch_execnz .LBB4_255
.LBB4_256:
	s_or_b32 exec_lo, exec_lo, s10
	v_mov_b32_e32 v3, 0
	s_mov_b32 s11, exec_lo
	s_mov_b32 s10, exec_lo
	v_mbcnt_lo_u32_b32 v2, s11, 0
	global_load_dwordx2 v[0:1], v3, s[26:27] offset:16
	v_cmpx_eq_u32_e32 0, v2
	s_cbranch_execz .LBB4_258
; %bb.257:
	s_bcnt1_i32_b32 s11, s11
	v_mov_b32_e32 v2, s11
	s_waitcnt vmcnt(0)
	global_atomic_add_x2 v[0:1], v[2:3], off offset:8
.LBB4_258:
	s_or_b32 exec_lo, exec_lo, s10
	s_waitcnt vmcnt(0)
	global_load_dwordx2 v[2:3], v[0:1], off offset:16
	s_waitcnt vmcnt(0)
	v_cmp_eq_u64_e32 vcc_lo, 0, v[2:3]
	s_cbranch_vccnz .LBB4_260
; %bb.259:
	global_load_dword v0, v[0:1], off offset:24
	v_mov_b32_e32 v1, 0
	s_waitcnt vmcnt(0)
	v_and_b32_e32 v4, 0x7fffff, v0
	s_waitcnt_vscnt null, 0x0
	global_store_dwordx2 v[2:3], v[0:1], off
	v_readfirstlane_b32 m0, v4
	s_sendmsg sendmsg(MSG_INTERRUPT)
.LBB4_260:
	s_or_b32 exec_lo, exec_lo, s5
	s_branch .LBB4_264
	.p2align	6
.LBB4_261:                              ;   in Loop: Header=BB4_264 Depth=1
	s_or_b32 exec_lo, exec_lo, s5
	v_readfirstlane_b32 s5, v0
	s_cmp_eq_u32 s5, 0
	s_cbranch_scc1 .LBB4_263
; %bb.262:                              ;   in Loop: Header=BB4_264 Depth=1
	s_sleep 1
	s_cbranch_execnz .LBB4_264
	s_branch .LBB4_266
	.p2align	6
.LBB4_263:
	s_branch .LBB4_266
.LBB4_264:                              ; =>This Inner Loop Header: Depth=1
	v_mov_b32_e32 v0, 1
	s_and_saveexec_b32 s5, s4
	s_cbranch_execz .LBB4_261
; %bb.265:                              ;   in Loop: Header=BB4_264 Depth=1
	global_load_dword v0, v[8:9], off offset:20 glc dlc
	s_waitcnt vmcnt(0)
	buffer_gl1_inv
	buffer_gl0_inv
	v_and_b32_e32 v0, 1, v0
	s_branch .LBB4_261
.LBB4_266:
	global_load_dwordx2 v[0:1], v[10:11], off
	s_and_saveexec_b32 s5, s4
	s_cbranch_execz .LBB4_270
; %bb.267:
	v_mov_b32_e32 v8, 0
	s_clause 0x2
	global_load_dwordx2 v[4:5], v8, s[26:27] offset:40
	global_load_dwordx2 v[9:10], v8, s[26:27] offset:24 glc dlc
	global_load_dwordx2 v[6:7], v8, s[26:27]
	s_waitcnt vmcnt(2)
	v_add_co_u32 v11, vcc_lo, v4, 1
	v_add_co_ci_u32_e32 v12, vcc_lo, 0, v5, vcc_lo
	v_add_co_u32 v2, vcc_lo, v11, s6
	v_add_co_ci_u32_e32 v3, vcc_lo, s7, v12, vcc_lo
	v_cmp_eq_u64_e32 vcc_lo, 0, v[2:3]
	v_cndmask_b32_e32 v3, v3, v12, vcc_lo
	v_cndmask_b32_e32 v2, v2, v11, vcc_lo
	v_and_b32_e32 v5, v3, v5
	v_and_b32_e32 v4, v2, v4
	v_mul_lo_u32 v5, v5, 24
	v_mul_hi_u32 v11, v4, 24
	v_mul_lo_u32 v4, v4, 24
	v_add_nc_u32_e32 v5, v11, v5
	s_waitcnt vmcnt(0)
	v_add_co_u32 v6, vcc_lo, v6, v4
	v_mov_b32_e32 v4, v9
	v_add_co_ci_u32_e32 v7, vcc_lo, v7, v5, vcc_lo
	v_mov_b32_e32 v5, v10
	global_store_dwordx2 v[6:7], v[9:10], off
	s_waitcnt_vscnt null, 0x0
	global_atomic_cmpswap_x2 v[4:5], v8, v[2:5], s[26:27] offset:24 glc
	s_waitcnt vmcnt(0)
	v_cmp_ne_u64_e32 vcc_lo, v[4:5], v[9:10]
	s_and_b32 exec_lo, exec_lo, vcc_lo
	s_cbranch_execz .LBB4_270
; %bb.268:
	s_mov_b32 s4, 0
.LBB4_269:                              ; =>This Inner Loop Header: Depth=1
	s_sleep 1
	global_store_dwordx2 v[6:7], v[4:5], off
	s_waitcnt_vscnt null, 0x0
	global_atomic_cmpswap_x2 v[9:10], v8, v[2:5], s[26:27] offset:24 glc
	s_waitcnt vmcnt(0)
	v_cmp_eq_u64_e32 vcc_lo, v[9:10], v[4:5]
	v_mov_b32_e32 v4, v9
	v_mov_b32_e32 v5, v10
	s_or_b32 s4, vcc_lo, s4
	s_andn2_b32 exec_lo, exec_lo, s4
	s_cbranch_execnz .LBB4_269
.LBB4_270:
	s_or_b32 exec_lo, exec_lo, s5
	s_getpc_b64 s[6:7]
	s_add_u32 s6, s6, .str.6@rel32@lo+4
	s_addc_u32 s7, s7, .str.6@rel32@hi+12
	s_cmp_lg_u64 s[6:7], 0
	s_cselect_b32 s34, -1, 0
	s_and_b32 vcc_lo, exec_lo, s34
	s_cbranch_vccz .LBB4_349
; %bb.271:
	s_waitcnt vmcnt(0)
	v_and_b32_e32 v31, 2, v0
	v_mov_b32_e32 v6, 0
	v_and_b32_e32 v2, -3, v0
	v_mov_b32_e32 v3, v1
	v_mov_b32_e32 v7, 2
	;; [unrolled: 1-line block ×3, first 2 shown]
	s_mov_b64 s[10:11], 3
	s_branch .LBB4_273
.LBB4_272:                              ;   in Loop: Header=BB4_273 Depth=1
	s_or_b32 exec_lo, exec_lo, s5
	s_sub_u32 s10, s10, s16
	s_subb_u32 s11, s11, s17
	s_add_u32 s6, s6, s16
	s_addc_u32 s7, s7, s17
	s_cmp_lg_u64 s[10:11], 0
	s_cbranch_scc0 .LBB4_348
.LBB4_273:                              ; =>This Loop Header: Depth=1
                                        ;     Child Loop BB4_282 Depth 2
                                        ;     Child Loop BB4_278 Depth 2
	;; [unrolled: 1-line block ×11, first 2 shown]
	v_cmp_lt_u64_e64 s4, s[10:11], 56
	v_cmp_gt_u64_e64 s5, s[10:11], 7
                                        ; implicit-def: $vgpr11_vgpr12
                                        ; implicit-def: $sgpr22
	s_and_b32 s4, s4, exec_lo
	s_cselect_b32 s17, s11, 0
	s_cselect_b32 s16, s10, 56
	s_and_b32 vcc_lo, exec_lo, s5
	s_mov_b32 s4, -1
	s_cbranch_vccz .LBB4_280
; %bb.274:                              ;   in Loop: Header=BB4_273 Depth=1
	s_andn2_b32 vcc_lo, exec_lo, s4
	s_mov_b64 s[4:5], s[6:7]
	s_cbranch_vccz .LBB4_284
.LBB4_275:                              ;   in Loop: Header=BB4_273 Depth=1
	s_cmp_gt_u32 s22, 7
	s_cbranch_scc1 .LBB4_285
.LBB4_276:                              ;   in Loop: Header=BB4_273 Depth=1
	v_mov_b32_e32 v13, 0
	v_mov_b32_e32 v14, 0
	s_cmp_eq_u32 s22, 0
	s_cbranch_scc1 .LBB4_279
; %bb.277:                              ;   in Loop: Header=BB4_273 Depth=1
	s_mov_b64 s[18:19], 0
	s_mov_b64 s[20:21], 0
.LBB4_278:                              ;   Parent Loop BB4_273 Depth=1
                                        ; =>  This Inner Loop Header: Depth=2
	s_add_u32 s24, s4, s20
	s_addc_u32 s25, s5, s21
	s_add_u32 s20, s20, 1
	global_load_ubyte v4, v6, s[24:25]
	s_addc_u32 s21, s21, 0
	s_waitcnt vmcnt(0)
	v_and_b32_e32 v5, 0xffff, v4
	v_lshlrev_b64 v[4:5], s18, v[5:6]
	s_add_u32 s18, s18, 8
	s_addc_u32 s19, s19, 0
	s_cmp_lg_u32 s22, s20
	v_or_b32_e32 v13, v4, v13
	v_or_b32_e32 v14, v5, v14
	s_cbranch_scc1 .LBB4_278
.LBB4_279:                              ;   in Loop: Header=BB4_273 Depth=1
	s_mov_b32 s23, 0
	s_cbranch_execz .LBB4_286
	s_branch .LBB4_287
.LBB4_280:                              ;   in Loop: Header=BB4_273 Depth=1
	v_mov_b32_e32 v11, 0
	v_mov_b32_e32 v12, 0
	s_cmp_eq_u64 s[10:11], 0
	s_mov_b64 s[4:5], 0
	s_cbranch_scc1 .LBB4_283
; %bb.281:                              ;   in Loop: Header=BB4_273 Depth=1
	v_mov_b32_e32 v11, 0
	v_mov_b32_e32 v12, 0
	s_lshl_b64 s[18:19], s[16:17], 3
	s_mov_b64 s[20:21], s[6:7]
.LBB4_282:                              ;   Parent Loop BB4_273 Depth=1
                                        ; =>  This Inner Loop Header: Depth=2
	global_load_ubyte v4, v6, s[20:21]
	s_waitcnt vmcnt(0)
	v_and_b32_e32 v5, 0xffff, v4
	v_lshlrev_b64 v[4:5], s4, v[5:6]
	s_add_u32 s4, s4, 8
	s_addc_u32 s5, s5, 0
	s_add_u32 s20, s20, 1
	s_addc_u32 s21, s21, 0
	s_cmp_lg_u32 s18, s4
	v_or_b32_e32 v11, v4, v11
	v_or_b32_e32 v12, v5, v12
	s_cbranch_scc1 .LBB4_282
.LBB4_283:                              ;   in Loop: Header=BB4_273 Depth=1
	s_mov_b32 s22, 0
	s_mov_b64 s[4:5], s[6:7]
	s_cbranch_execnz .LBB4_275
.LBB4_284:                              ;   in Loop: Header=BB4_273 Depth=1
	global_load_dwordx2 v[11:12], v6, s[6:7]
	s_add_i32 s22, s16, -8
	s_add_u32 s4, s6, 8
	s_addc_u32 s5, s7, 0
	s_cmp_gt_u32 s22, 7
	s_cbranch_scc0 .LBB4_276
.LBB4_285:                              ;   in Loop: Header=BB4_273 Depth=1
                                        ; implicit-def: $vgpr13_vgpr14
                                        ; implicit-def: $sgpr23
.LBB4_286:                              ;   in Loop: Header=BB4_273 Depth=1
	global_load_dwordx2 v[13:14], v6, s[4:5]
	s_add_i32 s23, s22, -8
	s_add_u32 s4, s4, 8
	s_addc_u32 s5, s5, 0
.LBB4_287:                              ;   in Loop: Header=BB4_273 Depth=1
	s_cmp_gt_u32 s23, 7
	s_cbranch_scc1 .LBB4_292
; %bb.288:                              ;   in Loop: Header=BB4_273 Depth=1
	v_mov_b32_e32 v15, 0
	v_mov_b32_e32 v16, 0
	s_cmp_eq_u32 s23, 0
	s_cbranch_scc1 .LBB4_291
; %bb.289:                              ;   in Loop: Header=BB4_273 Depth=1
	s_mov_b64 s[18:19], 0
	s_mov_b64 s[20:21], 0
.LBB4_290:                              ;   Parent Loop BB4_273 Depth=1
                                        ; =>  This Inner Loop Header: Depth=2
	s_add_u32 s24, s4, s20
	s_addc_u32 s25, s5, s21
	s_add_u32 s20, s20, 1
	global_load_ubyte v4, v6, s[24:25]
	s_addc_u32 s21, s21, 0
	s_waitcnt vmcnt(0)
	v_and_b32_e32 v5, 0xffff, v4
	v_lshlrev_b64 v[4:5], s18, v[5:6]
	s_add_u32 s18, s18, 8
	s_addc_u32 s19, s19, 0
	s_cmp_lg_u32 s23, s20
	v_or_b32_e32 v15, v4, v15
	v_or_b32_e32 v16, v5, v16
	s_cbranch_scc1 .LBB4_290
.LBB4_291:                              ;   in Loop: Header=BB4_273 Depth=1
	s_mov_b32 s22, 0
	s_cbranch_execz .LBB4_293
	s_branch .LBB4_294
.LBB4_292:                              ;   in Loop: Header=BB4_273 Depth=1
                                        ; implicit-def: $sgpr22
.LBB4_293:                              ;   in Loop: Header=BB4_273 Depth=1
	global_load_dwordx2 v[15:16], v6, s[4:5]
	s_add_i32 s22, s23, -8
	s_add_u32 s4, s4, 8
	s_addc_u32 s5, s5, 0
.LBB4_294:                              ;   in Loop: Header=BB4_273 Depth=1
	s_cmp_gt_u32 s22, 7
	s_cbranch_scc1 .LBB4_299
; %bb.295:                              ;   in Loop: Header=BB4_273 Depth=1
	v_mov_b32_e32 v17, 0
	v_mov_b32_e32 v18, 0
	s_cmp_eq_u32 s22, 0
	s_cbranch_scc1 .LBB4_298
; %bb.296:                              ;   in Loop: Header=BB4_273 Depth=1
	s_mov_b64 s[18:19], 0
	s_mov_b64 s[20:21], 0
.LBB4_297:                              ;   Parent Loop BB4_273 Depth=1
                                        ; =>  This Inner Loop Header: Depth=2
	s_add_u32 s24, s4, s20
	s_addc_u32 s25, s5, s21
	s_add_u32 s20, s20, 1
	global_load_ubyte v4, v6, s[24:25]
	s_addc_u32 s21, s21, 0
	s_waitcnt vmcnt(0)
	v_and_b32_e32 v5, 0xffff, v4
	v_lshlrev_b64 v[4:5], s18, v[5:6]
	s_add_u32 s18, s18, 8
	s_addc_u32 s19, s19, 0
	s_cmp_lg_u32 s22, s20
	v_or_b32_e32 v17, v4, v17
	v_or_b32_e32 v18, v5, v18
	s_cbranch_scc1 .LBB4_297
.LBB4_298:                              ;   in Loop: Header=BB4_273 Depth=1
	s_mov_b32 s23, 0
	s_cbranch_execz .LBB4_300
	s_branch .LBB4_301
.LBB4_299:                              ;   in Loop: Header=BB4_273 Depth=1
                                        ; implicit-def: $vgpr17_vgpr18
                                        ; implicit-def: $sgpr23
.LBB4_300:                              ;   in Loop: Header=BB4_273 Depth=1
	global_load_dwordx2 v[17:18], v6, s[4:5]
	s_add_i32 s23, s22, -8
	s_add_u32 s4, s4, 8
	s_addc_u32 s5, s5, 0
.LBB4_301:                              ;   in Loop: Header=BB4_273 Depth=1
	s_cmp_gt_u32 s23, 7
	s_cbranch_scc1 .LBB4_306
; %bb.302:                              ;   in Loop: Header=BB4_273 Depth=1
	v_mov_b32_e32 v19, 0
	v_mov_b32_e32 v20, 0
	s_cmp_eq_u32 s23, 0
	s_cbranch_scc1 .LBB4_305
; %bb.303:                              ;   in Loop: Header=BB4_273 Depth=1
	s_mov_b64 s[18:19], 0
	s_mov_b64 s[20:21], 0
.LBB4_304:                              ;   Parent Loop BB4_273 Depth=1
                                        ; =>  This Inner Loop Header: Depth=2
	s_add_u32 s24, s4, s20
	s_addc_u32 s25, s5, s21
	s_add_u32 s20, s20, 1
	global_load_ubyte v4, v6, s[24:25]
	s_addc_u32 s21, s21, 0
	s_waitcnt vmcnt(0)
	v_and_b32_e32 v5, 0xffff, v4
	v_lshlrev_b64 v[4:5], s18, v[5:6]
	s_add_u32 s18, s18, 8
	s_addc_u32 s19, s19, 0
	s_cmp_lg_u32 s23, s20
	v_or_b32_e32 v19, v4, v19
	v_or_b32_e32 v20, v5, v20
	s_cbranch_scc1 .LBB4_304
.LBB4_305:                              ;   in Loop: Header=BB4_273 Depth=1
	s_mov_b32 s22, 0
	s_cbranch_execz .LBB4_307
	s_branch .LBB4_308
.LBB4_306:                              ;   in Loop: Header=BB4_273 Depth=1
                                        ; implicit-def: $sgpr22
.LBB4_307:                              ;   in Loop: Header=BB4_273 Depth=1
	global_load_dwordx2 v[19:20], v6, s[4:5]
	s_add_i32 s22, s23, -8
	s_add_u32 s4, s4, 8
	s_addc_u32 s5, s5, 0
.LBB4_308:                              ;   in Loop: Header=BB4_273 Depth=1
	s_cmp_gt_u32 s22, 7
	s_cbranch_scc1 .LBB4_313
; %bb.309:                              ;   in Loop: Header=BB4_273 Depth=1
	v_mov_b32_e32 v21, 0
	v_mov_b32_e32 v22, 0
	s_cmp_eq_u32 s22, 0
	s_cbranch_scc1 .LBB4_312
; %bb.310:                              ;   in Loop: Header=BB4_273 Depth=1
	s_mov_b64 s[18:19], 0
	s_mov_b64 s[20:21], 0
.LBB4_311:                              ;   Parent Loop BB4_273 Depth=1
                                        ; =>  This Inner Loop Header: Depth=2
	s_add_u32 s24, s4, s20
	s_addc_u32 s25, s5, s21
	s_add_u32 s20, s20, 1
	global_load_ubyte v4, v6, s[24:25]
	s_addc_u32 s21, s21, 0
	s_waitcnt vmcnt(0)
	v_and_b32_e32 v5, 0xffff, v4
	v_lshlrev_b64 v[4:5], s18, v[5:6]
	s_add_u32 s18, s18, 8
	s_addc_u32 s19, s19, 0
	s_cmp_lg_u32 s22, s20
	v_or_b32_e32 v21, v4, v21
	v_or_b32_e32 v22, v5, v22
	s_cbranch_scc1 .LBB4_311
.LBB4_312:                              ;   in Loop: Header=BB4_273 Depth=1
	s_mov_b32 s23, 0
	s_cbranch_execz .LBB4_314
	s_branch .LBB4_315
.LBB4_313:                              ;   in Loop: Header=BB4_273 Depth=1
                                        ; implicit-def: $vgpr21_vgpr22
                                        ; implicit-def: $sgpr23
.LBB4_314:                              ;   in Loop: Header=BB4_273 Depth=1
	global_load_dwordx2 v[21:22], v6, s[4:5]
	s_add_i32 s23, s22, -8
	s_add_u32 s4, s4, 8
	s_addc_u32 s5, s5, 0
.LBB4_315:                              ;   in Loop: Header=BB4_273 Depth=1
	s_cmp_gt_u32 s23, 7
	s_cbranch_scc1 .LBB4_320
; %bb.316:                              ;   in Loop: Header=BB4_273 Depth=1
	v_mov_b32_e32 v23, 0
	v_mov_b32_e32 v24, 0
	s_cmp_eq_u32 s23, 0
	s_cbranch_scc1 .LBB4_319
; %bb.317:                              ;   in Loop: Header=BB4_273 Depth=1
	s_mov_b64 s[18:19], 0
	s_mov_b64 s[20:21], s[4:5]
.LBB4_318:                              ;   Parent Loop BB4_273 Depth=1
                                        ; =>  This Inner Loop Header: Depth=2
	global_load_ubyte v4, v6, s[20:21]
	s_add_i32 s23, s23, -1
	s_waitcnt vmcnt(0)
	v_and_b32_e32 v5, 0xffff, v4
	v_lshlrev_b64 v[4:5], s18, v[5:6]
	s_add_u32 s18, s18, 8
	s_addc_u32 s19, s19, 0
	s_add_u32 s20, s20, 1
	s_addc_u32 s21, s21, 0
	s_cmp_lg_u32 s23, 0
	v_or_b32_e32 v23, v4, v23
	v_or_b32_e32 v24, v5, v24
	s_cbranch_scc1 .LBB4_318
.LBB4_319:                              ;   in Loop: Header=BB4_273 Depth=1
	s_cbranch_execz .LBB4_321
	s_branch .LBB4_322
.LBB4_320:                              ;   in Loop: Header=BB4_273 Depth=1
.LBB4_321:                              ;   in Loop: Header=BB4_273 Depth=1
	global_load_dwordx2 v[23:24], v6, s[4:5]
.LBB4_322:                              ;   in Loop: Header=BB4_273 Depth=1
	v_readfirstlane_b32 s4, v49
	s_waitcnt vmcnt(0)
	v_mov_b32_e32 v4, 0
	v_mov_b32_e32 v5, 0
	v_cmp_eq_u32_e64 s4, s4, v49
	s_and_saveexec_b32 s5, s4
	s_cbranch_execz .LBB4_328
; %bb.323:                              ;   in Loop: Header=BB4_273 Depth=1
	global_load_dwordx2 v[27:28], v6, s[26:27] offset:24 glc dlc
	s_waitcnt vmcnt(0)
	buffer_gl1_inv
	buffer_gl0_inv
	s_clause 0x1
	global_load_dwordx2 v[4:5], v6, s[26:27] offset:40
	global_load_dwordx2 v[9:10], v6, s[26:27]
	s_mov_b32 s18, exec_lo
	s_waitcnt vmcnt(1)
	v_and_b32_e32 v5, v5, v28
	v_and_b32_e32 v4, v4, v27
	v_mul_lo_u32 v5, v5, 24
	v_mul_hi_u32 v25, v4, 24
	v_mul_lo_u32 v4, v4, 24
	v_add_nc_u32_e32 v5, v25, v5
	s_waitcnt vmcnt(0)
	v_add_co_u32 v4, vcc_lo, v9, v4
	v_add_co_ci_u32_e32 v5, vcc_lo, v10, v5, vcc_lo
	global_load_dwordx2 v[25:26], v[4:5], off glc dlc
	s_waitcnt vmcnt(0)
	global_atomic_cmpswap_x2 v[4:5], v6, v[25:28], s[26:27] offset:24 glc
	s_waitcnt vmcnt(0)
	buffer_gl1_inv
	buffer_gl0_inv
	v_cmpx_ne_u64_e64 v[4:5], v[27:28]
	s_cbranch_execz .LBB4_327
; %bb.324:                              ;   in Loop: Header=BB4_273 Depth=1
	s_mov_b32 s19, 0
	.p2align	6
.LBB4_325:                              ;   Parent Loop BB4_273 Depth=1
                                        ; =>  This Inner Loop Header: Depth=2
	s_sleep 1
	s_clause 0x1
	global_load_dwordx2 v[9:10], v6, s[26:27] offset:40
	global_load_dwordx2 v[25:26], v6, s[26:27]
	v_mov_b32_e32 v28, v5
	v_mov_b32_e32 v27, v4
	s_waitcnt vmcnt(1)
	v_and_b32_e32 v4, v9, v27
	v_and_b32_e32 v9, v10, v28
	s_waitcnt vmcnt(0)
	v_mad_u64_u32 v[4:5], null, v4, 24, v[25:26]
	v_mad_u64_u32 v[9:10], null, v9, 24, v[5:6]
	v_mov_b32_e32 v5, v9
	global_load_dwordx2 v[25:26], v[4:5], off glc dlc
	s_waitcnt vmcnt(0)
	global_atomic_cmpswap_x2 v[4:5], v6, v[25:28], s[26:27] offset:24 glc
	s_waitcnt vmcnt(0)
	buffer_gl1_inv
	buffer_gl0_inv
	v_cmp_eq_u64_e32 vcc_lo, v[4:5], v[27:28]
	s_or_b32 s19, vcc_lo, s19
	s_andn2_b32 exec_lo, exec_lo, s19
	s_cbranch_execnz .LBB4_325
; %bb.326:                              ;   in Loop: Header=BB4_273 Depth=1
	s_or_b32 exec_lo, exec_lo, s19
.LBB4_327:                              ;   in Loop: Header=BB4_273 Depth=1
	s_or_b32 exec_lo, exec_lo, s18
.LBB4_328:                              ;   in Loop: Header=BB4_273 Depth=1
	s_or_b32 exec_lo, exec_lo, s5
	s_clause 0x1
	global_load_dwordx2 v[9:10], v6, s[26:27] offset:40
	global_load_dwordx4 v[25:28], v6, s[26:27]
	v_readfirstlane_b32 s18, v4
	v_readfirstlane_b32 s19, v5
	s_mov_b32 s5, exec_lo
	s_waitcnt vmcnt(1)
	v_readfirstlane_b32 s20, v9
	v_readfirstlane_b32 s21, v10
	s_and_b64 s[20:21], s[18:19], s[20:21]
	s_mul_i32 s22, s21, 24
	s_mul_hi_u32 s23, s20, 24
	s_mul_i32 s24, s20, 24
	s_add_i32 s23, s23, s22
	s_waitcnt vmcnt(0)
	v_add_co_u32 v29, vcc_lo, v25, s24
	v_add_co_ci_u32_e32 v30, vcc_lo, s23, v26, vcc_lo
	s_and_saveexec_b32 s22, s4
	s_cbranch_execz .LBB4_330
; %bb.329:                              ;   in Loop: Header=BB4_273 Depth=1
	v_mov_b32_e32 v5, s5
	global_store_dwordx4 v[29:30], v[5:8], off offset:8
.LBB4_330:                              ;   in Loop: Header=BB4_273 Depth=1
	s_or_b32 exec_lo, exec_lo, s22
	s_lshl_b64 s[20:21], s[20:21], 12
	v_cmp_gt_u64_e64 vcc_lo, s[10:11], 56
	v_or_b32_e32 v5, v2, v31
	v_add_co_u32 v27, s5, v27, s20
	v_add_co_ci_u32_e64 v28, s5, s21, v28, s5
	s_lshl_b32 s5, s16, 2
	v_or_b32_e32 v4, 0, v3
	v_cndmask_b32_e32 v2, v5, v2, vcc_lo
	s_add_i32 s5, s5, 28
	v_readfirstlane_b32 s20, v27
	s_and_b32 s5, s5, 0x1e0
	v_cndmask_b32_e32 v10, v4, v3, vcc_lo
	v_readfirstlane_b32 s21, v28
	v_and_or_b32 v9, 0xffffff1f, v2, s5
	global_store_dwordx4 v48, v[9:12], s[20:21]
	global_store_dwordx4 v48, v[13:16], s[20:21] offset:16
	global_store_dwordx4 v48, v[17:20], s[20:21] offset:32
	;; [unrolled: 1-line block ×3, first 2 shown]
	s_and_saveexec_b32 s5, s4
	s_cbranch_execz .LBB4_338
; %bb.331:                              ;   in Loop: Header=BB4_273 Depth=1
	s_clause 0x1
	global_load_dwordx2 v[13:14], v6, s[26:27] offset:32 glc dlc
	global_load_dwordx2 v[2:3], v6, s[26:27] offset:40
	v_mov_b32_e32 v11, s18
	v_mov_b32_e32 v12, s19
	s_waitcnt vmcnt(0)
	v_readfirstlane_b32 s20, v2
	v_readfirstlane_b32 s21, v3
	s_and_b64 s[20:21], s[20:21], s[18:19]
	s_mul_i32 s21, s21, 24
	s_mul_hi_u32 s22, s20, 24
	s_mul_i32 s20, s20, 24
	s_add_i32 s22, s22, s21
	v_add_co_u32 v9, vcc_lo, v25, s20
	v_add_co_ci_u32_e32 v10, vcc_lo, s22, v26, vcc_lo
	s_mov_b32 s20, exec_lo
	global_store_dwordx2 v[9:10], v[13:14], off
	s_waitcnt_vscnt null, 0x0
	global_atomic_cmpswap_x2 v[4:5], v6, v[11:14], s[26:27] offset:32 glc
	s_waitcnt vmcnt(0)
	v_cmpx_ne_u64_e64 v[4:5], v[13:14]
	s_cbranch_execz .LBB4_334
; %bb.332:                              ;   in Loop: Header=BB4_273 Depth=1
	s_mov_b32 s21, 0
.LBB4_333:                              ;   Parent Loop BB4_273 Depth=1
                                        ; =>  This Inner Loop Header: Depth=2
	v_mov_b32_e32 v2, s18
	v_mov_b32_e32 v3, s19
	s_sleep 1
	global_store_dwordx2 v[9:10], v[4:5], off
	s_waitcnt_vscnt null, 0x0
	global_atomic_cmpswap_x2 v[2:3], v6, v[2:5], s[26:27] offset:32 glc
	s_waitcnt vmcnt(0)
	v_cmp_eq_u64_e32 vcc_lo, v[2:3], v[4:5]
	v_mov_b32_e32 v5, v3
	v_mov_b32_e32 v4, v2
	s_or_b32 s21, vcc_lo, s21
	s_andn2_b32 exec_lo, exec_lo, s21
	s_cbranch_execnz .LBB4_333
.LBB4_334:                              ;   in Loop: Header=BB4_273 Depth=1
	s_or_b32 exec_lo, exec_lo, s20
	global_load_dwordx2 v[2:3], v6, s[26:27] offset:16
	s_mov_b32 s21, exec_lo
	s_mov_b32 s20, exec_lo
	v_mbcnt_lo_u32_b32 v4, s21, 0
	v_cmpx_eq_u32_e32 0, v4
	s_cbranch_execz .LBB4_336
; %bb.335:                              ;   in Loop: Header=BB4_273 Depth=1
	s_bcnt1_i32_b32 s21, s21
	v_mov_b32_e32 v5, s21
	s_waitcnt vmcnt(0)
	global_atomic_add_x2 v[2:3], v[5:6], off offset:8
.LBB4_336:                              ;   in Loop: Header=BB4_273 Depth=1
	s_or_b32 exec_lo, exec_lo, s20
	s_waitcnt vmcnt(0)
	global_load_dwordx2 v[9:10], v[2:3], off offset:16
	s_waitcnt vmcnt(0)
	v_cmp_eq_u64_e32 vcc_lo, 0, v[9:10]
	s_cbranch_vccnz .LBB4_338
; %bb.337:                              ;   in Loop: Header=BB4_273 Depth=1
	global_load_dword v5, v[2:3], off offset:24
	s_waitcnt vmcnt(0)
	v_and_b32_e32 v2, 0x7fffff, v5
	s_waitcnt_vscnt null, 0x0
	global_store_dwordx2 v[9:10], v[5:6], off
	v_readfirstlane_b32 m0, v2
	s_sendmsg sendmsg(MSG_INTERRUPT)
.LBB4_338:                              ;   in Loop: Header=BB4_273 Depth=1
	s_or_b32 exec_lo, exec_lo, s5
	v_add_co_u32 v2, vcc_lo, v27, v48
	v_add_co_ci_u32_e32 v3, vcc_lo, 0, v28, vcc_lo
	s_branch .LBB4_342
	.p2align	6
.LBB4_339:                              ;   in Loop: Header=BB4_342 Depth=2
	s_or_b32 exec_lo, exec_lo, s5
	v_readfirstlane_b32 s5, v4
	s_cmp_eq_u32 s5, 0
	s_cbranch_scc1 .LBB4_341
; %bb.340:                              ;   in Loop: Header=BB4_342 Depth=2
	s_sleep 1
	s_cbranch_execnz .LBB4_342
	s_branch .LBB4_344
	.p2align	6
.LBB4_341:                              ;   in Loop: Header=BB4_273 Depth=1
	s_branch .LBB4_344
.LBB4_342:                              ;   Parent Loop BB4_273 Depth=1
                                        ; =>  This Inner Loop Header: Depth=2
	v_mov_b32_e32 v4, 1
	s_and_saveexec_b32 s5, s4
	s_cbranch_execz .LBB4_339
; %bb.343:                              ;   in Loop: Header=BB4_342 Depth=2
	global_load_dword v4, v[29:30], off offset:20 glc dlc
	s_waitcnt vmcnt(0)
	buffer_gl1_inv
	buffer_gl0_inv
	v_and_b32_e32 v4, 1, v4
	s_branch .LBB4_339
.LBB4_344:                              ;   in Loop: Header=BB4_273 Depth=1
	global_load_dwordx4 v[2:5], v[2:3], off
	s_and_saveexec_b32 s5, s4
	s_cbranch_execz .LBB4_272
; %bb.345:                              ;   in Loop: Header=BB4_273 Depth=1
	s_clause 0x2
	global_load_dwordx2 v[4:5], v6, s[26:27] offset:40
	global_load_dwordx2 v[13:14], v6, s[26:27] offset:24 glc dlc
	global_load_dwordx2 v[11:12], v6, s[26:27]
	s_waitcnt vmcnt(2)
	v_add_co_u32 v15, vcc_lo, v4, 1
	v_add_co_ci_u32_e32 v16, vcc_lo, 0, v5, vcc_lo
	v_add_co_u32 v9, vcc_lo, v15, s18
	v_add_co_ci_u32_e32 v10, vcc_lo, s19, v16, vcc_lo
	v_cmp_eq_u64_e32 vcc_lo, 0, v[9:10]
	v_cndmask_b32_e32 v10, v10, v16, vcc_lo
	v_cndmask_b32_e32 v9, v9, v15, vcc_lo
	v_and_b32_e32 v5, v10, v5
	v_and_b32_e32 v4, v9, v4
	v_mul_lo_u32 v5, v5, 24
	v_mul_hi_u32 v15, v4, 24
	v_mul_lo_u32 v4, v4, 24
	v_add_nc_u32_e32 v5, v15, v5
	s_waitcnt vmcnt(0)
	v_add_co_u32 v4, vcc_lo, v11, v4
	v_mov_b32_e32 v11, v13
	v_add_co_ci_u32_e32 v5, vcc_lo, v12, v5, vcc_lo
	v_mov_b32_e32 v12, v14
	global_store_dwordx2 v[4:5], v[13:14], off
	s_waitcnt_vscnt null, 0x0
	global_atomic_cmpswap_x2 v[11:12], v6, v[9:12], s[26:27] offset:24 glc
	s_waitcnt vmcnt(0)
	v_cmp_ne_u64_e32 vcc_lo, v[11:12], v[13:14]
	s_and_b32 exec_lo, exec_lo, vcc_lo
	s_cbranch_execz .LBB4_272
; %bb.346:                              ;   in Loop: Header=BB4_273 Depth=1
	s_mov_b32 s4, 0
.LBB4_347:                              ;   Parent Loop BB4_273 Depth=1
                                        ; =>  This Inner Loop Header: Depth=2
	s_sleep 1
	global_store_dwordx2 v[4:5], v[11:12], off
	s_waitcnt_vscnt null, 0x0
	global_atomic_cmpswap_x2 v[13:14], v6, v[9:12], s[26:27] offset:24 glc
	s_waitcnt vmcnt(0)
	v_cmp_eq_u64_e32 vcc_lo, v[13:14], v[11:12]
	v_mov_b32_e32 v11, v13
	v_mov_b32_e32 v12, v14
	s_or_b32 s4, vcc_lo, s4
	s_andn2_b32 exec_lo, exec_lo, s4
	s_cbranch_execnz .LBB4_347
	s_branch .LBB4_272
.LBB4_348:
	s_branch .LBB4_377
.LBB4_349:
                                        ; implicit-def: $vgpr2_vgpr3
	s_cbranch_execz .LBB4_377
; %bb.350:
	v_readfirstlane_b32 s4, v49
	v_mov_b32_e32 v8, 0
	v_mov_b32_e32 v9, 0
	v_cmp_eq_u32_e64 s4, s4, v49
	s_and_saveexec_b32 s5, s4
	s_cbranch_execz .LBB4_356
; %bb.351:
	s_waitcnt vmcnt(0)
	v_mov_b32_e32 v2, 0
	s_mov_b32 s6, exec_lo
	global_load_dwordx2 v[5:6], v2, s[26:27] offset:24 glc dlc
	s_waitcnt vmcnt(0)
	buffer_gl1_inv
	buffer_gl0_inv
	s_clause 0x1
	global_load_dwordx2 v[3:4], v2, s[26:27] offset:40
	global_load_dwordx2 v[7:8], v2, s[26:27]
	s_waitcnt vmcnt(1)
	v_and_b32_e32 v4, v4, v6
	v_and_b32_e32 v3, v3, v5
	v_mul_lo_u32 v4, v4, 24
	v_mul_hi_u32 v9, v3, 24
	v_mul_lo_u32 v3, v3, 24
	v_add_nc_u32_e32 v4, v9, v4
	s_waitcnt vmcnt(0)
	v_add_co_u32 v3, vcc_lo, v7, v3
	v_add_co_ci_u32_e32 v4, vcc_lo, v8, v4, vcc_lo
	global_load_dwordx2 v[3:4], v[3:4], off glc dlc
	s_waitcnt vmcnt(0)
	global_atomic_cmpswap_x2 v[8:9], v2, v[3:6], s[26:27] offset:24 glc
	s_waitcnt vmcnt(0)
	buffer_gl1_inv
	buffer_gl0_inv
	v_cmpx_ne_u64_e64 v[8:9], v[5:6]
	s_cbranch_execz .LBB4_355
; %bb.352:
	s_mov_b32 s7, 0
	.p2align	6
.LBB4_353:                              ; =>This Inner Loop Header: Depth=1
	s_sleep 1
	s_clause 0x1
	global_load_dwordx2 v[3:4], v2, s[26:27] offset:40
	global_load_dwordx2 v[10:11], v2, s[26:27]
	v_mov_b32_e32 v5, v8
	v_mov_b32_e32 v6, v9
	s_waitcnt vmcnt(1)
	v_and_b32_e32 v3, v3, v5
	v_and_b32_e32 v4, v4, v6
	s_waitcnt vmcnt(0)
	v_mad_u64_u32 v[7:8], null, v3, 24, v[10:11]
	v_mov_b32_e32 v3, v8
	v_mad_u64_u32 v[3:4], null, v4, 24, v[3:4]
	v_mov_b32_e32 v8, v3
	global_load_dwordx2 v[3:4], v[7:8], off glc dlc
	s_waitcnt vmcnt(0)
	global_atomic_cmpswap_x2 v[8:9], v2, v[3:6], s[26:27] offset:24 glc
	s_waitcnt vmcnt(0)
	buffer_gl1_inv
	buffer_gl0_inv
	v_cmp_eq_u64_e32 vcc_lo, v[8:9], v[5:6]
	s_or_b32 s7, vcc_lo, s7
	s_andn2_b32 exec_lo, exec_lo, s7
	s_cbranch_execnz .LBB4_353
; %bb.354:
	s_or_b32 exec_lo, exec_lo, s7
.LBB4_355:
	s_or_b32 exec_lo, exec_lo, s6
.LBB4_356:
	s_or_b32 exec_lo, exec_lo, s5
	s_waitcnt vmcnt(0)
	v_mov_b32_e32 v2, 0
	v_readfirstlane_b32 s6, v8
	v_readfirstlane_b32 s7, v9
	s_mov_b32 s5, exec_lo
	s_clause 0x1
	global_load_dwordx2 v[10:11], v2, s[26:27] offset:40
	global_load_dwordx4 v[4:7], v2, s[26:27]
	s_waitcnt vmcnt(1)
	v_readfirstlane_b32 s10, v10
	v_readfirstlane_b32 s11, v11
	s_and_b64 s[10:11], s[6:7], s[10:11]
	s_mul_i32 s16, s11, 24
	s_mul_hi_u32 s17, s10, 24
	s_mul_i32 s18, s10, 24
	s_add_i32 s17, s17, s16
	s_waitcnt vmcnt(0)
	v_add_co_u32 v8, vcc_lo, v4, s18
	v_add_co_ci_u32_e32 v9, vcc_lo, s17, v5, vcc_lo
	s_and_saveexec_b32 s16, s4
	s_cbranch_execz .LBB4_358
; %bb.357:
	v_mov_b32_e32 v10, s5
	v_mov_b32_e32 v11, v2
	;; [unrolled: 1-line block ×4, first 2 shown]
	global_store_dwordx4 v[8:9], v[10:13], off offset:8
.LBB4_358:
	s_or_b32 exec_lo, exec_lo, s16
	s_lshl_b64 s[10:11], s[10:11], 12
	s_mov_b32 s16, 0
	v_add_co_u32 v6, vcc_lo, v6, s10
	v_add_co_ci_u32_e32 v7, vcc_lo, s11, v7, vcc_lo
	s_mov_b32 s17, s16
	v_readfirstlane_b32 s10, v6
	v_add_co_u32 v6, vcc_lo, v6, v48
	s_mov_b32 s18, s16
	s_mov_b32 s19, s16
	v_and_or_b32 v0, 0xffffff1f, v0, 32
	v_mov_b32_e32 v3, v2
	v_readfirstlane_b32 s11, v7
	v_mov_b32_e32 v10, s16
	v_add_co_ci_u32_e32 v7, vcc_lo, 0, v7, vcc_lo
	v_mov_b32_e32 v11, s17
	v_mov_b32_e32 v12, s18
	;; [unrolled: 1-line block ×3, first 2 shown]
	global_store_dwordx4 v48, v[0:3], s[10:11]
	global_store_dwordx4 v48, v[10:13], s[10:11] offset:16
	global_store_dwordx4 v48, v[10:13], s[10:11] offset:32
	;; [unrolled: 1-line block ×3, first 2 shown]
	s_and_saveexec_b32 s5, s4
	s_cbranch_execz .LBB4_366
; %bb.359:
	v_mov_b32_e32 v10, 0
	v_mov_b32_e32 v11, s6
	;; [unrolled: 1-line block ×3, first 2 shown]
	s_clause 0x1
	global_load_dwordx2 v[13:14], v10, s[26:27] offset:32 glc dlc
	global_load_dwordx2 v[0:1], v10, s[26:27] offset:40
	s_waitcnt vmcnt(0)
	v_readfirstlane_b32 s10, v0
	v_readfirstlane_b32 s11, v1
	s_and_b64 s[10:11], s[10:11], s[6:7]
	s_mul_i32 s11, s11, 24
	s_mul_hi_u32 s16, s10, 24
	s_mul_i32 s10, s10, 24
	s_add_i32 s16, s16, s11
	v_add_co_u32 v4, vcc_lo, v4, s10
	v_add_co_ci_u32_e32 v5, vcc_lo, s16, v5, vcc_lo
	s_mov_b32 s10, exec_lo
	global_store_dwordx2 v[4:5], v[13:14], off
	s_waitcnt_vscnt null, 0x0
	global_atomic_cmpswap_x2 v[2:3], v10, v[11:14], s[26:27] offset:32 glc
	s_waitcnt vmcnt(0)
	v_cmpx_ne_u64_e64 v[2:3], v[13:14]
	s_cbranch_execz .LBB4_362
; %bb.360:
	s_mov_b32 s11, 0
.LBB4_361:                              ; =>This Inner Loop Header: Depth=1
	v_mov_b32_e32 v0, s6
	v_mov_b32_e32 v1, s7
	s_sleep 1
	global_store_dwordx2 v[4:5], v[2:3], off
	s_waitcnt_vscnt null, 0x0
	global_atomic_cmpswap_x2 v[0:1], v10, v[0:3], s[26:27] offset:32 glc
	s_waitcnt vmcnt(0)
	v_cmp_eq_u64_e32 vcc_lo, v[0:1], v[2:3]
	v_mov_b32_e32 v3, v1
	v_mov_b32_e32 v2, v0
	s_or_b32 s11, vcc_lo, s11
	s_andn2_b32 exec_lo, exec_lo, s11
	s_cbranch_execnz .LBB4_361
.LBB4_362:
	s_or_b32 exec_lo, exec_lo, s10
	v_mov_b32_e32 v3, 0
	s_mov_b32 s11, exec_lo
	s_mov_b32 s10, exec_lo
	v_mbcnt_lo_u32_b32 v2, s11, 0
	global_load_dwordx2 v[0:1], v3, s[26:27] offset:16
	v_cmpx_eq_u32_e32 0, v2
	s_cbranch_execz .LBB4_364
; %bb.363:
	s_bcnt1_i32_b32 s11, s11
	v_mov_b32_e32 v2, s11
	s_waitcnt vmcnt(0)
	global_atomic_add_x2 v[0:1], v[2:3], off offset:8
.LBB4_364:
	s_or_b32 exec_lo, exec_lo, s10
	s_waitcnt vmcnt(0)
	global_load_dwordx2 v[2:3], v[0:1], off offset:16
	s_waitcnt vmcnt(0)
	v_cmp_eq_u64_e32 vcc_lo, 0, v[2:3]
	s_cbranch_vccnz .LBB4_366
; %bb.365:
	global_load_dword v0, v[0:1], off offset:24
	v_mov_b32_e32 v1, 0
	s_waitcnt vmcnt(0)
	v_and_b32_e32 v4, 0x7fffff, v0
	s_waitcnt_vscnt null, 0x0
	global_store_dwordx2 v[2:3], v[0:1], off
	v_readfirstlane_b32 m0, v4
	s_sendmsg sendmsg(MSG_INTERRUPT)
.LBB4_366:
	s_or_b32 exec_lo, exec_lo, s5
	s_branch .LBB4_370
	.p2align	6
.LBB4_367:                              ;   in Loop: Header=BB4_370 Depth=1
	s_or_b32 exec_lo, exec_lo, s5
	v_readfirstlane_b32 s5, v0
	s_cmp_eq_u32 s5, 0
	s_cbranch_scc1 .LBB4_369
; %bb.368:                              ;   in Loop: Header=BB4_370 Depth=1
	s_sleep 1
	s_cbranch_execnz .LBB4_370
	s_branch .LBB4_372
	.p2align	6
.LBB4_369:
	s_branch .LBB4_372
.LBB4_370:                              ; =>This Inner Loop Header: Depth=1
	v_mov_b32_e32 v0, 1
	s_and_saveexec_b32 s5, s4
	s_cbranch_execz .LBB4_367
; %bb.371:                              ;   in Loop: Header=BB4_370 Depth=1
	global_load_dword v0, v[8:9], off offset:20 glc dlc
	s_waitcnt vmcnt(0)
	buffer_gl1_inv
	buffer_gl0_inv
	v_and_b32_e32 v0, 1, v0
	s_branch .LBB4_367
.LBB4_372:
	global_load_dwordx2 v[2:3], v[6:7], off
	s_and_saveexec_b32 s5, s4
	s_cbranch_execz .LBB4_376
; %bb.373:
	v_mov_b32_e32 v8, 0
	s_clause 0x2
	global_load_dwordx2 v[0:1], v8, s[26:27] offset:40
	global_load_dwordx2 v[9:10], v8, s[26:27] offset:24 glc dlc
	global_load_dwordx2 v[6:7], v8, s[26:27]
	s_waitcnt vmcnt(2)
	v_add_co_u32 v11, vcc_lo, v0, 1
	v_add_co_ci_u32_e32 v12, vcc_lo, 0, v1, vcc_lo
	v_add_co_u32 v4, vcc_lo, v11, s6
	v_add_co_ci_u32_e32 v5, vcc_lo, s7, v12, vcc_lo
	v_cmp_eq_u64_e32 vcc_lo, 0, v[4:5]
	v_cndmask_b32_e32 v5, v5, v12, vcc_lo
	v_cndmask_b32_e32 v4, v4, v11, vcc_lo
	v_and_b32_e32 v1, v5, v1
	v_and_b32_e32 v0, v4, v0
	v_mul_lo_u32 v1, v1, 24
	v_mul_hi_u32 v11, v0, 24
	v_mul_lo_u32 v0, v0, 24
	v_add_nc_u32_e32 v1, v11, v1
	s_waitcnt vmcnt(0)
	v_add_co_u32 v0, vcc_lo, v6, v0
	v_mov_b32_e32 v6, v9
	v_add_co_ci_u32_e32 v1, vcc_lo, v7, v1, vcc_lo
	v_mov_b32_e32 v7, v10
	global_store_dwordx2 v[0:1], v[9:10], off
	s_waitcnt_vscnt null, 0x0
	global_atomic_cmpswap_x2 v[6:7], v8, v[4:7], s[26:27] offset:24 glc
	s_waitcnt vmcnt(0)
	v_cmp_ne_u64_e32 vcc_lo, v[6:7], v[9:10]
	s_and_b32 exec_lo, exec_lo, vcc_lo
	s_cbranch_execz .LBB4_376
; %bb.374:
	s_mov_b32 s4, 0
.LBB4_375:                              ; =>This Inner Loop Header: Depth=1
	s_sleep 1
	global_store_dwordx2 v[0:1], v[6:7], off
	s_waitcnt_vscnt null, 0x0
	global_atomic_cmpswap_x2 v[9:10], v8, v[4:7], s[26:27] offset:24 glc
	s_waitcnt vmcnt(0)
	v_cmp_eq_u64_e32 vcc_lo, v[9:10], v[6:7]
	v_mov_b32_e32 v6, v9
	v_mov_b32_e32 v7, v10
	s_or_b32 s4, vcc_lo, s4
	s_andn2_b32 exec_lo, exec_lo, s4
	s_cbranch_execnz .LBB4_375
.LBB4_376:
	s_or_b32 exec_lo, exec_lo, s5
.LBB4_377:
	v_readfirstlane_b32 s4, v49
	s_waitcnt vmcnt(0)
	v_mov_b32_e32 v0, 0
	v_mov_b32_e32 v1, 0
	v_cmp_eq_u32_e64 s4, s4, v49
	s_and_saveexec_b32 s5, s4
	s_cbranch_execz .LBB4_383
; %bb.378:
	v_mov_b32_e32 v4, 0
	s_mov_b32 s6, exec_lo
	global_load_dwordx2 v[7:8], v4, s[26:27] offset:24 glc dlc
	s_waitcnt vmcnt(0)
	buffer_gl1_inv
	buffer_gl0_inv
	s_clause 0x1
	global_load_dwordx2 v[0:1], v4, s[26:27] offset:40
	global_load_dwordx2 v[5:6], v4, s[26:27]
	s_waitcnt vmcnt(1)
	v_and_b32_e32 v1, v1, v8
	v_and_b32_e32 v0, v0, v7
	v_mul_lo_u32 v1, v1, 24
	v_mul_hi_u32 v9, v0, 24
	v_mul_lo_u32 v0, v0, 24
	v_add_nc_u32_e32 v1, v9, v1
	s_waitcnt vmcnt(0)
	v_add_co_u32 v0, vcc_lo, v5, v0
	v_add_co_ci_u32_e32 v1, vcc_lo, v6, v1, vcc_lo
	global_load_dwordx2 v[5:6], v[0:1], off glc dlc
	s_waitcnt vmcnt(0)
	global_atomic_cmpswap_x2 v[0:1], v4, v[5:8], s[26:27] offset:24 glc
	s_waitcnt vmcnt(0)
	buffer_gl1_inv
	buffer_gl0_inv
	v_cmpx_ne_u64_e64 v[0:1], v[7:8]
	s_cbranch_execz .LBB4_382
; %bb.379:
	s_mov_b32 s7, 0
	.p2align	6
.LBB4_380:                              ; =>This Inner Loop Header: Depth=1
	s_sleep 1
	s_clause 0x1
	global_load_dwordx2 v[5:6], v4, s[26:27] offset:40
	global_load_dwordx2 v[9:10], v4, s[26:27]
	v_mov_b32_e32 v8, v1
	v_mov_b32_e32 v7, v0
	s_waitcnt vmcnt(1)
	v_and_b32_e32 v0, v5, v7
	v_and_b32_e32 v5, v6, v8
	s_waitcnt vmcnt(0)
	v_mad_u64_u32 v[0:1], null, v0, 24, v[9:10]
	v_mad_u64_u32 v[5:6], null, v5, 24, v[1:2]
	v_mov_b32_e32 v1, v5
	global_load_dwordx2 v[5:6], v[0:1], off glc dlc
	s_waitcnt vmcnt(0)
	global_atomic_cmpswap_x2 v[0:1], v4, v[5:8], s[26:27] offset:24 glc
	s_waitcnt vmcnt(0)
	buffer_gl1_inv
	buffer_gl0_inv
	v_cmp_eq_u64_e32 vcc_lo, v[0:1], v[7:8]
	s_or_b32 s7, vcc_lo, s7
	s_andn2_b32 exec_lo, exec_lo, s7
	s_cbranch_execnz .LBB4_380
; %bb.381:
	s_or_b32 exec_lo, exec_lo, s7
.LBB4_382:
	s_or_b32 exec_lo, exec_lo, s6
.LBB4_383:
	s_or_b32 exec_lo, exec_lo, s5
	v_mov_b32_e32 v5, 0
	v_readfirstlane_b32 s6, v0
	v_readfirstlane_b32 s7, v1
	s_mov_b32 s5, exec_lo
	s_clause 0x1
	global_load_dwordx2 v[10:11], v5, s[26:27] offset:40
	global_load_dwordx4 v[6:9], v5, s[26:27]
	s_waitcnt vmcnt(1)
	v_readfirstlane_b32 s10, v10
	v_readfirstlane_b32 s11, v11
	s_and_b64 s[10:11], s[6:7], s[10:11]
	s_mul_i32 s16, s11, 24
	s_mul_hi_u32 s17, s10, 24
	s_mul_i32 s18, s10, 24
	s_add_i32 s17, s17, s16
	s_waitcnt vmcnt(0)
	v_add_co_u32 v10, vcc_lo, v6, s18
	v_add_co_ci_u32_e32 v11, vcc_lo, s17, v7, vcc_lo
	s_and_saveexec_b32 s16, s4
	s_cbranch_execz .LBB4_385
; %bb.384:
	v_mov_b32_e32 v4, s5
	v_mov_b32_e32 v13, v5
	;; [unrolled: 1-line block ×5, first 2 shown]
	global_store_dwordx4 v[10:11], v[12:15], off offset:8
.LBB4_385:
	s_or_b32 exec_lo, exec_lo, s16
	s_lshl_b64 s[10:11], s[10:11], 12
	s_mov_b32 s16, 0
	v_add_co_u32 v0, vcc_lo, v8, s10
	v_add_co_ci_u32_e32 v1, vcc_lo, s11, v9, vcc_lo
	s_mov_b32 s17, s16
	s_mov_b32 s18, s16
	;; [unrolled: 1-line block ×3, first 2 shown]
	v_and_or_b32 v2, 0xffffff1d, v2, 34
	v_mov_b32_e32 v4, 10
	v_readfirstlane_b32 s10, v0
	v_readfirstlane_b32 s11, v1
	v_mov_b32_e32 v12, s16
	v_mov_b32_e32 v13, s17
	;; [unrolled: 1-line block ×4, first 2 shown]
	global_store_dwordx4 v48, v[2:5], s[10:11]
	global_store_dwordx4 v48, v[12:15], s[10:11] offset:16
	global_store_dwordx4 v48, v[12:15], s[10:11] offset:32
	;; [unrolled: 1-line block ×3, first 2 shown]
	s_and_saveexec_b32 s5, s4
	s_cbranch_execz .LBB4_393
; %bb.386:
	v_mov_b32_e32 v8, 0
	v_mov_b32_e32 v12, s6
	;; [unrolled: 1-line block ×3, first 2 shown]
	s_clause 0x1
	global_load_dwordx2 v[14:15], v8, s[26:27] offset:32 glc dlc
	global_load_dwordx2 v[0:1], v8, s[26:27] offset:40
	s_waitcnt vmcnt(0)
	v_readfirstlane_b32 s10, v0
	v_readfirstlane_b32 s11, v1
	s_and_b64 s[10:11], s[10:11], s[6:7]
	s_mul_i32 s11, s11, 24
	s_mul_hi_u32 s16, s10, 24
	s_mul_i32 s10, s10, 24
	s_add_i32 s16, s16, s11
	v_add_co_u32 v4, vcc_lo, v6, s10
	v_add_co_ci_u32_e32 v5, vcc_lo, s16, v7, vcc_lo
	s_mov_b32 s10, exec_lo
	global_store_dwordx2 v[4:5], v[14:15], off
	s_waitcnt_vscnt null, 0x0
	global_atomic_cmpswap_x2 v[2:3], v8, v[12:15], s[26:27] offset:32 glc
	s_waitcnt vmcnt(0)
	v_cmpx_ne_u64_e64 v[2:3], v[14:15]
	s_cbranch_execz .LBB4_389
; %bb.387:
	s_mov_b32 s11, 0
.LBB4_388:                              ; =>This Inner Loop Header: Depth=1
	v_mov_b32_e32 v0, s6
	v_mov_b32_e32 v1, s7
	s_sleep 1
	global_store_dwordx2 v[4:5], v[2:3], off
	s_waitcnt_vscnt null, 0x0
	global_atomic_cmpswap_x2 v[0:1], v8, v[0:3], s[26:27] offset:32 glc
	s_waitcnt vmcnt(0)
	v_cmp_eq_u64_e32 vcc_lo, v[0:1], v[2:3]
	v_mov_b32_e32 v3, v1
	v_mov_b32_e32 v2, v0
	s_or_b32 s11, vcc_lo, s11
	s_andn2_b32 exec_lo, exec_lo, s11
	s_cbranch_execnz .LBB4_388
.LBB4_389:
	s_or_b32 exec_lo, exec_lo, s10
	v_mov_b32_e32 v3, 0
	s_mov_b32 s11, exec_lo
	s_mov_b32 s10, exec_lo
	v_mbcnt_lo_u32_b32 v2, s11, 0
	global_load_dwordx2 v[0:1], v3, s[26:27] offset:16
	v_cmpx_eq_u32_e32 0, v2
	s_cbranch_execz .LBB4_391
; %bb.390:
	s_bcnt1_i32_b32 s11, s11
	v_mov_b32_e32 v2, s11
	s_waitcnt vmcnt(0)
	global_atomic_add_x2 v[0:1], v[2:3], off offset:8
.LBB4_391:
	s_or_b32 exec_lo, exec_lo, s10
	s_waitcnt vmcnt(0)
	global_load_dwordx2 v[2:3], v[0:1], off offset:16
	s_waitcnt vmcnt(0)
	v_cmp_eq_u64_e32 vcc_lo, 0, v[2:3]
	s_cbranch_vccnz .LBB4_393
; %bb.392:
	global_load_dword v0, v[0:1], off offset:24
	v_mov_b32_e32 v1, 0
	s_waitcnt vmcnt(0)
	v_and_b32_e32 v4, 0x7fffff, v0
	s_waitcnt_vscnt null, 0x0
	global_store_dwordx2 v[2:3], v[0:1], off
	v_readfirstlane_b32 m0, v4
	s_sendmsg sendmsg(MSG_INTERRUPT)
.LBB4_393:
	s_or_b32 exec_lo, exec_lo, s5
	s_branch .LBB4_397
	.p2align	6
.LBB4_394:                              ;   in Loop: Header=BB4_397 Depth=1
	s_or_b32 exec_lo, exec_lo, s5
	v_readfirstlane_b32 s5, v0
	s_cmp_eq_u32 s5, 0
	s_cbranch_scc1 .LBB4_396
; %bb.395:                              ;   in Loop: Header=BB4_397 Depth=1
	s_sleep 1
	s_cbranch_execnz .LBB4_397
	s_branch .LBB4_399
	.p2align	6
.LBB4_396:
	s_branch .LBB4_399
.LBB4_397:                              ; =>This Inner Loop Header: Depth=1
	v_mov_b32_e32 v0, 1
	s_and_saveexec_b32 s5, s4
	s_cbranch_execz .LBB4_394
; %bb.398:                              ;   in Loop: Header=BB4_397 Depth=1
	global_load_dword v0, v[10:11], off offset:20 glc dlc
	s_waitcnt vmcnt(0)
	buffer_gl1_inv
	buffer_gl0_inv
	v_and_b32_e32 v0, 1, v0
	s_branch .LBB4_394
.LBB4_399:
	s_and_saveexec_b32 s5, s4
	s_cbranch_execz .LBB4_403
; %bb.400:
	v_mov_b32_e32 v6, 0
	s_clause 0x2
	global_load_dwordx2 v[2:3], v6, s[26:27] offset:40
	global_load_dwordx2 v[7:8], v6, s[26:27] offset:24 glc dlc
	global_load_dwordx2 v[4:5], v6, s[26:27]
	s_waitcnt vmcnt(2)
	v_add_co_u32 v9, vcc_lo, v2, 1
	v_add_co_ci_u32_e32 v10, vcc_lo, 0, v3, vcc_lo
	v_add_co_u32 v0, vcc_lo, v9, s6
	v_add_co_ci_u32_e32 v1, vcc_lo, s7, v10, vcc_lo
	v_cmp_eq_u64_e32 vcc_lo, 0, v[0:1]
	v_cndmask_b32_e32 v1, v1, v10, vcc_lo
	v_cndmask_b32_e32 v0, v0, v9, vcc_lo
	v_and_b32_e32 v3, v1, v3
	v_and_b32_e32 v2, v0, v2
	v_mul_lo_u32 v3, v3, 24
	v_mul_hi_u32 v9, v2, 24
	v_mul_lo_u32 v2, v2, 24
	v_add_nc_u32_e32 v3, v9, v3
	s_waitcnt vmcnt(0)
	v_add_co_u32 v4, vcc_lo, v4, v2
	v_mov_b32_e32 v2, v7
	v_add_co_ci_u32_e32 v5, vcc_lo, v5, v3, vcc_lo
	v_mov_b32_e32 v3, v8
	global_store_dwordx2 v[4:5], v[7:8], off
	s_waitcnt_vscnt null, 0x0
	global_atomic_cmpswap_x2 v[2:3], v6, v[0:3], s[26:27] offset:24 glc
	s_waitcnt vmcnt(0)
	v_cmp_ne_u64_e32 vcc_lo, v[2:3], v[7:8]
	s_and_b32 exec_lo, exec_lo, vcc_lo
	s_cbranch_execz .LBB4_403
; %bb.401:
	s_mov_b32 s4, 0
.LBB4_402:                              ; =>This Inner Loop Header: Depth=1
	s_sleep 1
	global_store_dwordx2 v[4:5], v[2:3], off
	s_waitcnt_vscnt null, 0x0
	global_atomic_cmpswap_x2 v[7:8], v6, v[0:3], s[26:27] offset:24 glc
	s_waitcnt vmcnt(0)
	v_cmp_eq_u64_e32 vcc_lo, v[7:8], v[2:3]
	v_mov_b32_e32 v2, v7
	v_mov_b32_e32 v3, v8
	s_or_b32 s4, vcc_lo, s4
	s_andn2_b32 exec_lo, exec_lo, s4
	s_cbranch_execnz .LBB4_402
.LBB4_403:
	s_or_b32 exec_lo, exec_lo, s5
	v_readfirstlane_b32 s4, v49
	v_mov_b32_e32 v6, 0
	v_mov_b32_e32 v7, 0
	v_cmp_eq_u32_e64 s4, s4, v49
	s_and_saveexec_b32 s5, s4
	s_cbranch_execz .LBB4_409
; %bb.404:
	v_mov_b32_e32 v0, 0
	s_mov_b32 s6, exec_lo
	global_load_dwordx2 v[3:4], v0, s[26:27] offset:24 glc dlc
	s_waitcnt vmcnt(0)
	buffer_gl1_inv
	buffer_gl0_inv
	s_clause 0x1
	global_load_dwordx2 v[1:2], v0, s[26:27] offset:40
	global_load_dwordx2 v[5:6], v0, s[26:27]
	s_waitcnt vmcnt(1)
	v_and_b32_e32 v2, v2, v4
	v_and_b32_e32 v1, v1, v3
	v_mul_lo_u32 v2, v2, 24
	v_mul_hi_u32 v7, v1, 24
	v_mul_lo_u32 v1, v1, 24
	v_add_nc_u32_e32 v2, v7, v2
	s_waitcnt vmcnt(0)
	v_add_co_u32 v1, vcc_lo, v5, v1
	v_add_co_ci_u32_e32 v2, vcc_lo, v6, v2, vcc_lo
	global_load_dwordx2 v[1:2], v[1:2], off glc dlc
	s_waitcnt vmcnt(0)
	global_atomic_cmpswap_x2 v[6:7], v0, v[1:4], s[26:27] offset:24 glc
	s_waitcnt vmcnt(0)
	buffer_gl1_inv
	buffer_gl0_inv
	v_cmpx_ne_u64_e64 v[6:7], v[3:4]
	s_cbranch_execz .LBB4_408
; %bb.405:
	s_mov_b32 s7, 0
	.p2align	6
.LBB4_406:                              ; =>This Inner Loop Header: Depth=1
	s_sleep 1
	s_clause 0x1
	global_load_dwordx2 v[1:2], v0, s[26:27] offset:40
	global_load_dwordx2 v[8:9], v0, s[26:27]
	v_mov_b32_e32 v3, v6
	v_mov_b32_e32 v4, v7
	s_waitcnt vmcnt(1)
	v_and_b32_e32 v1, v1, v3
	v_and_b32_e32 v2, v2, v4
	s_waitcnt vmcnt(0)
	v_mad_u64_u32 v[5:6], null, v1, 24, v[8:9]
	v_mov_b32_e32 v1, v6
	v_mad_u64_u32 v[1:2], null, v2, 24, v[1:2]
	v_mov_b32_e32 v6, v1
	global_load_dwordx2 v[1:2], v[5:6], off glc dlc
	s_waitcnt vmcnt(0)
	global_atomic_cmpswap_x2 v[6:7], v0, v[1:4], s[26:27] offset:24 glc
	s_waitcnt vmcnt(0)
	buffer_gl1_inv
	buffer_gl0_inv
	v_cmp_eq_u64_e32 vcc_lo, v[6:7], v[3:4]
	s_or_b32 s7, vcc_lo, s7
	s_andn2_b32 exec_lo, exec_lo, s7
	s_cbranch_execnz .LBB4_406
; %bb.407:
	s_or_b32 exec_lo, exec_lo, s7
.LBB4_408:
	s_or_b32 exec_lo, exec_lo, s6
.LBB4_409:
	s_or_b32 exec_lo, exec_lo, s5
	v_mov_b32_e32 v5, 0
	v_readfirstlane_b32 s6, v6
	v_readfirstlane_b32 s7, v7
	s_mov_b32 s5, exec_lo
	s_clause 0x1
	global_load_dwordx2 v[8:9], v5, s[26:27] offset:40
	global_load_dwordx4 v[0:3], v5, s[26:27]
	s_waitcnt vmcnt(1)
	v_readfirstlane_b32 s10, v8
	v_readfirstlane_b32 s11, v9
	s_and_b64 s[10:11], s[6:7], s[10:11]
	s_mul_i32 s16, s11, 24
	s_mul_hi_u32 s17, s10, 24
	s_mul_i32 s18, s10, 24
	s_add_i32 s17, s17, s16
	s_waitcnt vmcnt(0)
	v_add_co_u32 v8, vcc_lo, v0, s18
	v_add_co_ci_u32_e32 v9, vcc_lo, s17, v1, vcc_lo
	s_and_saveexec_b32 s16, s4
	s_cbranch_execz .LBB4_411
; %bb.410:
	v_mov_b32_e32 v4, s5
	v_mov_b32_e32 v6, 2
	;; [unrolled: 1-line block ×3, first 2 shown]
	global_store_dwordx4 v[8:9], v[4:7], off offset:8
.LBB4_411:
	s_or_b32 exec_lo, exec_lo, s16
	s_lshl_b64 s[10:11], s[10:11], 12
	s_mov_b32 s16, 0
	v_add_co_u32 v2, vcc_lo, v2, s10
	v_add_co_ci_u32_e32 v3, vcc_lo, s11, v3, vcc_lo
	s_mov_b32 s17, s16
	v_add_co_u32 v10, vcc_lo, v2, v48
	s_mov_b32 s18, s16
	s_mov_b32 s19, s16
	v_mov_b32_e32 v4, 33
	v_mov_b32_e32 v6, v5
	;; [unrolled: 1-line block ×3, first 2 shown]
	v_readfirstlane_b32 s10, v2
	v_readfirstlane_b32 s11, v3
	v_mov_b32_e32 v12, s16
	v_add_co_ci_u32_e32 v11, vcc_lo, 0, v3, vcc_lo
	v_mov_b32_e32 v13, s17
	v_mov_b32_e32 v14, s18
	v_mov_b32_e32 v15, s19
	global_store_dwordx4 v48, v[4:7], s[10:11]
	global_store_dwordx4 v48, v[12:15], s[10:11] offset:16
	global_store_dwordx4 v48, v[12:15], s[10:11] offset:32
	;; [unrolled: 1-line block ×3, first 2 shown]
	s_and_saveexec_b32 s5, s4
	s_cbranch_execz .LBB4_419
; %bb.412:
	v_mov_b32_e32 v6, 0
	v_mov_b32_e32 v12, s6
	;; [unrolled: 1-line block ×3, first 2 shown]
	s_clause 0x1
	global_load_dwordx2 v[14:15], v6, s[26:27] offset:32 glc dlc
	global_load_dwordx2 v[2:3], v6, s[26:27] offset:40
	s_waitcnt vmcnt(0)
	v_readfirstlane_b32 s10, v2
	v_readfirstlane_b32 s11, v3
	s_and_b64 s[10:11], s[10:11], s[6:7]
	s_mul_i32 s11, s11, 24
	s_mul_hi_u32 s16, s10, 24
	s_mul_i32 s10, s10, 24
	s_add_i32 s16, s16, s11
	v_add_co_u32 v4, vcc_lo, v0, s10
	v_add_co_ci_u32_e32 v5, vcc_lo, s16, v1, vcc_lo
	s_mov_b32 s10, exec_lo
	global_store_dwordx2 v[4:5], v[14:15], off
	s_waitcnt_vscnt null, 0x0
	global_atomic_cmpswap_x2 v[2:3], v6, v[12:15], s[26:27] offset:32 glc
	s_waitcnt vmcnt(0)
	v_cmpx_ne_u64_e64 v[2:3], v[14:15]
	s_cbranch_execz .LBB4_415
; %bb.413:
	s_mov_b32 s11, 0
.LBB4_414:                              ; =>This Inner Loop Header: Depth=1
	v_mov_b32_e32 v0, s6
	v_mov_b32_e32 v1, s7
	s_sleep 1
	global_store_dwordx2 v[4:5], v[2:3], off
	s_waitcnt_vscnt null, 0x0
	global_atomic_cmpswap_x2 v[0:1], v6, v[0:3], s[26:27] offset:32 glc
	s_waitcnt vmcnt(0)
	v_cmp_eq_u64_e32 vcc_lo, v[0:1], v[2:3]
	v_mov_b32_e32 v3, v1
	v_mov_b32_e32 v2, v0
	s_or_b32 s11, vcc_lo, s11
	s_andn2_b32 exec_lo, exec_lo, s11
	s_cbranch_execnz .LBB4_414
.LBB4_415:
	s_or_b32 exec_lo, exec_lo, s10
	v_mov_b32_e32 v3, 0
	s_mov_b32 s11, exec_lo
	s_mov_b32 s10, exec_lo
	v_mbcnt_lo_u32_b32 v2, s11, 0
	global_load_dwordx2 v[0:1], v3, s[26:27] offset:16
	v_cmpx_eq_u32_e32 0, v2
	s_cbranch_execz .LBB4_417
; %bb.416:
	s_bcnt1_i32_b32 s11, s11
	v_mov_b32_e32 v2, s11
	s_waitcnt vmcnt(0)
	global_atomic_add_x2 v[0:1], v[2:3], off offset:8
.LBB4_417:
	s_or_b32 exec_lo, exec_lo, s10
	s_waitcnt vmcnt(0)
	global_load_dwordx2 v[2:3], v[0:1], off offset:16
	s_waitcnt vmcnt(0)
	v_cmp_eq_u64_e32 vcc_lo, 0, v[2:3]
	s_cbranch_vccnz .LBB4_419
; %bb.418:
	global_load_dword v0, v[0:1], off offset:24
	v_mov_b32_e32 v1, 0
	s_waitcnt vmcnt(0)
	v_and_b32_e32 v4, 0x7fffff, v0
	s_waitcnt_vscnt null, 0x0
	global_store_dwordx2 v[2:3], v[0:1], off
	v_readfirstlane_b32 m0, v4
	s_sendmsg sendmsg(MSG_INTERRUPT)
.LBB4_419:
	s_or_b32 exec_lo, exec_lo, s5
	s_branch .LBB4_423
	.p2align	6
.LBB4_420:                              ;   in Loop: Header=BB4_423 Depth=1
	s_or_b32 exec_lo, exec_lo, s5
	v_readfirstlane_b32 s5, v0
	s_cmp_eq_u32 s5, 0
	s_cbranch_scc1 .LBB4_422
; %bb.421:                              ;   in Loop: Header=BB4_423 Depth=1
	s_sleep 1
	s_cbranch_execnz .LBB4_423
	s_branch .LBB4_425
	.p2align	6
.LBB4_422:
	s_branch .LBB4_425
.LBB4_423:                              ; =>This Inner Loop Header: Depth=1
	v_mov_b32_e32 v0, 1
	s_and_saveexec_b32 s5, s4
	s_cbranch_execz .LBB4_420
; %bb.424:                              ;   in Loop: Header=BB4_423 Depth=1
	global_load_dword v0, v[8:9], off offset:20 glc dlc
	s_waitcnt vmcnt(0)
	buffer_gl1_inv
	buffer_gl0_inv
	v_and_b32_e32 v0, 1, v0
	s_branch .LBB4_420
.LBB4_425:
	global_load_dwordx2 v[4:5], v[10:11], off
	s_and_saveexec_b32 s5, s4
	s_cbranch_execz .LBB4_429
; %bb.426:
	v_mov_b32_e32 v8, 0
	s_clause 0x2
	global_load_dwordx2 v[2:3], v8, s[26:27] offset:40
	global_load_dwordx2 v[9:10], v8, s[26:27] offset:24 glc dlc
	global_load_dwordx2 v[6:7], v8, s[26:27]
	s_waitcnt vmcnt(2)
	v_add_co_u32 v11, vcc_lo, v2, 1
	v_add_co_ci_u32_e32 v12, vcc_lo, 0, v3, vcc_lo
	v_add_co_u32 v0, vcc_lo, v11, s6
	v_add_co_ci_u32_e32 v1, vcc_lo, s7, v12, vcc_lo
	v_cmp_eq_u64_e32 vcc_lo, 0, v[0:1]
	v_cndmask_b32_e32 v1, v1, v12, vcc_lo
	v_cndmask_b32_e32 v0, v0, v11, vcc_lo
	v_and_b32_e32 v3, v1, v3
	v_and_b32_e32 v2, v0, v2
	v_mul_lo_u32 v3, v3, 24
	v_mul_hi_u32 v11, v2, 24
	v_mul_lo_u32 v2, v2, 24
	v_add_nc_u32_e32 v3, v11, v3
	s_waitcnt vmcnt(0)
	v_add_co_u32 v6, vcc_lo, v6, v2
	v_mov_b32_e32 v2, v9
	v_add_co_ci_u32_e32 v7, vcc_lo, v7, v3, vcc_lo
	v_mov_b32_e32 v3, v10
	global_store_dwordx2 v[6:7], v[9:10], off
	s_waitcnt_vscnt null, 0x0
	global_atomic_cmpswap_x2 v[2:3], v8, v[0:3], s[26:27] offset:24 glc
	s_waitcnt vmcnt(0)
	v_cmp_ne_u64_e32 vcc_lo, v[2:3], v[9:10]
	s_and_b32 exec_lo, exec_lo, vcc_lo
	s_cbranch_execz .LBB4_429
; %bb.427:
	s_mov_b32 s4, 0
.LBB4_428:                              ; =>This Inner Loop Header: Depth=1
	s_sleep 1
	global_store_dwordx2 v[6:7], v[2:3], off
	s_waitcnt_vscnt null, 0x0
	global_atomic_cmpswap_x2 v[9:10], v8, v[0:3], s[26:27] offset:24 glc
	s_waitcnt vmcnt(0)
	v_cmp_eq_u64_e32 vcc_lo, v[9:10], v[2:3]
	v_mov_b32_e32 v2, v9
	v_mov_b32_e32 v3, v10
	s_or_b32 s4, vcc_lo, s4
	s_andn2_b32 exec_lo, exec_lo, s4
	s_cbranch_execnz .LBB4_428
.LBB4_429:
	s_or_b32 exec_lo, exec_lo, s5
	s_and_b32 vcc_lo, exec_lo, s15
	s_cbranch_vccz .LBB4_508
; %bb.430:
	s_waitcnt vmcnt(0)
	v_and_b32_e32 v28, 2, v4
	v_mov_b32_e32 v7, 0
	v_and_b32_e32 v0, -3, v4
	v_mov_b32_e32 v1, v5
	v_mov_b32_e32 v8, 2
	v_mov_b32_e32 v9, 1
	s_mov_b64 s[10:11], 3
	s_getpc_b64 s[6:7]
	s_add_u32 s6, s6, .str.5@rel32@lo+4
	s_addc_u32 s7, s7, .str.5@rel32@hi+12
	s_branch .LBB4_432
.LBB4_431:                              ;   in Loop: Header=BB4_432 Depth=1
	s_or_b32 exec_lo, exec_lo, s5
	s_sub_u32 s10, s10, s16
	s_subb_u32 s11, s11, s17
	s_add_u32 s6, s6, s16
	s_addc_u32 s7, s7, s17
	s_cmp_lg_u64 s[10:11], 0
	s_cbranch_scc0 .LBB4_507
.LBB4_432:                              ; =>This Loop Header: Depth=1
                                        ;     Child Loop BB4_441 Depth 2
                                        ;     Child Loop BB4_437 Depth 2
	;; [unrolled: 1-line block ×11, first 2 shown]
	v_cmp_lt_u64_e64 s4, s[10:11], 56
	v_cmp_gt_u64_e64 s5, s[10:11], 7
                                        ; implicit-def: $vgpr2_vgpr3
                                        ; implicit-def: $sgpr22
	s_and_b32 s4, s4, exec_lo
	s_cselect_b32 s17, s11, 0
	s_cselect_b32 s16, s10, 56
	s_and_b32 vcc_lo, exec_lo, s5
	s_mov_b32 s4, -1
	s_cbranch_vccz .LBB4_439
; %bb.433:                              ;   in Loop: Header=BB4_432 Depth=1
	s_andn2_b32 vcc_lo, exec_lo, s4
	s_mov_b64 s[4:5], s[6:7]
	s_cbranch_vccz .LBB4_443
.LBB4_434:                              ;   in Loop: Header=BB4_432 Depth=1
	s_cmp_gt_u32 s22, 7
	s_cbranch_scc1 .LBB4_444
.LBB4_435:                              ;   in Loop: Header=BB4_432 Depth=1
	v_mov_b32_e32 v10, 0
	v_mov_b32_e32 v11, 0
	s_cmp_eq_u32 s22, 0
	s_cbranch_scc1 .LBB4_438
; %bb.436:                              ;   in Loop: Header=BB4_432 Depth=1
	s_mov_b64 s[18:19], 0
	s_mov_b64 s[20:21], 0
.LBB4_437:                              ;   Parent Loop BB4_432 Depth=1
                                        ; =>  This Inner Loop Header: Depth=2
	s_add_u32 s24, s4, s20
	s_addc_u32 s25, s5, s21
	s_add_u32 s20, s20, 1
	global_load_ubyte v6, v7, s[24:25]
	s_addc_u32 s21, s21, 0
	s_waitcnt vmcnt(0)
	v_and_b32_e32 v6, 0xffff, v6
	v_lshlrev_b64 v[12:13], s18, v[6:7]
	s_add_u32 s18, s18, 8
	s_addc_u32 s19, s19, 0
	s_cmp_lg_u32 s22, s20
	v_or_b32_e32 v10, v12, v10
	v_or_b32_e32 v11, v13, v11
	s_cbranch_scc1 .LBB4_437
.LBB4_438:                              ;   in Loop: Header=BB4_432 Depth=1
	s_mov_b32 s23, 0
	s_cbranch_execz .LBB4_445
	s_branch .LBB4_446
.LBB4_439:                              ;   in Loop: Header=BB4_432 Depth=1
	s_waitcnt vmcnt(0)
	v_mov_b32_e32 v2, 0
	v_mov_b32_e32 v3, 0
	s_cmp_eq_u64 s[10:11], 0
	s_mov_b64 s[4:5], 0
	s_cbranch_scc1 .LBB4_442
; %bb.440:                              ;   in Loop: Header=BB4_432 Depth=1
	v_mov_b32_e32 v2, 0
	v_mov_b32_e32 v3, 0
	s_lshl_b64 s[18:19], s[16:17], 3
	s_mov_b64 s[20:21], s[6:7]
.LBB4_441:                              ;   Parent Loop BB4_432 Depth=1
                                        ; =>  This Inner Loop Header: Depth=2
	global_load_ubyte v6, v7, s[20:21]
	s_waitcnt vmcnt(0)
	v_and_b32_e32 v6, 0xffff, v6
	v_lshlrev_b64 v[10:11], s4, v[6:7]
	s_add_u32 s4, s4, 8
	s_addc_u32 s5, s5, 0
	s_add_u32 s20, s20, 1
	s_addc_u32 s21, s21, 0
	s_cmp_lg_u32 s18, s4
	v_or_b32_e32 v2, v10, v2
	v_or_b32_e32 v3, v11, v3
	s_cbranch_scc1 .LBB4_441
.LBB4_442:                              ;   in Loop: Header=BB4_432 Depth=1
	s_mov_b32 s22, 0
	s_mov_b64 s[4:5], s[6:7]
	s_cbranch_execnz .LBB4_434
.LBB4_443:                              ;   in Loop: Header=BB4_432 Depth=1
	global_load_dwordx2 v[2:3], v7, s[6:7]
	s_add_i32 s22, s16, -8
	s_add_u32 s4, s6, 8
	s_addc_u32 s5, s7, 0
	s_cmp_gt_u32 s22, 7
	s_cbranch_scc0 .LBB4_435
.LBB4_444:                              ;   in Loop: Header=BB4_432 Depth=1
                                        ; implicit-def: $vgpr10_vgpr11
                                        ; implicit-def: $sgpr23
.LBB4_445:                              ;   in Loop: Header=BB4_432 Depth=1
	global_load_dwordx2 v[10:11], v7, s[4:5]
	s_add_i32 s23, s22, -8
	s_add_u32 s4, s4, 8
	s_addc_u32 s5, s5, 0
.LBB4_446:                              ;   in Loop: Header=BB4_432 Depth=1
	s_cmp_gt_u32 s23, 7
	s_cbranch_scc1 .LBB4_451
; %bb.447:                              ;   in Loop: Header=BB4_432 Depth=1
	v_mov_b32_e32 v12, 0
	v_mov_b32_e32 v13, 0
	s_cmp_eq_u32 s23, 0
	s_cbranch_scc1 .LBB4_450
; %bb.448:                              ;   in Loop: Header=BB4_432 Depth=1
	s_mov_b64 s[18:19], 0
	s_mov_b64 s[20:21], 0
.LBB4_449:                              ;   Parent Loop BB4_432 Depth=1
                                        ; =>  This Inner Loop Header: Depth=2
	s_add_u32 s24, s4, s20
	s_addc_u32 s25, s5, s21
	s_add_u32 s20, s20, 1
	global_load_ubyte v6, v7, s[24:25]
	s_addc_u32 s21, s21, 0
	s_waitcnt vmcnt(0)
	v_and_b32_e32 v6, 0xffff, v6
	v_lshlrev_b64 v[14:15], s18, v[6:7]
	s_add_u32 s18, s18, 8
	s_addc_u32 s19, s19, 0
	s_cmp_lg_u32 s23, s20
	v_or_b32_e32 v12, v14, v12
	v_or_b32_e32 v13, v15, v13
	s_cbranch_scc1 .LBB4_449
.LBB4_450:                              ;   in Loop: Header=BB4_432 Depth=1
	s_mov_b32 s22, 0
	s_cbranch_execz .LBB4_452
	s_branch .LBB4_453
.LBB4_451:                              ;   in Loop: Header=BB4_432 Depth=1
                                        ; implicit-def: $sgpr22
.LBB4_452:                              ;   in Loop: Header=BB4_432 Depth=1
	global_load_dwordx2 v[12:13], v7, s[4:5]
	s_add_i32 s22, s23, -8
	s_add_u32 s4, s4, 8
	s_addc_u32 s5, s5, 0
.LBB4_453:                              ;   in Loop: Header=BB4_432 Depth=1
	s_cmp_gt_u32 s22, 7
	s_cbranch_scc1 .LBB4_458
; %bb.454:                              ;   in Loop: Header=BB4_432 Depth=1
	v_mov_b32_e32 v14, 0
	v_mov_b32_e32 v15, 0
	s_cmp_eq_u32 s22, 0
	s_cbranch_scc1 .LBB4_457
; %bb.455:                              ;   in Loop: Header=BB4_432 Depth=1
	s_mov_b64 s[18:19], 0
	s_mov_b64 s[20:21], 0
.LBB4_456:                              ;   Parent Loop BB4_432 Depth=1
                                        ; =>  This Inner Loop Header: Depth=2
	s_add_u32 s24, s4, s20
	s_addc_u32 s25, s5, s21
	s_add_u32 s20, s20, 1
	global_load_ubyte v6, v7, s[24:25]
	s_addc_u32 s21, s21, 0
	s_waitcnt vmcnt(0)
	v_and_b32_e32 v6, 0xffff, v6
	v_lshlrev_b64 v[16:17], s18, v[6:7]
	s_add_u32 s18, s18, 8
	s_addc_u32 s19, s19, 0
	s_cmp_lg_u32 s22, s20
	v_or_b32_e32 v14, v16, v14
	v_or_b32_e32 v15, v17, v15
	s_cbranch_scc1 .LBB4_456
.LBB4_457:                              ;   in Loop: Header=BB4_432 Depth=1
	s_mov_b32 s23, 0
	s_cbranch_execz .LBB4_459
	s_branch .LBB4_460
.LBB4_458:                              ;   in Loop: Header=BB4_432 Depth=1
                                        ; implicit-def: $vgpr14_vgpr15
                                        ; implicit-def: $sgpr23
.LBB4_459:                              ;   in Loop: Header=BB4_432 Depth=1
	global_load_dwordx2 v[14:15], v7, s[4:5]
	s_add_i32 s23, s22, -8
	s_add_u32 s4, s4, 8
	s_addc_u32 s5, s5, 0
.LBB4_460:                              ;   in Loop: Header=BB4_432 Depth=1
	s_cmp_gt_u32 s23, 7
	s_cbranch_scc1 .LBB4_465
; %bb.461:                              ;   in Loop: Header=BB4_432 Depth=1
	v_mov_b32_e32 v16, 0
	v_mov_b32_e32 v17, 0
	s_cmp_eq_u32 s23, 0
	s_cbranch_scc1 .LBB4_464
; %bb.462:                              ;   in Loop: Header=BB4_432 Depth=1
	s_mov_b64 s[18:19], 0
	s_mov_b64 s[20:21], 0
.LBB4_463:                              ;   Parent Loop BB4_432 Depth=1
                                        ; =>  This Inner Loop Header: Depth=2
	s_add_u32 s24, s4, s20
	s_addc_u32 s25, s5, s21
	s_add_u32 s20, s20, 1
	global_load_ubyte v6, v7, s[24:25]
	s_addc_u32 s21, s21, 0
	s_waitcnt vmcnt(0)
	v_and_b32_e32 v6, 0xffff, v6
	v_lshlrev_b64 v[18:19], s18, v[6:7]
	s_add_u32 s18, s18, 8
	s_addc_u32 s19, s19, 0
	s_cmp_lg_u32 s23, s20
	v_or_b32_e32 v16, v18, v16
	v_or_b32_e32 v17, v19, v17
	s_cbranch_scc1 .LBB4_463
.LBB4_464:                              ;   in Loop: Header=BB4_432 Depth=1
	s_mov_b32 s22, 0
	s_cbranch_execz .LBB4_466
	s_branch .LBB4_467
.LBB4_465:                              ;   in Loop: Header=BB4_432 Depth=1
                                        ; implicit-def: $sgpr22
.LBB4_466:                              ;   in Loop: Header=BB4_432 Depth=1
	global_load_dwordx2 v[16:17], v7, s[4:5]
	s_add_i32 s22, s23, -8
	s_add_u32 s4, s4, 8
	s_addc_u32 s5, s5, 0
.LBB4_467:                              ;   in Loop: Header=BB4_432 Depth=1
	s_cmp_gt_u32 s22, 7
	s_cbranch_scc1 .LBB4_472
; %bb.468:                              ;   in Loop: Header=BB4_432 Depth=1
	v_mov_b32_e32 v18, 0
	v_mov_b32_e32 v19, 0
	s_cmp_eq_u32 s22, 0
	s_cbranch_scc1 .LBB4_471
; %bb.469:                              ;   in Loop: Header=BB4_432 Depth=1
	s_mov_b64 s[18:19], 0
	s_mov_b64 s[20:21], 0
.LBB4_470:                              ;   Parent Loop BB4_432 Depth=1
                                        ; =>  This Inner Loop Header: Depth=2
	s_add_u32 s24, s4, s20
	s_addc_u32 s25, s5, s21
	s_add_u32 s20, s20, 1
	global_load_ubyte v6, v7, s[24:25]
	s_addc_u32 s21, s21, 0
	s_waitcnt vmcnt(0)
	v_and_b32_e32 v6, 0xffff, v6
	v_lshlrev_b64 v[20:21], s18, v[6:7]
	s_add_u32 s18, s18, 8
	s_addc_u32 s19, s19, 0
	s_cmp_lg_u32 s22, s20
	v_or_b32_e32 v18, v20, v18
	v_or_b32_e32 v19, v21, v19
	s_cbranch_scc1 .LBB4_470
.LBB4_471:                              ;   in Loop: Header=BB4_432 Depth=1
	s_mov_b32 s23, 0
	s_cbranch_execz .LBB4_473
	s_branch .LBB4_474
.LBB4_472:                              ;   in Loop: Header=BB4_432 Depth=1
                                        ; implicit-def: $vgpr18_vgpr19
                                        ; implicit-def: $sgpr23
.LBB4_473:                              ;   in Loop: Header=BB4_432 Depth=1
	global_load_dwordx2 v[18:19], v7, s[4:5]
	s_add_i32 s23, s22, -8
	s_add_u32 s4, s4, 8
	s_addc_u32 s5, s5, 0
.LBB4_474:                              ;   in Loop: Header=BB4_432 Depth=1
	s_cmp_gt_u32 s23, 7
	s_cbranch_scc1 .LBB4_479
; %bb.475:                              ;   in Loop: Header=BB4_432 Depth=1
	v_mov_b32_e32 v20, 0
	v_mov_b32_e32 v21, 0
	s_cmp_eq_u32 s23, 0
	s_cbranch_scc1 .LBB4_478
; %bb.476:                              ;   in Loop: Header=BB4_432 Depth=1
	s_mov_b64 s[18:19], 0
	s_mov_b64 s[20:21], s[4:5]
.LBB4_477:                              ;   Parent Loop BB4_432 Depth=1
                                        ; =>  This Inner Loop Header: Depth=2
	global_load_ubyte v6, v7, s[20:21]
	s_add_i32 s23, s23, -1
	s_waitcnt vmcnt(0)
	v_and_b32_e32 v6, 0xffff, v6
	v_lshlrev_b64 v[22:23], s18, v[6:7]
	s_add_u32 s18, s18, 8
	s_addc_u32 s19, s19, 0
	s_add_u32 s20, s20, 1
	s_addc_u32 s21, s21, 0
	s_cmp_lg_u32 s23, 0
	v_or_b32_e32 v20, v22, v20
	v_or_b32_e32 v21, v23, v21
	s_cbranch_scc1 .LBB4_477
.LBB4_478:                              ;   in Loop: Header=BB4_432 Depth=1
	s_cbranch_execz .LBB4_480
	s_branch .LBB4_481
.LBB4_479:                              ;   in Loop: Header=BB4_432 Depth=1
.LBB4_480:                              ;   in Loop: Header=BB4_432 Depth=1
	global_load_dwordx2 v[20:21], v7, s[4:5]
.LBB4_481:                              ;   in Loop: Header=BB4_432 Depth=1
	v_readfirstlane_b32 s4, v49
	v_mov_b32_e32 v26, 0
	v_mov_b32_e32 v27, 0
	v_cmp_eq_u32_e64 s4, s4, v49
	s_and_saveexec_b32 s5, s4
	s_cbranch_execz .LBB4_487
; %bb.482:                              ;   in Loop: Header=BB4_432 Depth=1
	global_load_dwordx2 v[24:25], v7, s[26:27] offset:24 glc dlc
	s_waitcnt vmcnt(0)
	buffer_gl1_inv
	buffer_gl0_inv
	s_clause 0x1
	global_load_dwordx2 v[22:23], v7, s[26:27] offset:40
	global_load_dwordx2 v[26:27], v7, s[26:27]
	s_mov_b32 s18, exec_lo
	s_waitcnt vmcnt(1)
	v_and_b32_e32 v6, v23, v25
	v_and_b32_e32 v22, v22, v24
	v_mul_lo_u32 v6, v6, 24
	v_mul_hi_u32 v23, v22, 24
	v_mul_lo_u32 v22, v22, 24
	v_add_nc_u32_e32 v6, v23, v6
	s_waitcnt vmcnt(0)
	v_add_co_u32 v22, vcc_lo, v26, v22
	v_add_co_ci_u32_e32 v23, vcc_lo, v27, v6, vcc_lo
	global_load_dwordx2 v[22:23], v[22:23], off glc dlc
	s_waitcnt vmcnt(0)
	global_atomic_cmpswap_x2 v[26:27], v7, v[22:25], s[26:27] offset:24 glc
	s_waitcnt vmcnt(0)
	buffer_gl1_inv
	buffer_gl0_inv
	v_cmpx_ne_u64_e64 v[26:27], v[24:25]
	s_cbranch_execz .LBB4_486
; %bb.483:                              ;   in Loop: Header=BB4_432 Depth=1
	s_mov_b32 s19, 0
	.p2align	6
.LBB4_484:                              ;   Parent Loop BB4_432 Depth=1
                                        ; =>  This Inner Loop Header: Depth=2
	s_sleep 1
	s_clause 0x1
	global_load_dwordx2 v[22:23], v7, s[26:27] offset:40
	global_load_dwordx2 v[29:30], v7, s[26:27]
	v_mov_b32_e32 v24, v26
	v_mov_b32_e32 v25, v27
	s_waitcnt vmcnt(1)
	v_and_b32_e32 v6, v22, v24
	v_and_b32_e32 v22, v23, v25
	s_waitcnt vmcnt(0)
	v_mad_u64_u32 v[26:27], null, v6, 24, v[29:30]
	v_mov_b32_e32 v6, v27
	v_mad_u64_u32 v[22:23], null, v22, 24, v[6:7]
	v_mov_b32_e32 v27, v22
	global_load_dwordx2 v[22:23], v[26:27], off glc dlc
	s_waitcnt vmcnt(0)
	global_atomic_cmpswap_x2 v[26:27], v7, v[22:25], s[26:27] offset:24 glc
	s_waitcnt vmcnt(0)
	buffer_gl1_inv
	buffer_gl0_inv
	v_cmp_eq_u64_e32 vcc_lo, v[26:27], v[24:25]
	s_or_b32 s19, vcc_lo, s19
	s_andn2_b32 exec_lo, exec_lo, s19
	s_cbranch_execnz .LBB4_484
; %bb.485:                              ;   in Loop: Header=BB4_432 Depth=1
	s_or_b32 exec_lo, exec_lo, s19
.LBB4_486:                              ;   in Loop: Header=BB4_432 Depth=1
	s_or_b32 exec_lo, exec_lo, s18
.LBB4_487:                              ;   in Loop: Header=BB4_432 Depth=1
	s_or_b32 exec_lo, exec_lo, s5
	s_clause 0x1
	global_load_dwordx2 v[29:30], v7, s[26:27] offset:40
	global_load_dwordx4 v[22:25], v7, s[26:27]
	v_readfirstlane_b32 s18, v26
	v_readfirstlane_b32 s19, v27
	s_mov_b32 s5, exec_lo
	s_waitcnt vmcnt(1)
	v_readfirstlane_b32 s20, v29
	v_readfirstlane_b32 s21, v30
	s_and_b64 s[20:21], s[18:19], s[20:21]
	s_mul_i32 s22, s21, 24
	s_mul_hi_u32 s23, s20, 24
	s_mul_i32 s24, s20, 24
	s_add_i32 s23, s23, s22
	s_waitcnt vmcnt(0)
	v_add_co_u32 v26, vcc_lo, v22, s24
	v_add_co_ci_u32_e32 v27, vcc_lo, s23, v23, vcc_lo
	s_and_saveexec_b32 s22, s4
	s_cbranch_execz .LBB4_489
; %bb.488:                              ;   in Loop: Header=BB4_432 Depth=1
	v_mov_b32_e32 v6, s5
	global_store_dwordx4 v[26:27], v[6:9], off offset:8
.LBB4_489:                              ;   in Loop: Header=BB4_432 Depth=1
	s_or_b32 exec_lo, exec_lo, s22
	s_lshl_b64 s[20:21], s[20:21], 12
	v_cmp_gt_u64_e64 vcc_lo, s[10:11], 56
	v_or_b32_e32 v29, v0, v28
	v_add_co_u32 v24, s5, v24, s20
	v_add_co_ci_u32_e64 v25, s5, s21, v25, s5
	s_lshl_b32 s5, s16, 2
	v_or_b32_e32 v6, 0, v1
	v_cndmask_b32_e32 v0, v29, v0, vcc_lo
	s_add_i32 s5, s5, 28
	v_readfirstlane_b32 s20, v24
	s_and_b32 s5, s5, 0x1e0
	v_cndmask_b32_e32 v1, v6, v1, vcc_lo
	v_readfirstlane_b32 s21, v25
	v_and_or_b32 v0, 0xffffff1f, v0, s5
	global_store_dwordx4 v48, v[0:3], s[20:21]
	global_store_dwordx4 v48, v[10:13], s[20:21] offset:16
	global_store_dwordx4 v48, v[14:17], s[20:21] offset:32
	;; [unrolled: 1-line block ×3, first 2 shown]
	s_and_saveexec_b32 s5, s4
	s_cbranch_execz .LBB4_497
; %bb.490:                              ;   in Loop: Header=BB4_432 Depth=1
	s_clause 0x1
	global_load_dwordx2 v[14:15], v7, s[26:27] offset:32 glc dlc
	global_load_dwordx2 v[0:1], v7, s[26:27] offset:40
	v_mov_b32_e32 v12, s18
	v_mov_b32_e32 v13, s19
	s_waitcnt vmcnt(0)
	v_readfirstlane_b32 s20, v0
	v_readfirstlane_b32 s21, v1
	s_and_b64 s[20:21], s[20:21], s[18:19]
	s_mul_i32 s21, s21, 24
	s_mul_hi_u32 s22, s20, 24
	s_mul_i32 s20, s20, 24
	s_add_i32 s22, s22, s21
	v_add_co_u32 v10, vcc_lo, v22, s20
	v_add_co_ci_u32_e32 v11, vcc_lo, s22, v23, vcc_lo
	s_mov_b32 s20, exec_lo
	global_store_dwordx2 v[10:11], v[14:15], off
	s_waitcnt_vscnt null, 0x0
	global_atomic_cmpswap_x2 v[2:3], v7, v[12:15], s[26:27] offset:32 glc
	s_waitcnt vmcnt(0)
	v_cmpx_ne_u64_e64 v[2:3], v[14:15]
	s_cbranch_execz .LBB4_493
; %bb.491:                              ;   in Loop: Header=BB4_432 Depth=1
	s_mov_b32 s21, 0
.LBB4_492:                              ;   Parent Loop BB4_432 Depth=1
                                        ; =>  This Inner Loop Header: Depth=2
	v_mov_b32_e32 v0, s18
	v_mov_b32_e32 v1, s19
	s_sleep 1
	global_store_dwordx2 v[10:11], v[2:3], off
	s_waitcnt_vscnt null, 0x0
	global_atomic_cmpswap_x2 v[0:1], v7, v[0:3], s[26:27] offset:32 glc
	s_waitcnt vmcnt(0)
	v_cmp_eq_u64_e32 vcc_lo, v[0:1], v[2:3]
	v_mov_b32_e32 v3, v1
	v_mov_b32_e32 v2, v0
	s_or_b32 s21, vcc_lo, s21
	s_andn2_b32 exec_lo, exec_lo, s21
	s_cbranch_execnz .LBB4_492
.LBB4_493:                              ;   in Loop: Header=BB4_432 Depth=1
	s_or_b32 exec_lo, exec_lo, s20
	global_load_dwordx2 v[0:1], v7, s[26:27] offset:16
	s_mov_b32 s21, exec_lo
	s_mov_b32 s20, exec_lo
	v_mbcnt_lo_u32_b32 v2, s21, 0
	v_cmpx_eq_u32_e32 0, v2
	s_cbranch_execz .LBB4_495
; %bb.494:                              ;   in Loop: Header=BB4_432 Depth=1
	s_bcnt1_i32_b32 s21, s21
	v_mov_b32_e32 v6, s21
	s_waitcnt vmcnt(0)
	global_atomic_add_x2 v[0:1], v[6:7], off offset:8
.LBB4_495:                              ;   in Loop: Header=BB4_432 Depth=1
	s_or_b32 exec_lo, exec_lo, s20
	s_waitcnt vmcnt(0)
	global_load_dwordx2 v[2:3], v[0:1], off offset:16
	s_waitcnt vmcnt(0)
	v_cmp_eq_u64_e32 vcc_lo, 0, v[2:3]
	s_cbranch_vccnz .LBB4_497
; %bb.496:                              ;   in Loop: Header=BB4_432 Depth=1
	global_load_dword v6, v[0:1], off offset:24
	s_waitcnt vmcnt(0)
	v_and_b32_e32 v0, 0x7fffff, v6
	s_waitcnt_vscnt null, 0x0
	global_store_dwordx2 v[2:3], v[6:7], off
	v_readfirstlane_b32 m0, v0
	s_sendmsg sendmsg(MSG_INTERRUPT)
.LBB4_497:                              ;   in Loop: Header=BB4_432 Depth=1
	s_or_b32 exec_lo, exec_lo, s5
	v_add_co_u32 v0, vcc_lo, v24, v48
	v_add_co_ci_u32_e32 v1, vcc_lo, 0, v25, vcc_lo
	s_branch .LBB4_501
	.p2align	6
.LBB4_498:                              ;   in Loop: Header=BB4_501 Depth=2
	s_or_b32 exec_lo, exec_lo, s5
	v_readfirstlane_b32 s5, v2
	s_cmp_eq_u32 s5, 0
	s_cbranch_scc1 .LBB4_500
; %bb.499:                              ;   in Loop: Header=BB4_501 Depth=2
	s_sleep 1
	s_cbranch_execnz .LBB4_501
	s_branch .LBB4_503
	.p2align	6
.LBB4_500:                              ;   in Loop: Header=BB4_432 Depth=1
	s_branch .LBB4_503
.LBB4_501:                              ;   Parent Loop BB4_432 Depth=1
                                        ; =>  This Inner Loop Header: Depth=2
	v_mov_b32_e32 v2, 1
	s_and_saveexec_b32 s5, s4
	s_cbranch_execz .LBB4_498
; %bb.502:                              ;   in Loop: Header=BB4_501 Depth=2
	global_load_dword v2, v[26:27], off offset:20 glc dlc
	s_waitcnt vmcnt(0)
	buffer_gl1_inv
	buffer_gl0_inv
	v_and_b32_e32 v2, 1, v2
	s_branch .LBB4_498
.LBB4_503:                              ;   in Loop: Header=BB4_432 Depth=1
	global_load_dwordx4 v[0:3], v[0:1], off
	s_and_saveexec_b32 s5, s4
	s_cbranch_execz .LBB4_431
; %bb.504:                              ;   in Loop: Header=BB4_432 Depth=1
	s_clause 0x2
	global_load_dwordx2 v[2:3], v7, s[26:27] offset:40
	global_load_dwordx2 v[14:15], v7, s[26:27] offset:24 glc dlc
	global_load_dwordx2 v[12:13], v7, s[26:27]
	s_waitcnt vmcnt(2)
	v_add_co_u32 v6, vcc_lo, v2, 1
	v_add_co_ci_u32_e32 v16, vcc_lo, 0, v3, vcc_lo
	v_add_co_u32 v10, vcc_lo, v6, s18
	v_add_co_ci_u32_e32 v11, vcc_lo, s19, v16, vcc_lo
	v_cmp_eq_u64_e32 vcc_lo, 0, v[10:11]
	v_cndmask_b32_e32 v11, v11, v16, vcc_lo
	v_cndmask_b32_e32 v10, v10, v6, vcc_lo
	v_and_b32_e32 v3, v11, v3
	v_and_b32_e32 v2, v10, v2
	v_mul_lo_u32 v3, v3, 24
	v_mul_hi_u32 v6, v2, 24
	v_mul_lo_u32 v2, v2, 24
	v_add_nc_u32_e32 v3, v6, v3
	s_waitcnt vmcnt(0)
	v_add_co_u32 v2, vcc_lo, v12, v2
	v_mov_b32_e32 v12, v14
	v_add_co_ci_u32_e32 v3, vcc_lo, v13, v3, vcc_lo
	v_mov_b32_e32 v13, v15
	global_store_dwordx2 v[2:3], v[14:15], off
	s_waitcnt_vscnt null, 0x0
	global_atomic_cmpswap_x2 v[12:13], v7, v[10:13], s[26:27] offset:24 glc
	s_waitcnt vmcnt(0)
	v_cmp_ne_u64_e32 vcc_lo, v[12:13], v[14:15]
	s_and_b32 exec_lo, exec_lo, vcc_lo
	s_cbranch_execz .LBB4_431
; %bb.505:                              ;   in Loop: Header=BB4_432 Depth=1
	s_mov_b32 s4, 0
.LBB4_506:                              ;   Parent Loop BB4_432 Depth=1
                                        ; =>  This Inner Loop Header: Depth=2
	s_sleep 1
	global_store_dwordx2 v[2:3], v[12:13], off
	s_waitcnt_vscnt null, 0x0
	global_atomic_cmpswap_x2 v[14:15], v7, v[10:13], s[26:27] offset:24 glc
	s_waitcnt vmcnt(0)
	v_cmp_eq_u64_e32 vcc_lo, v[14:15], v[12:13]
	v_mov_b32_e32 v12, v14
	v_mov_b32_e32 v13, v15
	s_or_b32 s4, vcc_lo, s4
	s_andn2_b32 exec_lo, exec_lo, s4
	s_cbranch_execnz .LBB4_506
	s_branch .LBB4_431
.LBB4_507:
	s_branch .LBB4_536
.LBB4_508:
                                        ; implicit-def: $vgpr0_vgpr1
	s_cbranch_execz .LBB4_536
; %bb.509:
	v_readfirstlane_b32 s4, v49
	v_mov_b32_e32 v7, 0
	v_mov_b32_e32 v8, 0
	v_cmp_eq_u32_e64 s4, s4, v49
	s_and_saveexec_b32 s5, s4
	s_cbranch_execz .LBB4_515
; %bb.510:
	s_waitcnt vmcnt(0)
	v_mov_b32_e32 v0, 0
	s_mov_b32 s6, exec_lo
	global_load_dwordx2 v[9:10], v0, s[26:27] offset:24 glc dlc
	s_waitcnt vmcnt(0)
	buffer_gl1_inv
	buffer_gl0_inv
	s_clause 0x1
	global_load_dwordx2 v[1:2], v0, s[26:27] offset:40
	global_load_dwordx2 v[6:7], v0, s[26:27]
	s_waitcnt vmcnt(1)
	v_and_b32_e32 v2, v2, v10
	v_and_b32_e32 v1, v1, v9
	v_mul_lo_u32 v2, v2, 24
	v_mul_hi_u32 v3, v1, 24
	v_mul_lo_u32 v1, v1, 24
	v_add_nc_u32_e32 v2, v3, v2
	s_waitcnt vmcnt(0)
	v_add_co_u32 v1, vcc_lo, v6, v1
	v_add_co_ci_u32_e32 v2, vcc_lo, v7, v2, vcc_lo
	global_load_dwordx2 v[7:8], v[1:2], off glc dlc
	s_waitcnt vmcnt(0)
	global_atomic_cmpswap_x2 v[7:8], v0, v[7:10], s[26:27] offset:24 glc
	s_waitcnt vmcnt(0)
	buffer_gl1_inv
	buffer_gl0_inv
	v_cmpx_ne_u64_e64 v[7:8], v[9:10]
	s_cbranch_execz .LBB4_514
; %bb.511:
	s_mov_b32 s7, 0
	.p2align	6
.LBB4_512:                              ; =>This Inner Loop Header: Depth=1
	s_sleep 1
	s_clause 0x1
	global_load_dwordx2 v[1:2], v0, s[26:27] offset:40
	global_load_dwordx2 v[11:12], v0, s[26:27]
	v_mov_b32_e32 v10, v8
	v_mov_b32_e32 v9, v7
	s_waitcnt vmcnt(1)
	v_and_b32_e32 v1, v1, v9
	v_and_b32_e32 v2, v2, v10
	s_waitcnt vmcnt(0)
	v_mad_u64_u32 v[6:7], null, v1, 24, v[11:12]
	v_mov_b32_e32 v1, v7
	v_mad_u64_u32 v[1:2], null, v2, 24, v[1:2]
	v_mov_b32_e32 v7, v1
	global_load_dwordx2 v[7:8], v[6:7], off glc dlc
	s_waitcnt vmcnt(0)
	global_atomic_cmpswap_x2 v[7:8], v0, v[7:10], s[26:27] offset:24 glc
	s_waitcnt vmcnt(0)
	buffer_gl1_inv
	buffer_gl0_inv
	v_cmp_eq_u64_e32 vcc_lo, v[7:8], v[9:10]
	s_or_b32 s7, vcc_lo, s7
	s_andn2_b32 exec_lo, exec_lo, s7
	s_cbranch_execnz .LBB4_512
; %bb.513:
	s_or_b32 exec_lo, exec_lo, s7
.LBB4_514:
	s_or_b32 exec_lo, exec_lo, s6
.LBB4_515:
	s_or_b32 exec_lo, exec_lo, s5
	v_mov_b32_e32 v6, 0
	v_readfirstlane_b32 s6, v7
	v_readfirstlane_b32 s7, v8
	s_mov_b32 s5, exec_lo
	s_clause 0x1
	global_load_dwordx2 v[9:10], v6, s[26:27] offset:40
	global_load_dwordx4 v[0:3], v6, s[26:27]
	s_waitcnt vmcnt(1)
	v_readfirstlane_b32 s10, v9
	v_readfirstlane_b32 s11, v10
	s_and_b64 s[10:11], s[6:7], s[10:11]
	s_mul_i32 s16, s11, 24
	s_mul_hi_u32 s17, s10, 24
	s_mul_i32 s18, s10, 24
	s_add_i32 s17, s17, s16
	s_waitcnt vmcnt(0)
	v_add_co_u32 v8, vcc_lo, v0, s18
	v_add_co_ci_u32_e32 v9, vcc_lo, s17, v1, vcc_lo
	s_and_saveexec_b32 s16, s4
	s_cbranch_execz .LBB4_517
; %bb.516:
	v_mov_b32_e32 v10, s5
	v_mov_b32_e32 v11, v6
	;; [unrolled: 1-line block ×4, first 2 shown]
	global_store_dwordx4 v[8:9], v[10:13], off offset:8
.LBB4_517:
	s_or_b32 exec_lo, exec_lo, s16
	s_lshl_b64 s[10:11], s[10:11], 12
	s_mov_b32 s16, 0
	v_add_co_u32 v2, vcc_lo, v2, s10
	v_add_co_ci_u32_e32 v3, vcc_lo, s11, v3, vcc_lo
	s_mov_b32 s17, s16
	v_add_co_u32 v10, vcc_lo, v2, v48
	s_mov_b32 s18, s16
	s_mov_b32 s19, s16
	v_and_or_b32 v4, 0xffffff1f, v4, 32
	v_mov_b32_e32 v7, v6
	v_readfirstlane_b32 s10, v2
	v_readfirstlane_b32 s11, v3
	v_mov_b32_e32 v12, s16
	v_add_co_ci_u32_e32 v11, vcc_lo, 0, v3, vcc_lo
	v_mov_b32_e32 v13, s17
	v_mov_b32_e32 v14, s18
	;; [unrolled: 1-line block ×3, first 2 shown]
	global_store_dwordx4 v48, v[4:7], s[10:11]
	global_store_dwordx4 v48, v[12:15], s[10:11] offset:16
	global_store_dwordx4 v48, v[12:15], s[10:11] offset:32
	;; [unrolled: 1-line block ×3, first 2 shown]
	s_and_saveexec_b32 s5, s4
	s_cbranch_execz .LBB4_525
; %bb.518:
	v_mov_b32_e32 v6, 0
	v_mov_b32_e32 v12, s6
	;; [unrolled: 1-line block ×3, first 2 shown]
	s_clause 0x1
	global_load_dwordx2 v[14:15], v6, s[26:27] offset:32 glc dlc
	global_load_dwordx2 v[2:3], v6, s[26:27] offset:40
	s_waitcnt vmcnt(0)
	v_readfirstlane_b32 s10, v2
	v_readfirstlane_b32 s11, v3
	s_and_b64 s[10:11], s[10:11], s[6:7]
	s_mul_i32 s11, s11, 24
	s_mul_hi_u32 s16, s10, 24
	s_mul_i32 s10, s10, 24
	s_add_i32 s16, s16, s11
	v_add_co_u32 v4, vcc_lo, v0, s10
	v_add_co_ci_u32_e32 v5, vcc_lo, s16, v1, vcc_lo
	s_mov_b32 s10, exec_lo
	global_store_dwordx2 v[4:5], v[14:15], off
	s_waitcnt_vscnt null, 0x0
	global_atomic_cmpswap_x2 v[2:3], v6, v[12:15], s[26:27] offset:32 glc
	s_waitcnt vmcnt(0)
	v_cmpx_ne_u64_e64 v[2:3], v[14:15]
	s_cbranch_execz .LBB4_521
; %bb.519:
	s_mov_b32 s11, 0
.LBB4_520:                              ; =>This Inner Loop Header: Depth=1
	v_mov_b32_e32 v0, s6
	v_mov_b32_e32 v1, s7
	s_sleep 1
	global_store_dwordx2 v[4:5], v[2:3], off
	s_waitcnt_vscnt null, 0x0
	global_atomic_cmpswap_x2 v[0:1], v6, v[0:3], s[26:27] offset:32 glc
	s_waitcnt vmcnt(0)
	v_cmp_eq_u64_e32 vcc_lo, v[0:1], v[2:3]
	v_mov_b32_e32 v3, v1
	v_mov_b32_e32 v2, v0
	s_or_b32 s11, vcc_lo, s11
	s_andn2_b32 exec_lo, exec_lo, s11
	s_cbranch_execnz .LBB4_520
.LBB4_521:
	s_or_b32 exec_lo, exec_lo, s10
	v_mov_b32_e32 v3, 0
	s_mov_b32 s11, exec_lo
	s_mov_b32 s10, exec_lo
	v_mbcnt_lo_u32_b32 v2, s11, 0
	global_load_dwordx2 v[0:1], v3, s[26:27] offset:16
	v_cmpx_eq_u32_e32 0, v2
	s_cbranch_execz .LBB4_523
; %bb.522:
	s_bcnt1_i32_b32 s11, s11
	v_mov_b32_e32 v2, s11
	s_waitcnt vmcnt(0)
	global_atomic_add_x2 v[0:1], v[2:3], off offset:8
.LBB4_523:
	s_or_b32 exec_lo, exec_lo, s10
	s_waitcnt vmcnt(0)
	global_load_dwordx2 v[2:3], v[0:1], off offset:16
	s_waitcnt vmcnt(0)
	v_cmp_eq_u64_e32 vcc_lo, 0, v[2:3]
	s_cbranch_vccnz .LBB4_525
; %bb.524:
	global_load_dword v0, v[0:1], off offset:24
	v_mov_b32_e32 v1, 0
	s_waitcnt vmcnt(0)
	v_and_b32_e32 v4, 0x7fffff, v0
	s_waitcnt_vscnt null, 0x0
	global_store_dwordx2 v[2:3], v[0:1], off
	v_readfirstlane_b32 m0, v4
	s_sendmsg sendmsg(MSG_INTERRUPT)
.LBB4_525:
	s_or_b32 exec_lo, exec_lo, s5
	s_branch .LBB4_529
	.p2align	6
.LBB4_526:                              ;   in Loop: Header=BB4_529 Depth=1
	s_or_b32 exec_lo, exec_lo, s5
	v_readfirstlane_b32 s5, v0
	s_cmp_eq_u32 s5, 0
	s_cbranch_scc1 .LBB4_528
; %bb.527:                              ;   in Loop: Header=BB4_529 Depth=1
	s_sleep 1
	s_cbranch_execnz .LBB4_529
	s_branch .LBB4_531
	.p2align	6
.LBB4_528:
	s_branch .LBB4_531
.LBB4_529:                              ; =>This Inner Loop Header: Depth=1
	v_mov_b32_e32 v0, 1
	s_and_saveexec_b32 s5, s4
	s_cbranch_execz .LBB4_526
; %bb.530:                              ;   in Loop: Header=BB4_529 Depth=1
	global_load_dword v0, v[8:9], off offset:20 glc dlc
	s_waitcnt vmcnt(0)
	buffer_gl1_inv
	buffer_gl0_inv
	v_and_b32_e32 v0, 1, v0
	s_branch .LBB4_526
.LBB4_531:
	global_load_dwordx2 v[0:1], v[10:11], off
	s_and_saveexec_b32 s5, s4
	s_cbranch_execz .LBB4_535
; %bb.532:
	v_mov_b32_e32 v8, 0
	s_clause 0x2
	global_load_dwordx2 v[4:5], v8, s[26:27] offset:40
	global_load_dwordx2 v[9:10], v8, s[26:27] offset:24 glc dlc
	global_load_dwordx2 v[6:7], v8, s[26:27]
	s_waitcnt vmcnt(2)
	v_add_co_u32 v11, vcc_lo, v4, 1
	v_add_co_ci_u32_e32 v12, vcc_lo, 0, v5, vcc_lo
	v_add_co_u32 v2, vcc_lo, v11, s6
	v_add_co_ci_u32_e32 v3, vcc_lo, s7, v12, vcc_lo
	v_cmp_eq_u64_e32 vcc_lo, 0, v[2:3]
	v_cndmask_b32_e32 v3, v3, v12, vcc_lo
	v_cndmask_b32_e32 v2, v2, v11, vcc_lo
	v_and_b32_e32 v5, v3, v5
	v_and_b32_e32 v4, v2, v4
	v_mul_lo_u32 v5, v5, 24
	v_mul_hi_u32 v11, v4, 24
	v_mul_lo_u32 v4, v4, 24
	v_add_nc_u32_e32 v5, v11, v5
	s_waitcnt vmcnt(0)
	v_add_co_u32 v6, vcc_lo, v6, v4
	v_mov_b32_e32 v4, v9
	v_add_co_ci_u32_e32 v7, vcc_lo, v7, v5, vcc_lo
	v_mov_b32_e32 v5, v10
	global_store_dwordx2 v[6:7], v[9:10], off
	s_waitcnt_vscnt null, 0x0
	global_atomic_cmpswap_x2 v[4:5], v8, v[2:5], s[26:27] offset:24 glc
	s_waitcnt vmcnt(0)
	v_cmp_ne_u64_e32 vcc_lo, v[4:5], v[9:10]
	s_and_b32 exec_lo, exec_lo, vcc_lo
	s_cbranch_execz .LBB4_535
; %bb.533:
	s_mov_b32 s4, 0
.LBB4_534:                              ; =>This Inner Loop Header: Depth=1
	s_sleep 1
	global_store_dwordx2 v[6:7], v[4:5], off
	s_waitcnt_vscnt null, 0x0
	global_atomic_cmpswap_x2 v[9:10], v8, v[2:5], s[26:27] offset:24 glc
	s_waitcnt vmcnt(0)
	v_cmp_eq_u64_e32 vcc_lo, v[9:10], v[4:5]
	v_mov_b32_e32 v4, v9
	v_mov_b32_e32 v5, v10
	s_or_b32 s4, vcc_lo, s4
	s_andn2_b32 exec_lo, exec_lo, s4
	s_cbranch_execnz .LBB4_534
.LBB4_535:
	s_or_b32 exec_lo, exec_lo, s5
.LBB4_536:
	s_getpc_b64 s[6:7]
	s_add_u32 s6, s6, .str.1@rel32@lo+4
	s_addc_u32 s7, s7, .str.1@rel32@hi+12
	s_cmp_lg_u64 s[6:7], 0
	s_cbranch_scc0 .LBB4_615
; %bb.537:
	s_waitcnt vmcnt(0)
	v_and_b32_e32 v6, -3, v0
	v_mov_b32_e32 v7, v1
	v_mov_b32_e32 v3, 0
	;; [unrolled: 1-line block ×4, first 2 shown]
	s_mov_b64 s[10:11], 0x53
	s_branch .LBB4_539
.LBB4_538:                              ;   in Loop: Header=BB4_539 Depth=1
	s_or_b32 exec_lo, exec_lo, s5
	s_sub_u32 s10, s10, s16
	s_subb_u32 s11, s11, s17
	s_add_u32 s6, s6, s16
	s_addc_u32 s7, s7, s17
	s_cmp_lg_u64 s[10:11], 0
	s_cbranch_scc0 .LBB4_614
.LBB4_539:                              ; =>This Loop Header: Depth=1
                                        ;     Child Loop BB4_548 Depth 2
                                        ;     Child Loop BB4_544 Depth 2
	;; [unrolled: 1-line block ×11, first 2 shown]
	v_cmp_lt_u64_e64 s4, s[10:11], 56
	v_cmp_gt_u64_e64 s5, s[10:11], 7
                                        ; implicit-def: $sgpr22
	s_and_b32 s4, s4, exec_lo
	s_cselect_b32 s17, s11, 0
	s_cselect_b32 s16, s10, 56
	s_and_b32 vcc_lo, exec_lo, s5
	s_mov_b32 s4, -1
	s_cbranch_vccz .LBB4_546
; %bb.540:                              ;   in Loop: Header=BB4_539 Depth=1
	s_andn2_b32 vcc_lo, exec_lo, s4
	s_mov_b64 s[4:5], s[6:7]
	s_cbranch_vccz .LBB4_550
.LBB4_541:                              ;   in Loop: Header=BB4_539 Depth=1
	s_cmp_gt_u32 s22, 7
	s_cbranch_scc1 .LBB4_551
.LBB4_542:                              ;   in Loop: Header=BB4_539 Depth=1
	v_mov_b32_e32 v10, 0
	v_mov_b32_e32 v11, 0
	s_cmp_eq_u32 s22, 0
	s_cbranch_scc1 .LBB4_545
; %bb.543:                              ;   in Loop: Header=BB4_539 Depth=1
	s_mov_b64 s[18:19], 0
	s_mov_b64 s[20:21], 0
.LBB4_544:                              ;   Parent Loop BB4_539 Depth=1
                                        ; =>  This Inner Loop Header: Depth=2
	s_add_u32 s24, s4, s20
	s_addc_u32 s25, s5, s21
	s_add_u32 s20, s20, 1
	global_load_ubyte v2, v3, s[24:25]
	s_addc_u32 s21, s21, 0
	s_waitcnt vmcnt(0)
	v_and_b32_e32 v2, 0xffff, v2
	v_lshlrev_b64 v[12:13], s18, v[2:3]
	s_add_u32 s18, s18, 8
	s_addc_u32 s19, s19, 0
	s_cmp_lg_u32 s22, s20
	v_or_b32_e32 v10, v12, v10
	v_or_b32_e32 v11, v13, v11
	s_cbranch_scc1 .LBB4_544
.LBB4_545:                              ;   in Loop: Header=BB4_539 Depth=1
	s_mov_b32 s23, 0
	s_cbranch_execz .LBB4_552
	s_branch .LBB4_553
.LBB4_546:                              ;   in Loop: Header=BB4_539 Depth=1
	s_waitcnt vmcnt(0)
	v_mov_b32_e32 v8, 0
	v_mov_b32_e32 v9, 0
	s_cmp_eq_u64 s[10:11], 0
	s_mov_b64 s[4:5], 0
	s_cbranch_scc1 .LBB4_549
; %bb.547:                              ;   in Loop: Header=BB4_539 Depth=1
	v_mov_b32_e32 v8, 0
	v_mov_b32_e32 v9, 0
	s_lshl_b64 s[18:19], s[16:17], 3
	s_mov_b64 s[20:21], s[6:7]
.LBB4_548:                              ;   Parent Loop BB4_539 Depth=1
                                        ; =>  This Inner Loop Header: Depth=2
	global_load_ubyte v2, v3, s[20:21]
	s_waitcnt vmcnt(0)
	v_and_b32_e32 v2, 0xffff, v2
	v_lshlrev_b64 v[10:11], s4, v[2:3]
	s_add_u32 s4, s4, 8
	s_addc_u32 s5, s5, 0
	s_add_u32 s20, s20, 1
	s_addc_u32 s21, s21, 0
	s_cmp_lg_u32 s18, s4
	v_or_b32_e32 v8, v10, v8
	v_or_b32_e32 v9, v11, v9
	s_cbranch_scc1 .LBB4_548
.LBB4_549:                              ;   in Loop: Header=BB4_539 Depth=1
	s_mov_b32 s22, 0
	s_mov_b64 s[4:5], s[6:7]
	s_cbranch_execnz .LBB4_541
.LBB4_550:                              ;   in Loop: Header=BB4_539 Depth=1
	global_load_dwordx2 v[8:9], v3, s[6:7]
	s_add_i32 s22, s16, -8
	s_add_u32 s4, s6, 8
	s_addc_u32 s5, s7, 0
	s_cmp_gt_u32 s22, 7
	s_cbranch_scc0 .LBB4_542
.LBB4_551:                              ;   in Loop: Header=BB4_539 Depth=1
                                        ; implicit-def: $vgpr10_vgpr11
                                        ; implicit-def: $sgpr23
.LBB4_552:                              ;   in Loop: Header=BB4_539 Depth=1
	global_load_dwordx2 v[10:11], v3, s[4:5]
	s_add_i32 s23, s22, -8
	s_add_u32 s4, s4, 8
	s_addc_u32 s5, s5, 0
.LBB4_553:                              ;   in Loop: Header=BB4_539 Depth=1
	s_cmp_gt_u32 s23, 7
	s_cbranch_scc1 .LBB4_558
; %bb.554:                              ;   in Loop: Header=BB4_539 Depth=1
	v_mov_b32_e32 v12, 0
	v_mov_b32_e32 v13, 0
	s_cmp_eq_u32 s23, 0
	s_cbranch_scc1 .LBB4_557
; %bb.555:                              ;   in Loop: Header=BB4_539 Depth=1
	s_mov_b64 s[18:19], 0
	s_mov_b64 s[20:21], 0
.LBB4_556:                              ;   Parent Loop BB4_539 Depth=1
                                        ; =>  This Inner Loop Header: Depth=2
	s_add_u32 s24, s4, s20
	s_addc_u32 s25, s5, s21
	s_add_u32 s20, s20, 1
	global_load_ubyte v2, v3, s[24:25]
	s_addc_u32 s21, s21, 0
	s_waitcnt vmcnt(0)
	v_and_b32_e32 v2, 0xffff, v2
	v_lshlrev_b64 v[14:15], s18, v[2:3]
	s_add_u32 s18, s18, 8
	s_addc_u32 s19, s19, 0
	s_cmp_lg_u32 s23, s20
	v_or_b32_e32 v12, v14, v12
	v_or_b32_e32 v13, v15, v13
	s_cbranch_scc1 .LBB4_556
.LBB4_557:                              ;   in Loop: Header=BB4_539 Depth=1
	s_mov_b32 s22, 0
	s_cbranch_execz .LBB4_559
	s_branch .LBB4_560
.LBB4_558:                              ;   in Loop: Header=BB4_539 Depth=1
                                        ; implicit-def: $sgpr22
.LBB4_559:                              ;   in Loop: Header=BB4_539 Depth=1
	global_load_dwordx2 v[12:13], v3, s[4:5]
	s_add_i32 s22, s23, -8
	s_add_u32 s4, s4, 8
	s_addc_u32 s5, s5, 0
.LBB4_560:                              ;   in Loop: Header=BB4_539 Depth=1
	s_cmp_gt_u32 s22, 7
	s_cbranch_scc1 .LBB4_565
; %bb.561:                              ;   in Loop: Header=BB4_539 Depth=1
	v_mov_b32_e32 v14, 0
	v_mov_b32_e32 v15, 0
	s_cmp_eq_u32 s22, 0
	s_cbranch_scc1 .LBB4_564
; %bb.562:                              ;   in Loop: Header=BB4_539 Depth=1
	s_mov_b64 s[18:19], 0
	s_mov_b64 s[20:21], 0
.LBB4_563:                              ;   Parent Loop BB4_539 Depth=1
                                        ; =>  This Inner Loop Header: Depth=2
	s_add_u32 s24, s4, s20
	s_addc_u32 s25, s5, s21
	s_add_u32 s20, s20, 1
	global_load_ubyte v2, v3, s[24:25]
	s_addc_u32 s21, s21, 0
	s_waitcnt vmcnt(0)
	v_and_b32_e32 v2, 0xffff, v2
	v_lshlrev_b64 v[16:17], s18, v[2:3]
	s_add_u32 s18, s18, 8
	s_addc_u32 s19, s19, 0
	s_cmp_lg_u32 s22, s20
	v_or_b32_e32 v14, v16, v14
	v_or_b32_e32 v15, v17, v15
	s_cbranch_scc1 .LBB4_563
.LBB4_564:                              ;   in Loop: Header=BB4_539 Depth=1
	s_mov_b32 s23, 0
	s_cbranch_execz .LBB4_566
	s_branch .LBB4_567
.LBB4_565:                              ;   in Loop: Header=BB4_539 Depth=1
                                        ; implicit-def: $vgpr14_vgpr15
                                        ; implicit-def: $sgpr23
.LBB4_566:                              ;   in Loop: Header=BB4_539 Depth=1
	global_load_dwordx2 v[14:15], v3, s[4:5]
	s_add_i32 s23, s22, -8
	s_add_u32 s4, s4, 8
	s_addc_u32 s5, s5, 0
.LBB4_567:                              ;   in Loop: Header=BB4_539 Depth=1
	s_cmp_gt_u32 s23, 7
	s_cbranch_scc1 .LBB4_572
; %bb.568:                              ;   in Loop: Header=BB4_539 Depth=1
	v_mov_b32_e32 v16, 0
	v_mov_b32_e32 v17, 0
	s_cmp_eq_u32 s23, 0
	s_cbranch_scc1 .LBB4_571
; %bb.569:                              ;   in Loop: Header=BB4_539 Depth=1
	s_mov_b64 s[18:19], 0
	s_mov_b64 s[20:21], 0
.LBB4_570:                              ;   Parent Loop BB4_539 Depth=1
                                        ; =>  This Inner Loop Header: Depth=2
	s_add_u32 s24, s4, s20
	s_addc_u32 s25, s5, s21
	s_add_u32 s20, s20, 1
	global_load_ubyte v2, v3, s[24:25]
	s_addc_u32 s21, s21, 0
	s_waitcnt vmcnt(0)
	v_and_b32_e32 v2, 0xffff, v2
	v_lshlrev_b64 v[18:19], s18, v[2:3]
	s_add_u32 s18, s18, 8
	s_addc_u32 s19, s19, 0
	s_cmp_lg_u32 s23, s20
	v_or_b32_e32 v16, v18, v16
	v_or_b32_e32 v17, v19, v17
	s_cbranch_scc1 .LBB4_570
.LBB4_571:                              ;   in Loop: Header=BB4_539 Depth=1
	s_mov_b32 s22, 0
	s_cbranch_execz .LBB4_573
	s_branch .LBB4_574
.LBB4_572:                              ;   in Loop: Header=BB4_539 Depth=1
                                        ; implicit-def: $sgpr22
.LBB4_573:                              ;   in Loop: Header=BB4_539 Depth=1
	global_load_dwordx2 v[16:17], v3, s[4:5]
	s_add_i32 s22, s23, -8
	s_add_u32 s4, s4, 8
	s_addc_u32 s5, s5, 0
.LBB4_574:                              ;   in Loop: Header=BB4_539 Depth=1
	s_cmp_gt_u32 s22, 7
	s_cbranch_scc1 .LBB4_579
; %bb.575:                              ;   in Loop: Header=BB4_539 Depth=1
	v_mov_b32_e32 v18, 0
	v_mov_b32_e32 v19, 0
	s_cmp_eq_u32 s22, 0
	s_cbranch_scc1 .LBB4_578
; %bb.576:                              ;   in Loop: Header=BB4_539 Depth=1
	s_mov_b64 s[18:19], 0
	s_mov_b64 s[20:21], 0
.LBB4_577:                              ;   Parent Loop BB4_539 Depth=1
                                        ; =>  This Inner Loop Header: Depth=2
	s_add_u32 s24, s4, s20
	s_addc_u32 s25, s5, s21
	s_add_u32 s20, s20, 1
	global_load_ubyte v2, v3, s[24:25]
	s_addc_u32 s21, s21, 0
	s_waitcnt vmcnt(0)
	v_and_b32_e32 v2, 0xffff, v2
	v_lshlrev_b64 v[20:21], s18, v[2:3]
	s_add_u32 s18, s18, 8
	s_addc_u32 s19, s19, 0
	s_cmp_lg_u32 s22, s20
	v_or_b32_e32 v18, v20, v18
	v_or_b32_e32 v19, v21, v19
	s_cbranch_scc1 .LBB4_577
.LBB4_578:                              ;   in Loop: Header=BB4_539 Depth=1
	s_mov_b32 s23, 0
	s_cbranch_execz .LBB4_580
	s_branch .LBB4_581
.LBB4_579:                              ;   in Loop: Header=BB4_539 Depth=1
                                        ; implicit-def: $vgpr18_vgpr19
                                        ; implicit-def: $sgpr23
.LBB4_580:                              ;   in Loop: Header=BB4_539 Depth=1
	global_load_dwordx2 v[18:19], v3, s[4:5]
	s_add_i32 s23, s22, -8
	s_add_u32 s4, s4, 8
	s_addc_u32 s5, s5, 0
.LBB4_581:                              ;   in Loop: Header=BB4_539 Depth=1
	s_cmp_gt_u32 s23, 7
	s_cbranch_scc1 .LBB4_586
; %bb.582:                              ;   in Loop: Header=BB4_539 Depth=1
	v_mov_b32_e32 v20, 0
	v_mov_b32_e32 v21, 0
	s_cmp_eq_u32 s23, 0
	s_cbranch_scc1 .LBB4_585
; %bb.583:                              ;   in Loop: Header=BB4_539 Depth=1
	s_mov_b64 s[18:19], 0
	s_mov_b64 s[20:21], s[4:5]
.LBB4_584:                              ;   Parent Loop BB4_539 Depth=1
                                        ; =>  This Inner Loop Header: Depth=2
	global_load_ubyte v2, v3, s[20:21]
	s_add_i32 s23, s23, -1
	s_waitcnt vmcnt(0)
	v_and_b32_e32 v2, 0xffff, v2
	v_lshlrev_b64 v[22:23], s18, v[2:3]
	s_add_u32 s18, s18, 8
	s_addc_u32 s19, s19, 0
	s_add_u32 s20, s20, 1
	s_addc_u32 s21, s21, 0
	s_cmp_lg_u32 s23, 0
	v_or_b32_e32 v20, v22, v20
	v_or_b32_e32 v21, v23, v21
	s_cbranch_scc1 .LBB4_584
.LBB4_585:                              ;   in Loop: Header=BB4_539 Depth=1
	s_cbranch_execz .LBB4_587
	s_branch .LBB4_588
.LBB4_586:                              ;   in Loop: Header=BB4_539 Depth=1
.LBB4_587:                              ;   in Loop: Header=BB4_539 Depth=1
	global_load_dwordx2 v[20:21], v3, s[4:5]
.LBB4_588:                              ;   in Loop: Header=BB4_539 Depth=1
	v_readfirstlane_b32 s4, v49
	v_mov_b32_e32 v26, 0
	v_mov_b32_e32 v27, 0
	v_cmp_eq_u32_e64 s4, s4, v49
	s_and_saveexec_b32 s5, s4
	s_cbranch_execz .LBB4_594
; %bb.589:                              ;   in Loop: Header=BB4_539 Depth=1
	global_load_dwordx2 v[24:25], v3, s[26:27] offset:24 glc dlc
	s_waitcnt vmcnt(0)
	buffer_gl1_inv
	buffer_gl0_inv
	s_clause 0x1
	global_load_dwordx2 v[22:23], v3, s[26:27] offset:40
	global_load_dwordx2 v[26:27], v3, s[26:27]
	s_mov_b32 s18, exec_lo
	s_waitcnt vmcnt(1)
	v_and_b32_e32 v2, v23, v25
	v_and_b32_e32 v22, v22, v24
	v_mul_lo_u32 v2, v2, 24
	v_mul_hi_u32 v23, v22, 24
	v_mul_lo_u32 v22, v22, 24
	v_add_nc_u32_e32 v2, v23, v2
	s_waitcnt vmcnt(0)
	v_add_co_u32 v22, vcc_lo, v26, v22
	v_add_co_ci_u32_e32 v23, vcc_lo, v27, v2, vcc_lo
	global_load_dwordx2 v[22:23], v[22:23], off glc dlc
	s_waitcnt vmcnt(0)
	global_atomic_cmpswap_x2 v[26:27], v3, v[22:25], s[26:27] offset:24 glc
	s_waitcnt vmcnt(0)
	buffer_gl1_inv
	buffer_gl0_inv
	v_cmpx_ne_u64_e64 v[26:27], v[24:25]
	s_cbranch_execz .LBB4_593
; %bb.590:                              ;   in Loop: Header=BB4_539 Depth=1
	s_mov_b32 s19, 0
	.p2align	6
.LBB4_591:                              ;   Parent Loop BB4_539 Depth=1
                                        ; =>  This Inner Loop Header: Depth=2
	s_sleep 1
	s_clause 0x1
	global_load_dwordx2 v[22:23], v3, s[26:27] offset:40
	global_load_dwordx2 v[28:29], v3, s[26:27]
	v_mov_b32_e32 v24, v26
	v_mov_b32_e32 v25, v27
	s_waitcnt vmcnt(1)
	v_and_b32_e32 v2, v22, v24
	v_and_b32_e32 v22, v23, v25
	s_waitcnt vmcnt(0)
	v_mad_u64_u32 v[26:27], null, v2, 24, v[28:29]
	v_mov_b32_e32 v2, v27
	v_mad_u64_u32 v[22:23], null, v22, 24, v[2:3]
	v_mov_b32_e32 v27, v22
	global_load_dwordx2 v[22:23], v[26:27], off glc dlc
	s_waitcnt vmcnt(0)
	global_atomic_cmpswap_x2 v[26:27], v3, v[22:25], s[26:27] offset:24 glc
	s_waitcnt vmcnt(0)
	buffer_gl1_inv
	buffer_gl0_inv
	v_cmp_eq_u64_e32 vcc_lo, v[26:27], v[24:25]
	s_or_b32 s19, vcc_lo, s19
	s_andn2_b32 exec_lo, exec_lo, s19
	s_cbranch_execnz .LBB4_591
; %bb.592:                              ;   in Loop: Header=BB4_539 Depth=1
	s_or_b32 exec_lo, exec_lo, s19
.LBB4_593:                              ;   in Loop: Header=BB4_539 Depth=1
	s_or_b32 exec_lo, exec_lo, s18
.LBB4_594:                              ;   in Loop: Header=BB4_539 Depth=1
	s_or_b32 exec_lo, exec_lo, s5
	s_clause 0x1
	global_load_dwordx2 v[28:29], v3, s[26:27] offset:40
	global_load_dwordx4 v[22:25], v3, s[26:27]
	v_readfirstlane_b32 s18, v26
	v_readfirstlane_b32 s19, v27
	s_mov_b32 s5, exec_lo
	s_waitcnt vmcnt(1)
	v_readfirstlane_b32 s20, v28
	v_readfirstlane_b32 s21, v29
	s_and_b64 s[20:21], s[18:19], s[20:21]
	s_mul_i32 s22, s21, 24
	s_mul_hi_u32 s23, s20, 24
	s_mul_i32 s24, s20, 24
	s_add_i32 s23, s23, s22
	s_waitcnt vmcnt(0)
	v_add_co_u32 v26, vcc_lo, v22, s24
	v_add_co_ci_u32_e32 v27, vcc_lo, s23, v23, vcc_lo
	s_and_saveexec_b32 s22, s4
	s_cbranch_execz .LBB4_596
; %bb.595:                              ;   in Loop: Header=BB4_539 Depth=1
	v_mov_b32_e32 v2, s5
	global_store_dwordx4 v[26:27], v[2:5], off offset:8
.LBB4_596:                              ;   in Loop: Header=BB4_539 Depth=1
	s_or_b32 exec_lo, exec_lo, s22
	s_lshl_b64 s[20:21], s[20:21], 12
	v_or_b32_e32 v2, 2, v6
	v_add_co_u32 v24, vcc_lo, v24, s20
	v_add_co_ci_u32_e32 v25, vcc_lo, s21, v25, vcc_lo
	v_cmp_gt_u64_e64 vcc_lo, s[10:11], 56
	s_lshl_b32 s5, s16, 2
	v_readfirstlane_b32 s20, v24
	s_add_i32 s5, s5, 28
	v_readfirstlane_b32 s21, v25
	s_and_b32 s5, s5, 0x1e0
	v_cndmask_b32_e32 v2, v2, v6, vcc_lo
	v_and_or_b32 v6, 0xffffff1f, v2, s5
	global_store_dwordx4 v48, v[10:13], s[20:21] offset:16
	global_store_dwordx4 v48, v[6:9], s[20:21]
	global_store_dwordx4 v48, v[14:17], s[20:21] offset:32
	global_store_dwordx4 v48, v[18:21], s[20:21] offset:48
	s_and_saveexec_b32 s5, s4
	s_cbranch_execz .LBB4_604
; %bb.597:                              ;   in Loop: Header=BB4_539 Depth=1
	s_clause 0x1
	global_load_dwordx2 v[14:15], v3, s[26:27] offset:32 glc dlc
	global_load_dwordx2 v[6:7], v3, s[26:27] offset:40
	v_mov_b32_e32 v12, s18
	v_mov_b32_e32 v13, s19
	s_waitcnt vmcnt(0)
	v_readfirstlane_b32 s20, v6
	v_readfirstlane_b32 s21, v7
	s_and_b64 s[20:21], s[20:21], s[18:19]
	s_mul_i32 s21, s21, 24
	s_mul_hi_u32 s22, s20, 24
	s_mul_i32 s20, s20, 24
	s_add_i32 s22, s22, s21
	v_add_co_u32 v10, vcc_lo, v22, s20
	v_add_co_ci_u32_e32 v11, vcc_lo, s22, v23, vcc_lo
	s_mov_b32 s20, exec_lo
	global_store_dwordx2 v[10:11], v[14:15], off
	s_waitcnt_vscnt null, 0x0
	global_atomic_cmpswap_x2 v[8:9], v3, v[12:15], s[26:27] offset:32 glc
	s_waitcnt vmcnt(0)
	v_cmpx_ne_u64_e64 v[8:9], v[14:15]
	s_cbranch_execz .LBB4_600
; %bb.598:                              ;   in Loop: Header=BB4_539 Depth=1
	s_mov_b32 s21, 0
.LBB4_599:                              ;   Parent Loop BB4_539 Depth=1
                                        ; =>  This Inner Loop Header: Depth=2
	v_mov_b32_e32 v6, s18
	v_mov_b32_e32 v7, s19
	s_sleep 1
	global_store_dwordx2 v[10:11], v[8:9], off
	s_waitcnt_vscnt null, 0x0
	global_atomic_cmpswap_x2 v[6:7], v3, v[6:9], s[26:27] offset:32 glc
	s_waitcnt vmcnt(0)
	v_cmp_eq_u64_e32 vcc_lo, v[6:7], v[8:9]
	v_mov_b32_e32 v9, v7
	v_mov_b32_e32 v8, v6
	s_or_b32 s21, vcc_lo, s21
	s_andn2_b32 exec_lo, exec_lo, s21
	s_cbranch_execnz .LBB4_599
.LBB4_600:                              ;   in Loop: Header=BB4_539 Depth=1
	s_or_b32 exec_lo, exec_lo, s20
	global_load_dwordx2 v[6:7], v3, s[26:27] offset:16
	s_mov_b32 s21, exec_lo
	s_mov_b32 s20, exec_lo
	v_mbcnt_lo_u32_b32 v2, s21, 0
	v_cmpx_eq_u32_e32 0, v2
	s_cbranch_execz .LBB4_602
; %bb.601:                              ;   in Loop: Header=BB4_539 Depth=1
	s_bcnt1_i32_b32 s21, s21
	v_mov_b32_e32 v2, s21
	s_waitcnt vmcnt(0)
	global_atomic_add_x2 v[6:7], v[2:3], off offset:8
.LBB4_602:                              ;   in Loop: Header=BB4_539 Depth=1
	s_or_b32 exec_lo, exec_lo, s20
	s_waitcnt vmcnt(0)
	global_load_dwordx2 v[8:9], v[6:7], off offset:16
	s_waitcnt vmcnt(0)
	v_cmp_eq_u64_e32 vcc_lo, 0, v[8:9]
	s_cbranch_vccnz .LBB4_604
; %bb.603:                              ;   in Loop: Header=BB4_539 Depth=1
	global_load_dword v2, v[6:7], off offset:24
	s_waitcnt vmcnt(0)
	v_and_b32_e32 v6, 0x7fffff, v2
	s_waitcnt_vscnt null, 0x0
	global_store_dwordx2 v[8:9], v[2:3], off
	v_readfirstlane_b32 m0, v6
	s_sendmsg sendmsg(MSG_INTERRUPT)
.LBB4_604:                              ;   in Loop: Header=BB4_539 Depth=1
	s_or_b32 exec_lo, exec_lo, s5
	v_add_co_u32 v6, vcc_lo, v24, v48
	v_add_co_ci_u32_e32 v7, vcc_lo, 0, v25, vcc_lo
	s_branch .LBB4_608
	.p2align	6
.LBB4_605:                              ;   in Loop: Header=BB4_608 Depth=2
	s_or_b32 exec_lo, exec_lo, s5
	v_readfirstlane_b32 s5, v2
	s_cmp_eq_u32 s5, 0
	s_cbranch_scc1 .LBB4_607
; %bb.606:                              ;   in Loop: Header=BB4_608 Depth=2
	s_sleep 1
	s_cbranch_execnz .LBB4_608
	s_branch .LBB4_610
	.p2align	6
.LBB4_607:                              ;   in Loop: Header=BB4_539 Depth=1
	s_branch .LBB4_610
.LBB4_608:                              ;   Parent Loop BB4_539 Depth=1
                                        ; =>  This Inner Loop Header: Depth=2
	v_mov_b32_e32 v2, 1
	s_and_saveexec_b32 s5, s4
	s_cbranch_execz .LBB4_605
; %bb.609:                              ;   in Loop: Header=BB4_608 Depth=2
	global_load_dword v2, v[26:27], off offset:20 glc dlc
	s_waitcnt vmcnt(0)
	buffer_gl1_inv
	buffer_gl0_inv
	v_and_b32_e32 v2, 1, v2
	s_branch .LBB4_605
.LBB4_610:                              ;   in Loop: Header=BB4_539 Depth=1
	global_load_dwordx4 v[6:9], v[6:7], off
	s_and_saveexec_b32 s5, s4
	s_cbranch_execz .LBB4_538
; %bb.611:                              ;   in Loop: Header=BB4_539 Depth=1
	s_clause 0x2
	global_load_dwordx2 v[10:11], v3, s[26:27] offset:40
	global_load_dwordx2 v[14:15], v3, s[26:27] offset:24 glc dlc
	global_load_dwordx2 v[12:13], v3, s[26:27]
	s_waitcnt vmcnt(2)
	v_add_co_u32 v2, vcc_lo, v10, 1
	v_add_co_ci_u32_e32 v16, vcc_lo, 0, v11, vcc_lo
	v_add_co_u32 v8, vcc_lo, v2, s18
	v_add_co_ci_u32_e32 v9, vcc_lo, s19, v16, vcc_lo
	v_cmp_eq_u64_e32 vcc_lo, 0, v[8:9]
	v_cndmask_b32_e32 v9, v9, v16, vcc_lo
	v_cndmask_b32_e32 v8, v8, v2, vcc_lo
	v_and_b32_e32 v2, v9, v11
	v_and_b32_e32 v10, v8, v10
	v_mul_lo_u32 v2, v2, 24
	v_mul_hi_u32 v11, v10, 24
	v_mul_lo_u32 v10, v10, 24
	v_add_nc_u32_e32 v2, v11, v2
	s_waitcnt vmcnt(0)
	v_add_co_u32 v12, vcc_lo, v12, v10
	v_mov_b32_e32 v10, v14
	v_mov_b32_e32 v11, v15
	v_add_co_ci_u32_e32 v13, vcc_lo, v13, v2, vcc_lo
	global_store_dwordx2 v[12:13], v[14:15], off
	s_waitcnt_vscnt null, 0x0
	global_atomic_cmpswap_x2 v[10:11], v3, v[8:11], s[26:27] offset:24 glc
	s_waitcnt vmcnt(0)
	v_cmp_ne_u64_e32 vcc_lo, v[10:11], v[14:15]
	s_and_b32 exec_lo, exec_lo, vcc_lo
	s_cbranch_execz .LBB4_538
; %bb.612:                              ;   in Loop: Header=BB4_539 Depth=1
	s_mov_b32 s4, 0
.LBB4_613:                              ;   Parent Loop BB4_539 Depth=1
                                        ; =>  This Inner Loop Header: Depth=2
	s_sleep 1
	global_store_dwordx2 v[12:13], v[10:11], off
	s_waitcnt_vscnt null, 0x0
	global_atomic_cmpswap_x2 v[14:15], v3, v[8:11], s[26:27] offset:24 glc
	s_waitcnt vmcnt(0)
	v_cmp_eq_u64_e32 vcc_lo, v[14:15], v[10:11]
	v_mov_b32_e32 v10, v14
	v_mov_b32_e32 v11, v15
	s_or_b32 s4, vcc_lo, s4
	s_andn2_b32 exec_lo, exec_lo, s4
	s_cbranch_execnz .LBB4_613
	s_branch .LBB4_538
.LBB4_614:
	s_branch .LBB4_643
.LBB4_615:
	s_cbranch_execz .LBB4_643
; %bb.616:
	v_readfirstlane_b32 s4, v49
	s_waitcnt vmcnt(0)
	v_mov_b32_e32 v8, 0
	v_mov_b32_e32 v9, 0
	v_cmp_eq_u32_e64 s4, s4, v49
	s_and_saveexec_b32 s5, s4
	s_cbranch_execz .LBB4_622
; %bb.617:
	v_mov_b32_e32 v2, 0
	s_mov_b32 s6, exec_lo
	global_load_dwordx2 v[5:6], v2, s[26:27] offset:24 glc dlc
	s_waitcnt vmcnt(0)
	buffer_gl1_inv
	buffer_gl0_inv
	s_clause 0x1
	global_load_dwordx2 v[3:4], v2, s[26:27] offset:40
	global_load_dwordx2 v[7:8], v2, s[26:27]
	s_waitcnt vmcnt(1)
	v_and_b32_e32 v4, v4, v6
	v_and_b32_e32 v3, v3, v5
	v_mul_lo_u32 v4, v4, 24
	v_mul_hi_u32 v9, v3, 24
	v_mul_lo_u32 v3, v3, 24
	v_add_nc_u32_e32 v4, v9, v4
	s_waitcnt vmcnt(0)
	v_add_co_u32 v3, vcc_lo, v7, v3
	v_add_co_ci_u32_e32 v4, vcc_lo, v8, v4, vcc_lo
	global_load_dwordx2 v[3:4], v[3:4], off glc dlc
	s_waitcnt vmcnt(0)
	global_atomic_cmpswap_x2 v[8:9], v2, v[3:6], s[26:27] offset:24 glc
	s_waitcnt vmcnt(0)
	buffer_gl1_inv
	buffer_gl0_inv
	v_cmpx_ne_u64_e64 v[8:9], v[5:6]
	s_cbranch_execz .LBB4_621
; %bb.618:
	s_mov_b32 s7, 0
	.p2align	6
.LBB4_619:                              ; =>This Inner Loop Header: Depth=1
	s_sleep 1
	s_clause 0x1
	global_load_dwordx2 v[3:4], v2, s[26:27] offset:40
	global_load_dwordx2 v[10:11], v2, s[26:27]
	v_mov_b32_e32 v5, v8
	v_mov_b32_e32 v6, v9
	s_waitcnt vmcnt(1)
	v_and_b32_e32 v3, v3, v5
	v_and_b32_e32 v4, v4, v6
	s_waitcnt vmcnt(0)
	v_mad_u64_u32 v[7:8], null, v3, 24, v[10:11]
	v_mov_b32_e32 v3, v8
	v_mad_u64_u32 v[3:4], null, v4, 24, v[3:4]
	v_mov_b32_e32 v8, v3
	global_load_dwordx2 v[3:4], v[7:8], off glc dlc
	s_waitcnt vmcnt(0)
	global_atomic_cmpswap_x2 v[8:9], v2, v[3:6], s[26:27] offset:24 glc
	s_waitcnt vmcnt(0)
	buffer_gl1_inv
	buffer_gl0_inv
	v_cmp_eq_u64_e32 vcc_lo, v[8:9], v[5:6]
	s_or_b32 s7, vcc_lo, s7
	s_andn2_b32 exec_lo, exec_lo, s7
	s_cbranch_execnz .LBB4_619
; %bb.620:
	s_or_b32 exec_lo, exec_lo, s7
.LBB4_621:
	s_or_b32 exec_lo, exec_lo, s6
.LBB4_622:
	s_or_b32 exec_lo, exec_lo, s5
	v_mov_b32_e32 v2, 0
	v_readfirstlane_b32 s6, v8
	v_readfirstlane_b32 s7, v9
	s_mov_b32 s5, exec_lo
	s_clause 0x1
	global_load_dwordx2 v[10:11], v2, s[26:27] offset:40
	global_load_dwordx4 v[4:7], v2, s[26:27]
	s_waitcnt vmcnt(1)
	v_readfirstlane_b32 s10, v10
	v_readfirstlane_b32 s11, v11
	s_and_b64 s[10:11], s[6:7], s[10:11]
	s_mul_i32 s16, s11, 24
	s_mul_hi_u32 s17, s10, 24
	s_mul_i32 s18, s10, 24
	s_add_i32 s17, s17, s16
	s_waitcnt vmcnt(0)
	v_add_co_u32 v8, vcc_lo, v4, s18
	v_add_co_ci_u32_e32 v9, vcc_lo, s17, v5, vcc_lo
	s_and_saveexec_b32 s16, s4
	s_cbranch_execz .LBB4_624
; %bb.623:
	v_mov_b32_e32 v10, s5
	v_mov_b32_e32 v11, v2
	;; [unrolled: 1-line block ×4, first 2 shown]
	global_store_dwordx4 v[8:9], v[10:13], off offset:8
.LBB4_624:
	s_or_b32 exec_lo, exec_lo, s16
	s_lshl_b64 s[10:11], s[10:11], 12
	s_mov_b32 s16, 0
	v_add_co_u32 v6, vcc_lo, v6, s10
	v_add_co_ci_u32_e32 v7, vcc_lo, s11, v7, vcc_lo
	s_mov_b32 s17, s16
	s_mov_b32 s18, s16
	;; [unrolled: 1-line block ×3, first 2 shown]
	v_and_or_b32 v0, 0xffffff1d, v0, 34
	v_mov_b32_e32 v3, v2
	v_readfirstlane_b32 s10, v6
	v_readfirstlane_b32 s11, v7
	v_mov_b32_e32 v10, s16
	v_mov_b32_e32 v11, s17
	;; [unrolled: 1-line block ×4, first 2 shown]
	global_store_dwordx4 v48, v[0:3], s[10:11]
	global_store_dwordx4 v48, v[10:13], s[10:11] offset:16
	global_store_dwordx4 v48, v[10:13], s[10:11] offset:32
	;; [unrolled: 1-line block ×3, first 2 shown]
	s_and_saveexec_b32 s5, s4
	s_cbranch_execz .LBB4_632
; %bb.625:
	v_mov_b32_e32 v6, 0
	v_mov_b32_e32 v10, s6
	;; [unrolled: 1-line block ×3, first 2 shown]
	s_clause 0x1
	global_load_dwordx2 v[12:13], v6, s[26:27] offset:32 glc dlc
	global_load_dwordx2 v[0:1], v6, s[26:27] offset:40
	s_waitcnt vmcnt(0)
	v_readfirstlane_b32 s10, v0
	v_readfirstlane_b32 s11, v1
	s_and_b64 s[10:11], s[10:11], s[6:7]
	s_mul_i32 s11, s11, 24
	s_mul_hi_u32 s16, s10, 24
	s_mul_i32 s10, s10, 24
	s_add_i32 s16, s16, s11
	v_add_co_u32 v4, vcc_lo, v4, s10
	v_add_co_ci_u32_e32 v5, vcc_lo, s16, v5, vcc_lo
	s_mov_b32 s10, exec_lo
	global_store_dwordx2 v[4:5], v[12:13], off
	s_waitcnt_vscnt null, 0x0
	global_atomic_cmpswap_x2 v[2:3], v6, v[10:13], s[26:27] offset:32 glc
	s_waitcnt vmcnt(0)
	v_cmpx_ne_u64_e64 v[2:3], v[12:13]
	s_cbranch_execz .LBB4_628
; %bb.626:
	s_mov_b32 s11, 0
.LBB4_627:                              ; =>This Inner Loop Header: Depth=1
	v_mov_b32_e32 v0, s6
	v_mov_b32_e32 v1, s7
	s_sleep 1
	global_store_dwordx2 v[4:5], v[2:3], off
	s_waitcnt_vscnt null, 0x0
	global_atomic_cmpswap_x2 v[0:1], v6, v[0:3], s[26:27] offset:32 glc
	s_waitcnt vmcnt(0)
	v_cmp_eq_u64_e32 vcc_lo, v[0:1], v[2:3]
	v_mov_b32_e32 v3, v1
	v_mov_b32_e32 v2, v0
	s_or_b32 s11, vcc_lo, s11
	s_andn2_b32 exec_lo, exec_lo, s11
	s_cbranch_execnz .LBB4_627
.LBB4_628:
	s_or_b32 exec_lo, exec_lo, s10
	v_mov_b32_e32 v3, 0
	s_mov_b32 s11, exec_lo
	s_mov_b32 s10, exec_lo
	v_mbcnt_lo_u32_b32 v2, s11, 0
	global_load_dwordx2 v[0:1], v3, s[26:27] offset:16
	v_cmpx_eq_u32_e32 0, v2
	s_cbranch_execz .LBB4_630
; %bb.629:
	s_bcnt1_i32_b32 s11, s11
	v_mov_b32_e32 v2, s11
	s_waitcnt vmcnt(0)
	global_atomic_add_x2 v[0:1], v[2:3], off offset:8
.LBB4_630:
	s_or_b32 exec_lo, exec_lo, s10
	s_waitcnt vmcnt(0)
	global_load_dwordx2 v[2:3], v[0:1], off offset:16
	s_waitcnt vmcnt(0)
	v_cmp_eq_u64_e32 vcc_lo, 0, v[2:3]
	s_cbranch_vccnz .LBB4_632
; %bb.631:
	global_load_dword v0, v[0:1], off offset:24
	v_mov_b32_e32 v1, 0
	s_waitcnt vmcnt(0)
	v_and_b32_e32 v4, 0x7fffff, v0
	s_waitcnt_vscnt null, 0x0
	global_store_dwordx2 v[2:3], v[0:1], off
	v_readfirstlane_b32 m0, v4
	s_sendmsg sendmsg(MSG_INTERRUPT)
.LBB4_632:
	s_or_b32 exec_lo, exec_lo, s5
	s_branch .LBB4_636
	.p2align	6
.LBB4_633:                              ;   in Loop: Header=BB4_636 Depth=1
	s_or_b32 exec_lo, exec_lo, s5
	v_readfirstlane_b32 s5, v0
	s_cmp_eq_u32 s5, 0
	s_cbranch_scc1 .LBB4_635
; %bb.634:                              ;   in Loop: Header=BB4_636 Depth=1
	s_sleep 1
	s_cbranch_execnz .LBB4_636
	s_branch .LBB4_638
	.p2align	6
.LBB4_635:
	s_branch .LBB4_638
.LBB4_636:                              ; =>This Inner Loop Header: Depth=1
	v_mov_b32_e32 v0, 1
	s_and_saveexec_b32 s5, s4
	s_cbranch_execz .LBB4_633
; %bb.637:                              ;   in Loop: Header=BB4_636 Depth=1
	global_load_dword v0, v[8:9], off offset:20 glc dlc
	s_waitcnt vmcnt(0)
	buffer_gl1_inv
	buffer_gl0_inv
	v_and_b32_e32 v0, 1, v0
	s_branch .LBB4_633
.LBB4_638:
	s_and_saveexec_b32 s5, s4
	s_cbranch_execz .LBB4_642
; %bb.639:
	v_mov_b32_e32 v6, 0
	s_clause 0x2
	global_load_dwordx2 v[2:3], v6, s[26:27] offset:40
	global_load_dwordx2 v[7:8], v6, s[26:27] offset:24 glc dlc
	global_load_dwordx2 v[4:5], v6, s[26:27]
	s_waitcnt vmcnt(2)
	v_add_co_u32 v9, vcc_lo, v2, 1
	v_add_co_ci_u32_e32 v10, vcc_lo, 0, v3, vcc_lo
	v_add_co_u32 v0, vcc_lo, v9, s6
	v_add_co_ci_u32_e32 v1, vcc_lo, s7, v10, vcc_lo
	v_cmp_eq_u64_e32 vcc_lo, 0, v[0:1]
	v_cndmask_b32_e32 v1, v1, v10, vcc_lo
	v_cndmask_b32_e32 v0, v0, v9, vcc_lo
	v_and_b32_e32 v3, v1, v3
	v_and_b32_e32 v2, v0, v2
	v_mul_lo_u32 v3, v3, 24
	v_mul_hi_u32 v9, v2, 24
	v_mul_lo_u32 v2, v2, 24
	v_add_nc_u32_e32 v3, v9, v3
	s_waitcnt vmcnt(0)
	v_add_co_u32 v4, vcc_lo, v4, v2
	v_mov_b32_e32 v2, v7
	v_add_co_ci_u32_e32 v5, vcc_lo, v5, v3, vcc_lo
	v_mov_b32_e32 v3, v8
	global_store_dwordx2 v[4:5], v[7:8], off
	s_waitcnt_vscnt null, 0x0
	global_atomic_cmpswap_x2 v[2:3], v6, v[0:3], s[26:27] offset:24 glc
	s_waitcnt vmcnt(0)
	v_cmp_ne_u64_e32 vcc_lo, v[2:3], v[7:8]
	s_and_b32 exec_lo, exec_lo, vcc_lo
	s_cbranch_execz .LBB4_642
; %bb.640:
	s_mov_b32 s4, 0
.LBB4_641:                              ; =>This Inner Loop Header: Depth=1
	s_sleep 1
	global_store_dwordx2 v[4:5], v[2:3], off
	s_waitcnt_vscnt null, 0x0
	global_atomic_cmpswap_x2 v[7:8], v6, v[0:3], s[26:27] offset:24 glc
	s_waitcnt vmcnt(0)
	v_cmp_eq_u64_e32 vcc_lo, v[7:8], v[2:3]
	v_mov_b32_e32 v2, v7
	v_mov_b32_e32 v3, v8
	s_or_b32 s4, vcc_lo, s4
	s_andn2_b32 exec_lo, exec_lo, s4
	s_cbranch_execnz .LBB4_641
.LBB4_642:
	s_or_b32 exec_lo, exec_lo, s5
.LBB4_643:
	v_readfirstlane_b32 s4, v49
	s_waitcnt vmcnt(0)
	v_mov_b32_e32 v6, 0
	v_mov_b32_e32 v7, 0
	v_cmp_eq_u32_e64 s4, s4, v49
	s_and_saveexec_b32 s5, s4
	s_cbranch_execz .LBB4_649
; %bb.644:
	v_mov_b32_e32 v0, 0
	s_mov_b32 s6, exec_lo
	global_load_dwordx2 v[3:4], v0, s[26:27] offset:24 glc dlc
	s_waitcnt vmcnt(0)
	buffer_gl1_inv
	buffer_gl0_inv
	s_clause 0x1
	global_load_dwordx2 v[1:2], v0, s[26:27] offset:40
	global_load_dwordx2 v[5:6], v0, s[26:27]
	s_waitcnt vmcnt(1)
	v_and_b32_e32 v2, v2, v4
	v_and_b32_e32 v1, v1, v3
	v_mul_lo_u32 v2, v2, 24
	v_mul_hi_u32 v7, v1, 24
	v_mul_lo_u32 v1, v1, 24
	v_add_nc_u32_e32 v2, v7, v2
	s_waitcnt vmcnt(0)
	v_add_co_u32 v1, vcc_lo, v5, v1
	v_add_co_ci_u32_e32 v2, vcc_lo, v6, v2, vcc_lo
	global_load_dwordx2 v[1:2], v[1:2], off glc dlc
	s_waitcnt vmcnt(0)
	global_atomic_cmpswap_x2 v[6:7], v0, v[1:4], s[26:27] offset:24 glc
	s_waitcnt vmcnt(0)
	buffer_gl1_inv
	buffer_gl0_inv
	v_cmpx_ne_u64_e64 v[6:7], v[3:4]
	s_cbranch_execz .LBB4_648
; %bb.645:
	s_mov_b32 s7, 0
	.p2align	6
.LBB4_646:                              ; =>This Inner Loop Header: Depth=1
	s_sleep 1
	s_clause 0x1
	global_load_dwordx2 v[1:2], v0, s[26:27] offset:40
	global_load_dwordx2 v[8:9], v0, s[26:27]
	v_mov_b32_e32 v3, v6
	v_mov_b32_e32 v4, v7
	s_waitcnt vmcnt(1)
	v_and_b32_e32 v1, v1, v3
	v_and_b32_e32 v2, v2, v4
	s_waitcnt vmcnt(0)
	v_mad_u64_u32 v[5:6], null, v1, 24, v[8:9]
	v_mov_b32_e32 v1, v6
	v_mad_u64_u32 v[1:2], null, v2, 24, v[1:2]
	v_mov_b32_e32 v6, v1
	global_load_dwordx2 v[1:2], v[5:6], off glc dlc
	s_waitcnt vmcnt(0)
	global_atomic_cmpswap_x2 v[6:7], v0, v[1:4], s[26:27] offset:24 glc
	s_waitcnt vmcnt(0)
	buffer_gl1_inv
	buffer_gl0_inv
	v_cmp_eq_u64_e32 vcc_lo, v[6:7], v[3:4]
	s_or_b32 s7, vcc_lo, s7
	s_andn2_b32 exec_lo, exec_lo, s7
	s_cbranch_execnz .LBB4_646
; %bb.647:
	s_or_b32 exec_lo, exec_lo, s7
.LBB4_648:
	s_or_b32 exec_lo, exec_lo, s6
.LBB4_649:
	s_or_b32 exec_lo, exec_lo, s5
	v_mov_b32_e32 v5, 0
	v_readfirstlane_b32 s6, v6
	v_readfirstlane_b32 s7, v7
	s_mov_b32 s5, exec_lo
	s_clause 0x1
	global_load_dwordx2 v[8:9], v5, s[26:27] offset:40
	global_load_dwordx4 v[0:3], v5, s[26:27]
	s_waitcnt vmcnt(1)
	v_readfirstlane_b32 s10, v8
	v_readfirstlane_b32 s11, v9
	s_and_b64 s[10:11], s[6:7], s[10:11]
	s_mul_i32 s16, s11, 24
	s_mul_hi_u32 s17, s10, 24
	s_mul_i32 s18, s10, 24
	s_add_i32 s17, s17, s16
	s_waitcnt vmcnt(0)
	v_add_co_u32 v8, vcc_lo, v0, s18
	v_add_co_ci_u32_e32 v9, vcc_lo, s17, v1, vcc_lo
	s_and_saveexec_b32 s16, s4
	s_cbranch_execz .LBB4_651
; %bb.650:
	v_mov_b32_e32 v4, s5
	v_mov_b32_e32 v6, 2
	v_mov_b32_e32 v7, 1
	global_store_dwordx4 v[8:9], v[4:7], off offset:8
.LBB4_651:
	s_or_b32 exec_lo, exec_lo, s16
	s_lshl_b64 s[10:11], s[10:11], 12
	s_mov_b32 s16, 0
	v_add_co_u32 v2, vcc_lo, v2, s10
	v_add_co_ci_u32_e32 v3, vcc_lo, s11, v3, vcc_lo
	s_mov_b32 s17, s16
	v_add_co_u32 v10, vcc_lo, v2, v48
	s_mov_b32 s18, s16
	s_mov_b32 s19, s16
	v_mov_b32_e32 v4, 33
	v_mov_b32_e32 v6, v5
	;; [unrolled: 1-line block ×3, first 2 shown]
	v_readfirstlane_b32 s10, v2
	v_readfirstlane_b32 s11, v3
	v_mov_b32_e32 v12, s16
	v_add_co_ci_u32_e32 v11, vcc_lo, 0, v3, vcc_lo
	v_mov_b32_e32 v13, s17
	v_mov_b32_e32 v14, s18
	;; [unrolled: 1-line block ×3, first 2 shown]
	global_store_dwordx4 v48, v[4:7], s[10:11]
	global_store_dwordx4 v48, v[12:15], s[10:11] offset:16
	global_store_dwordx4 v48, v[12:15], s[10:11] offset:32
	;; [unrolled: 1-line block ×3, first 2 shown]
	s_and_saveexec_b32 s5, s4
	s_cbranch_execz .LBB4_659
; %bb.652:
	v_mov_b32_e32 v6, 0
	v_mov_b32_e32 v12, s6
	v_mov_b32_e32 v13, s7
	s_clause 0x1
	global_load_dwordx2 v[14:15], v6, s[26:27] offset:32 glc dlc
	global_load_dwordx2 v[2:3], v6, s[26:27] offset:40
	s_waitcnt vmcnt(0)
	v_readfirstlane_b32 s10, v2
	v_readfirstlane_b32 s11, v3
	s_and_b64 s[10:11], s[10:11], s[6:7]
	s_mul_i32 s11, s11, 24
	s_mul_hi_u32 s16, s10, 24
	s_mul_i32 s10, s10, 24
	s_add_i32 s16, s16, s11
	v_add_co_u32 v4, vcc_lo, v0, s10
	v_add_co_ci_u32_e32 v5, vcc_lo, s16, v1, vcc_lo
	s_mov_b32 s10, exec_lo
	global_store_dwordx2 v[4:5], v[14:15], off
	s_waitcnt_vscnt null, 0x0
	global_atomic_cmpswap_x2 v[2:3], v6, v[12:15], s[26:27] offset:32 glc
	s_waitcnt vmcnt(0)
	v_cmpx_ne_u64_e64 v[2:3], v[14:15]
	s_cbranch_execz .LBB4_655
; %bb.653:
	s_mov_b32 s11, 0
.LBB4_654:                              ; =>This Inner Loop Header: Depth=1
	v_mov_b32_e32 v0, s6
	v_mov_b32_e32 v1, s7
	s_sleep 1
	global_store_dwordx2 v[4:5], v[2:3], off
	s_waitcnt_vscnt null, 0x0
	global_atomic_cmpswap_x2 v[0:1], v6, v[0:3], s[26:27] offset:32 glc
	s_waitcnt vmcnt(0)
	v_cmp_eq_u64_e32 vcc_lo, v[0:1], v[2:3]
	v_mov_b32_e32 v3, v1
	v_mov_b32_e32 v2, v0
	s_or_b32 s11, vcc_lo, s11
	s_andn2_b32 exec_lo, exec_lo, s11
	s_cbranch_execnz .LBB4_654
.LBB4_655:
	s_or_b32 exec_lo, exec_lo, s10
	v_mov_b32_e32 v3, 0
	s_mov_b32 s11, exec_lo
	s_mov_b32 s10, exec_lo
	v_mbcnt_lo_u32_b32 v2, s11, 0
	global_load_dwordx2 v[0:1], v3, s[26:27] offset:16
	v_cmpx_eq_u32_e32 0, v2
	s_cbranch_execz .LBB4_657
; %bb.656:
	s_bcnt1_i32_b32 s11, s11
	v_mov_b32_e32 v2, s11
	s_waitcnt vmcnt(0)
	global_atomic_add_x2 v[0:1], v[2:3], off offset:8
.LBB4_657:
	s_or_b32 exec_lo, exec_lo, s10
	s_waitcnt vmcnt(0)
	global_load_dwordx2 v[2:3], v[0:1], off offset:16
	s_waitcnt vmcnt(0)
	v_cmp_eq_u64_e32 vcc_lo, 0, v[2:3]
	s_cbranch_vccnz .LBB4_659
; %bb.658:
	global_load_dword v0, v[0:1], off offset:24
	v_mov_b32_e32 v1, 0
	s_waitcnt vmcnt(0)
	v_and_b32_e32 v4, 0x7fffff, v0
	s_waitcnt_vscnt null, 0x0
	global_store_dwordx2 v[2:3], v[0:1], off
	v_readfirstlane_b32 m0, v4
	s_sendmsg sendmsg(MSG_INTERRUPT)
.LBB4_659:
	s_or_b32 exec_lo, exec_lo, s5
	s_branch .LBB4_663
	.p2align	6
.LBB4_660:                              ;   in Loop: Header=BB4_663 Depth=1
	s_or_b32 exec_lo, exec_lo, s5
	v_readfirstlane_b32 s5, v0
	s_cmp_eq_u32 s5, 0
	s_cbranch_scc1 .LBB4_662
; %bb.661:                              ;   in Loop: Header=BB4_663 Depth=1
	s_sleep 1
	s_cbranch_execnz .LBB4_663
	s_branch .LBB4_665
	.p2align	6
.LBB4_662:
	s_branch .LBB4_665
.LBB4_663:                              ; =>This Inner Loop Header: Depth=1
	v_mov_b32_e32 v0, 1
	s_and_saveexec_b32 s5, s4
	s_cbranch_execz .LBB4_660
; %bb.664:                              ;   in Loop: Header=BB4_663 Depth=1
	global_load_dword v0, v[8:9], off offset:20 glc dlc
	s_waitcnt vmcnt(0)
	buffer_gl1_inv
	buffer_gl0_inv
	v_and_b32_e32 v0, 1, v0
	s_branch .LBB4_660
.LBB4_665:
	global_load_dwordx2 v[0:1], v[10:11], off
	s_and_saveexec_b32 s5, s4
	s_cbranch_execz .LBB4_669
; %bb.666:
	v_mov_b32_e32 v8, 0
	s_clause 0x2
	global_load_dwordx2 v[4:5], v8, s[26:27] offset:40
	global_load_dwordx2 v[9:10], v8, s[26:27] offset:24 glc dlc
	global_load_dwordx2 v[6:7], v8, s[26:27]
	s_waitcnt vmcnt(2)
	v_add_co_u32 v11, vcc_lo, v4, 1
	v_add_co_ci_u32_e32 v12, vcc_lo, 0, v5, vcc_lo
	v_add_co_u32 v2, vcc_lo, v11, s6
	v_add_co_ci_u32_e32 v3, vcc_lo, s7, v12, vcc_lo
	v_cmp_eq_u64_e32 vcc_lo, 0, v[2:3]
	v_cndmask_b32_e32 v3, v3, v12, vcc_lo
	v_cndmask_b32_e32 v2, v2, v11, vcc_lo
	v_and_b32_e32 v5, v3, v5
	v_and_b32_e32 v4, v2, v4
	v_mul_lo_u32 v5, v5, 24
	v_mul_hi_u32 v11, v4, 24
	v_mul_lo_u32 v4, v4, 24
	v_add_nc_u32_e32 v5, v11, v5
	s_waitcnt vmcnt(0)
	v_add_co_u32 v6, vcc_lo, v6, v4
	v_mov_b32_e32 v4, v9
	v_add_co_ci_u32_e32 v7, vcc_lo, v7, v5, vcc_lo
	v_mov_b32_e32 v5, v10
	global_store_dwordx2 v[6:7], v[9:10], off
	s_waitcnt_vscnt null, 0x0
	global_atomic_cmpswap_x2 v[4:5], v8, v[2:5], s[26:27] offset:24 glc
	s_waitcnt vmcnt(0)
	v_cmp_ne_u64_e32 vcc_lo, v[4:5], v[9:10]
	s_and_b32 exec_lo, exec_lo, vcc_lo
	s_cbranch_execz .LBB4_669
; %bb.667:
	s_mov_b32 s4, 0
.LBB4_668:                              ; =>This Inner Loop Header: Depth=1
	s_sleep 1
	global_store_dwordx2 v[6:7], v[4:5], off
	s_waitcnt_vscnt null, 0x0
	global_atomic_cmpswap_x2 v[9:10], v8, v[2:5], s[26:27] offset:24 glc
	s_waitcnt vmcnt(0)
	v_cmp_eq_u64_e32 vcc_lo, v[9:10], v[4:5]
	v_mov_b32_e32 v4, v9
	v_mov_b32_e32 v5, v10
	s_or_b32 s4, vcc_lo, s4
	s_andn2_b32 exec_lo, exec_lo, s4
	s_cbranch_execnz .LBB4_668
.LBB4_669:
	s_or_b32 exec_lo, exec_lo, s5
	s_and_b32 vcc_lo, exec_lo, s34
	s_cbranch_vccz .LBB4_748
; %bb.670:
	s_waitcnt vmcnt(0)
	v_and_b32_e32 v31, 2, v0
	v_mov_b32_e32 v6, 0
	v_and_b32_e32 v2, -3, v0
	v_mov_b32_e32 v3, v1
	v_mov_b32_e32 v7, 2
	;; [unrolled: 1-line block ×3, first 2 shown]
	s_mov_b64 s[10:11], 3
	s_getpc_b64 s[6:7]
	s_add_u32 s6, s6, .str.6@rel32@lo+4
	s_addc_u32 s7, s7, .str.6@rel32@hi+12
	s_branch .LBB4_672
.LBB4_671:                              ;   in Loop: Header=BB4_672 Depth=1
	s_or_b32 exec_lo, exec_lo, s5
	s_sub_u32 s10, s10, s16
	s_subb_u32 s11, s11, s17
	s_add_u32 s6, s6, s16
	s_addc_u32 s7, s7, s17
	s_cmp_lg_u64 s[10:11], 0
	s_cbranch_scc0 .LBB4_747
.LBB4_672:                              ; =>This Loop Header: Depth=1
                                        ;     Child Loop BB4_681 Depth 2
                                        ;     Child Loop BB4_677 Depth 2
	;; [unrolled: 1-line block ×11, first 2 shown]
	v_cmp_lt_u64_e64 s4, s[10:11], 56
	v_cmp_gt_u64_e64 s5, s[10:11], 7
                                        ; implicit-def: $vgpr11_vgpr12
                                        ; implicit-def: $sgpr22
	s_and_b32 s4, s4, exec_lo
	s_cselect_b32 s17, s11, 0
	s_cselect_b32 s16, s10, 56
	s_and_b32 vcc_lo, exec_lo, s5
	s_mov_b32 s4, -1
	s_cbranch_vccz .LBB4_679
; %bb.673:                              ;   in Loop: Header=BB4_672 Depth=1
	s_andn2_b32 vcc_lo, exec_lo, s4
	s_mov_b64 s[4:5], s[6:7]
	s_cbranch_vccz .LBB4_683
.LBB4_674:                              ;   in Loop: Header=BB4_672 Depth=1
	s_cmp_gt_u32 s22, 7
	s_cbranch_scc1 .LBB4_684
.LBB4_675:                              ;   in Loop: Header=BB4_672 Depth=1
	v_mov_b32_e32 v13, 0
	v_mov_b32_e32 v14, 0
	s_cmp_eq_u32 s22, 0
	s_cbranch_scc1 .LBB4_678
; %bb.676:                              ;   in Loop: Header=BB4_672 Depth=1
	s_mov_b64 s[18:19], 0
	s_mov_b64 s[20:21], 0
.LBB4_677:                              ;   Parent Loop BB4_672 Depth=1
                                        ; =>  This Inner Loop Header: Depth=2
	s_add_u32 s24, s4, s20
	s_addc_u32 s25, s5, s21
	s_add_u32 s20, s20, 1
	global_load_ubyte v4, v6, s[24:25]
	s_addc_u32 s21, s21, 0
	s_waitcnt vmcnt(0)
	v_and_b32_e32 v5, 0xffff, v4
	v_lshlrev_b64 v[4:5], s18, v[5:6]
	s_add_u32 s18, s18, 8
	s_addc_u32 s19, s19, 0
	s_cmp_lg_u32 s22, s20
	v_or_b32_e32 v13, v4, v13
	v_or_b32_e32 v14, v5, v14
	s_cbranch_scc1 .LBB4_677
.LBB4_678:                              ;   in Loop: Header=BB4_672 Depth=1
	s_mov_b32 s23, 0
	s_cbranch_execz .LBB4_685
	s_branch .LBB4_686
.LBB4_679:                              ;   in Loop: Header=BB4_672 Depth=1
	v_mov_b32_e32 v11, 0
	v_mov_b32_e32 v12, 0
	s_cmp_eq_u64 s[10:11], 0
	s_mov_b64 s[4:5], 0
	s_cbranch_scc1 .LBB4_682
; %bb.680:                              ;   in Loop: Header=BB4_672 Depth=1
	v_mov_b32_e32 v11, 0
	v_mov_b32_e32 v12, 0
	s_lshl_b64 s[18:19], s[16:17], 3
	s_mov_b64 s[20:21], s[6:7]
.LBB4_681:                              ;   Parent Loop BB4_672 Depth=1
                                        ; =>  This Inner Loop Header: Depth=2
	global_load_ubyte v4, v6, s[20:21]
	s_waitcnt vmcnt(0)
	v_and_b32_e32 v5, 0xffff, v4
	v_lshlrev_b64 v[4:5], s4, v[5:6]
	s_add_u32 s4, s4, 8
	s_addc_u32 s5, s5, 0
	s_add_u32 s20, s20, 1
	s_addc_u32 s21, s21, 0
	s_cmp_lg_u32 s18, s4
	v_or_b32_e32 v11, v4, v11
	v_or_b32_e32 v12, v5, v12
	s_cbranch_scc1 .LBB4_681
.LBB4_682:                              ;   in Loop: Header=BB4_672 Depth=1
	s_mov_b32 s22, 0
	s_mov_b64 s[4:5], s[6:7]
	s_cbranch_execnz .LBB4_674
.LBB4_683:                              ;   in Loop: Header=BB4_672 Depth=1
	global_load_dwordx2 v[11:12], v6, s[6:7]
	s_add_i32 s22, s16, -8
	s_add_u32 s4, s6, 8
	s_addc_u32 s5, s7, 0
	s_cmp_gt_u32 s22, 7
	s_cbranch_scc0 .LBB4_675
.LBB4_684:                              ;   in Loop: Header=BB4_672 Depth=1
                                        ; implicit-def: $vgpr13_vgpr14
                                        ; implicit-def: $sgpr23
.LBB4_685:                              ;   in Loop: Header=BB4_672 Depth=1
	global_load_dwordx2 v[13:14], v6, s[4:5]
	s_add_i32 s23, s22, -8
	s_add_u32 s4, s4, 8
	s_addc_u32 s5, s5, 0
.LBB4_686:                              ;   in Loop: Header=BB4_672 Depth=1
	s_cmp_gt_u32 s23, 7
	s_cbranch_scc1 .LBB4_691
; %bb.687:                              ;   in Loop: Header=BB4_672 Depth=1
	v_mov_b32_e32 v15, 0
	v_mov_b32_e32 v16, 0
	s_cmp_eq_u32 s23, 0
	s_cbranch_scc1 .LBB4_690
; %bb.688:                              ;   in Loop: Header=BB4_672 Depth=1
	s_mov_b64 s[18:19], 0
	s_mov_b64 s[20:21], 0
.LBB4_689:                              ;   Parent Loop BB4_672 Depth=1
                                        ; =>  This Inner Loop Header: Depth=2
	s_add_u32 s24, s4, s20
	s_addc_u32 s25, s5, s21
	s_add_u32 s20, s20, 1
	global_load_ubyte v4, v6, s[24:25]
	s_addc_u32 s21, s21, 0
	s_waitcnt vmcnt(0)
	v_and_b32_e32 v5, 0xffff, v4
	v_lshlrev_b64 v[4:5], s18, v[5:6]
	s_add_u32 s18, s18, 8
	s_addc_u32 s19, s19, 0
	s_cmp_lg_u32 s23, s20
	v_or_b32_e32 v15, v4, v15
	v_or_b32_e32 v16, v5, v16
	s_cbranch_scc1 .LBB4_689
.LBB4_690:                              ;   in Loop: Header=BB4_672 Depth=1
	s_mov_b32 s22, 0
	s_cbranch_execz .LBB4_692
	s_branch .LBB4_693
.LBB4_691:                              ;   in Loop: Header=BB4_672 Depth=1
                                        ; implicit-def: $sgpr22
.LBB4_692:                              ;   in Loop: Header=BB4_672 Depth=1
	global_load_dwordx2 v[15:16], v6, s[4:5]
	s_add_i32 s22, s23, -8
	s_add_u32 s4, s4, 8
	s_addc_u32 s5, s5, 0
.LBB4_693:                              ;   in Loop: Header=BB4_672 Depth=1
	s_cmp_gt_u32 s22, 7
	s_cbranch_scc1 .LBB4_698
; %bb.694:                              ;   in Loop: Header=BB4_672 Depth=1
	v_mov_b32_e32 v17, 0
	v_mov_b32_e32 v18, 0
	s_cmp_eq_u32 s22, 0
	s_cbranch_scc1 .LBB4_697
; %bb.695:                              ;   in Loop: Header=BB4_672 Depth=1
	s_mov_b64 s[18:19], 0
	s_mov_b64 s[20:21], 0
.LBB4_696:                              ;   Parent Loop BB4_672 Depth=1
                                        ; =>  This Inner Loop Header: Depth=2
	s_add_u32 s24, s4, s20
	s_addc_u32 s25, s5, s21
	s_add_u32 s20, s20, 1
	global_load_ubyte v4, v6, s[24:25]
	s_addc_u32 s21, s21, 0
	s_waitcnt vmcnt(0)
	v_and_b32_e32 v5, 0xffff, v4
	v_lshlrev_b64 v[4:5], s18, v[5:6]
	s_add_u32 s18, s18, 8
	s_addc_u32 s19, s19, 0
	s_cmp_lg_u32 s22, s20
	v_or_b32_e32 v17, v4, v17
	v_or_b32_e32 v18, v5, v18
	s_cbranch_scc1 .LBB4_696
.LBB4_697:                              ;   in Loop: Header=BB4_672 Depth=1
	s_mov_b32 s23, 0
	s_cbranch_execz .LBB4_699
	s_branch .LBB4_700
.LBB4_698:                              ;   in Loop: Header=BB4_672 Depth=1
                                        ; implicit-def: $vgpr17_vgpr18
                                        ; implicit-def: $sgpr23
.LBB4_699:                              ;   in Loop: Header=BB4_672 Depth=1
	global_load_dwordx2 v[17:18], v6, s[4:5]
	s_add_i32 s23, s22, -8
	s_add_u32 s4, s4, 8
	s_addc_u32 s5, s5, 0
.LBB4_700:                              ;   in Loop: Header=BB4_672 Depth=1
	s_cmp_gt_u32 s23, 7
	s_cbranch_scc1 .LBB4_705
; %bb.701:                              ;   in Loop: Header=BB4_672 Depth=1
	v_mov_b32_e32 v19, 0
	v_mov_b32_e32 v20, 0
	s_cmp_eq_u32 s23, 0
	s_cbranch_scc1 .LBB4_704
; %bb.702:                              ;   in Loop: Header=BB4_672 Depth=1
	s_mov_b64 s[18:19], 0
	s_mov_b64 s[20:21], 0
.LBB4_703:                              ;   Parent Loop BB4_672 Depth=1
                                        ; =>  This Inner Loop Header: Depth=2
	s_add_u32 s24, s4, s20
	s_addc_u32 s25, s5, s21
	s_add_u32 s20, s20, 1
	global_load_ubyte v4, v6, s[24:25]
	s_addc_u32 s21, s21, 0
	s_waitcnt vmcnt(0)
	v_and_b32_e32 v5, 0xffff, v4
	v_lshlrev_b64 v[4:5], s18, v[5:6]
	s_add_u32 s18, s18, 8
	s_addc_u32 s19, s19, 0
	s_cmp_lg_u32 s23, s20
	v_or_b32_e32 v19, v4, v19
	v_or_b32_e32 v20, v5, v20
	s_cbranch_scc1 .LBB4_703
.LBB4_704:                              ;   in Loop: Header=BB4_672 Depth=1
	s_mov_b32 s22, 0
	s_cbranch_execz .LBB4_706
	s_branch .LBB4_707
.LBB4_705:                              ;   in Loop: Header=BB4_672 Depth=1
                                        ; implicit-def: $sgpr22
.LBB4_706:                              ;   in Loop: Header=BB4_672 Depth=1
	global_load_dwordx2 v[19:20], v6, s[4:5]
	s_add_i32 s22, s23, -8
	s_add_u32 s4, s4, 8
	s_addc_u32 s5, s5, 0
.LBB4_707:                              ;   in Loop: Header=BB4_672 Depth=1
	s_cmp_gt_u32 s22, 7
	s_cbranch_scc1 .LBB4_712
; %bb.708:                              ;   in Loop: Header=BB4_672 Depth=1
	v_mov_b32_e32 v21, 0
	v_mov_b32_e32 v22, 0
	s_cmp_eq_u32 s22, 0
	s_cbranch_scc1 .LBB4_711
; %bb.709:                              ;   in Loop: Header=BB4_672 Depth=1
	s_mov_b64 s[18:19], 0
	s_mov_b64 s[20:21], 0
.LBB4_710:                              ;   Parent Loop BB4_672 Depth=1
                                        ; =>  This Inner Loop Header: Depth=2
	s_add_u32 s24, s4, s20
	s_addc_u32 s25, s5, s21
	s_add_u32 s20, s20, 1
	global_load_ubyte v4, v6, s[24:25]
	s_addc_u32 s21, s21, 0
	s_waitcnt vmcnt(0)
	v_and_b32_e32 v5, 0xffff, v4
	v_lshlrev_b64 v[4:5], s18, v[5:6]
	s_add_u32 s18, s18, 8
	s_addc_u32 s19, s19, 0
	s_cmp_lg_u32 s22, s20
	v_or_b32_e32 v21, v4, v21
	v_or_b32_e32 v22, v5, v22
	s_cbranch_scc1 .LBB4_710
.LBB4_711:                              ;   in Loop: Header=BB4_672 Depth=1
	s_mov_b32 s23, 0
	s_cbranch_execz .LBB4_713
	s_branch .LBB4_714
.LBB4_712:                              ;   in Loop: Header=BB4_672 Depth=1
                                        ; implicit-def: $vgpr21_vgpr22
                                        ; implicit-def: $sgpr23
.LBB4_713:                              ;   in Loop: Header=BB4_672 Depth=1
	global_load_dwordx2 v[21:22], v6, s[4:5]
	s_add_i32 s23, s22, -8
	s_add_u32 s4, s4, 8
	s_addc_u32 s5, s5, 0
.LBB4_714:                              ;   in Loop: Header=BB4_672 Depth=1
	s_cmp_gt_u32 s23, 7
	s_cbranch_scc1 .LBB4_719
; %bb.715:                              ;   in Loop: Header=BB4_672 Depth=1
	v_mov_b32_e32 v23, 0
	v_mov_b32_e32 v24, 0
	s_cmp_eq_u32 s23, 0
	s_cbranch_scc1 .LBB4_718
; %bb.716:                              ;   in Loop: Header=BB4_672 Depth=1
	s_mov_b64 s[18:19], 0
	s_mov_b64 s[20:21], s[4:5]
.LBB4_717:                              ;   Parent Loop BB4_672 Depth=1
                                        ; =>  This Inner Loop Header: Depth=2
	global_load_ubyte v4, v6, s[20:21]
	s_add_i32 s23, s23, -1
	s_waitcnt vmcnt(0)
	v_and_b32_e32 v5, 0xffff, v4
	v_lshlrev_b64 v[4:5], s18, v[5:6]
	s_add_u32 s18, s18, 8
	s_addc_u32 s19, s19, 0
	s_add_u32 s20, s20, 1
	s_addc_u32 s21, s21, 0
	s_cmp_lg_u32 s23, 0
	v_or_b32_e32 v23, v4, v23
	v_or_b32_e32 v24, v5, v24
	s_cbranch_scc1 .LBB4_717
.LBB4_718:                              ;   in Loop: Header=BB4_672 Depth=1
	s_cbranch_execz .LBB4_720
	s_branch .LBB4_721
.LBB4_719:                              ;   in Loop: Header=BB4_672 Depth=1
.LBB4_720:                              ;   in Loop: Header=BB4_672 Depth=1
	global_load_dwordx2 v[23:24], v6, s[4:5]
.LBB4_721:                              ;   in Loop: Header=BB4_672 Depth=1
	v_readfirstlane_b32 s4, v49
	s_waitcnt vmcnt(0)
	v_mov_b32_e32 v4, 0
	v_mov_b32_e32 v5, 0
	v_cmp_eq_u32_e64 s4, s4, v49
	s_and_saveexec_b32 s5, s4
	s_cbranch_execz .LBB4_727
; %bb.722:                              ;   in Loop: Header=BB4_672 Depth=1
	global_load_dwordx2 v[27:28], v6, s[26:27] offset:24 glc dlc
	s_waitcnt vmcnt(0)
	buffer_gl1_inv
	buffer_gl0_inv
	s_clause 0x1
	global_load_dwordx2 v[4:5], v6, s[26:27] offset:40
	global_load_dwordx2 v[9:10], v6, s[26:27]
	s_mov_b32 s18, exec_lo
	s_waitcnt vmcnt(1)
	v_and_b32_e32 v5, v5, v28
	v_and_b32_e32 v4, v4, v27
	v_mul_lo_u32 v5, v5, 24
	v_mul_hi_u32 v25, v4, 24
	v_mul_lo_u32 v4, v4, 24
	v_add_nc_u32_e32 v5, v25, v5
	s_waitcnt vmcnt(0)
	v_add_co_u32 v4, vcc_lo, v9, v4
	v_add_co_ci_u32_e32 v5, vcc_lo, v10, v5, vcc_lo
	global_load_dwordx2 v[25:26], v[4:5], off glc dlc
	s_waitcnt vmcnt(0)
	global_atomic_cmpswap_x2 v[4:5], v6, v[25:28], s[26:27] offset:24 glc
	s_waitcnt vmcnt(0)
	buffer_gl1_inv
	buffer_gl0_inv
	v_cmpx_ne_u64_e64 v[4:5], v[27:28]
	s_cbranch_execz .LBB4_726
; %bb.723:                              ;   in Loop: Header=BB4_672 Depth=1
	s_mov_b32 s19, 0
	.p2align	6
.LBB4_724:                              ;   Parent Loop BB4_672 Depth=1
                                        ; =>  This Inner Loop Header: Depth=2
	s_sleep 1
	s_clause 0x1
	global_load_dwordx2 v[9:10], v6, s[26:27] offset:40
	global_load_dwordx2 v[25:26], v6, s[26:27]
	v_mov_b32_e32 v28, v5
	v_mov_b32_e32 v27, v4
	s_waitcnt vmcnt(1)
	v_and_b32_e32 v4, v9, v27
	v_and_b32_e32 v9, v10, v28
	s_waitcnt vmcnt(0)
	v_mad_u64_u32 v[4:5], null, v4, 24, v[25:26]
	v_mad_u64_u32 v[9:10], null, v9, 24, v[5:6]
	v_mov_b32_e32 v5, v9
	global_load_dwordx2 v[25:26], v[4:5], off glc dlc
	s_waitcnt vmcnt(0)
	global_atomic_cmpswap_x2 v[4:5], v6, v[25:28], s[26:27] offset:24 glc
	s_waitcnt vmcnt(0)
	buffer_gl1_inv
	buffer_gl0_inv
	v_cmp_eq_u64_e32 vcc_lo, v[4:5], v[27:28]
	s_or_b32 s19, vcc_lo, s19
	s_andn2_b32 exec_lo, exec_lo, s19
	s_cbranch_execnz .LBB4_724
; %bb.725:                              ;   in Loop: Header=BB4_672 Depth=1
	s_or_b32 exec_lo, exec_lo, s19
.LBB4_726:                              ;   in Loop: Header=BB4_672 Depth=1
	s_or_b32 exec_lo, exec_lo, s18
.LBB4_727:                              ;   in Loop: Header=BB4_672 Depth=1
	s_or_b32 exec_lo, exec_lo, s5
	s_clause 0x1
	global_load_dwordx2 v[9:10], v6, s[26:27] offset:40
	global_load_dwordx4 v[25:28], v6, s[26:27]
	v_readfirstlane_b32 s18, v4
	v_readfirstlane_b32 s19, v5
	s_mov_b32 s5, exec_lo
	s_waitcnt vmcnt(1)
	v_readfirstlane_b32 s20, v9
	v_readfirstlane_b32 s21, v10
	s_and_b64 s[20:21], s[18:19], s[20:21]
	s_mul_i32 s22, s21, 24
	s_mul_hi_u32 s23, s20, 24
	s_mul_i32 s24, s20, 24
	s_add_i32 s23, s23, s22
	s_waitcnt vmcnt(0)
	v_add_co_u32 v29, vcc_lo, v25, s24
	v_add_co_ci_u32_e32 v30, vcc_lo, s23, v26, vcc_lo
	s_and_saveexec_b32 s22, s4
	s_cbranch_execz .LBB4_729
; %bb.728:                              ;   in Loop: Header=BB4_672 Depth=1
	v_mov_b32_e32 v5, s5
	global_store_dwordx4 v[29:30], v[5:8], off offset:8
.LBB4_729:                              ;   in Loop: Header=BB4_672 Depth=1
	s_or_b32 exec_lo, exec_lo, s22
	s_lshl_b64 s[20:21], s[20:21], 12
	v_cmp_gt_u64_e64 vcc_lo, s[10:11], 56
	v_or_b32_e32 v5, v2, v31
	v_add_co_u32 v27, s5, v27, s20
	v_add_co_ci_u32_e64 v28, s5, s21, v28, s5
	s_lshl_b32 s5, s16, 2
	v_or_b32_e32 v4, 0, v3
	v_cndmask_b32_e32 v2, v5, v2, vcc_lo
	s_add_i32 s5, s5, 28
	v_readfirstlane_b32 s20, v27
	s_and_b32 s5, s5, 0x1e0
	v_cndmask_b32_e32 v10, v4, v3, vcc_lo
	v_readfirstlane_b32 s21, v28
	v_and_or_b32 v9, 0xffffff1f, v2, s5
	global_store_dwordx4 v48, v[9:12], s[20:21]
	global_store_dwordx4 v48, v[13:16], s[20:21] offset:16
	global_store_dwordx4 v48, v[17:20], s[20:21] offset:32
	;; [unrolled: 1-line block ×3, first 2 shown]
	s_and_saveexec_b32 s5, s4
	s_cbranch_execz .LBB4_737
; %bb.730:                              ;   in Loop: Header=BB4_672 Depth=1
	s_clause 0x1
	global_load_dwordx2 v[13:14], v6, s[26:27] offset:32 glc dlc
	global_load_dwordx2 v[2:3], v6, s[26:27] offset:40
	v_mov_b32_e32 v11, s18
	v_mov_b32_e32 v12, s19
	s_waitcnt vmcnt(0)
	v_readfirstlane_b32 s20, v2
	v_readfirstlane_b32 s21, v3
	s_and_b64 s[20:21], s[20:21], s[18:19]
	s_mul_i32 s21, s21, 24
	s_mul_hi_u32 s22, s20, 24
	s_mul_i32 s20, s20, 24
	s_add_i32 s22, s22, s21
	v_add_co_u32 v9, vcc_lo, v25, s20
	v_add_co_ci_u32_e32 v10, vcc_lo, s22, v26, vcc_lo
	s_mov_b32 s20, exec_lo
	global_store_dwordx2 v[9:10], v[13:14], off
	s_waitcnt_vscnt null, 0x0
	global_atomic_cmpswap_x2 v[4:5], v6, v[11:14], s[26:27] offset:32 glc
	s_waitcnt vmcnt(0)
	v_cmpx_ne_u64_e64 v[4:5], v[13:14]
	s_cbranch_execz .LBB4_733
; %bb.731:                              ;   in Loop: Header=BB4_672 Depth=1
	s_mov_b32 s21, 0
.LBB4_732:                              ;   Parent Loop BB4_672 Depth=1
                                        ; =>  This Inner Loop Header: Depth=2
	v_mov_b32_e32 v2, s18
	v_mov_b32_e32 v3, s19
	s_sleep 1
	global_store_dwordx2 v[9:10], v[4:5], off
	s_waitcnt_vscnt null, 0x0
	global_atomic_cmpswap_x2 v[2:3], v6, v[2:5], s[26:27] offset:32 glc
	s_waitcnt vmcnt(0)
	v_cmp_eq_u64_e32 vcc_lo, v[2:3], v[4:5]
	v_mov_b32_e32 v5, v3
	v_mov_b32_e32 v4, v2
	s_or_b32 s21, vcc_lo, s21
	s_andn2_b32 exec_lo, exec_lo, s21
	s_cbranch_execnz .LBB4_732
.LBB4_733:                              ;   in Loop: Header=BB4_672 Depth=1
	s_or_b32 exec_lo, exec_lo, s20
	global_load_dwordx2 v[2:3], v6, s[26:27] offset:16
	s_mov_b32 s21, exec_lo
	s_mov_b32 s20, exec_lo
	v_mbcnt_lo_u32_b32 v4, s21, 0
	v_cmpx_eq_u32_e32 0, v4
	s_cbranch_execz .LBB4_735
; %bb.734:                              ;   in Loop: Header=BB4_672 Depth=1
	s_bcnt1_i32_b32 s21, s21
	v_mov_b32_e32 v5, s21
	s_waitcnt vmcnt(0)
	global_atomic_add_x2 v[2:3], v[5:6], off offset:8
.LBB4_735:                              ;   in Loop: Header=BB4_672 Depth=1
	s_or_b32 exec_lo, exec_lo, s20
	s_waitcnt vmcnt(0)
	global_load_dwordx2 v[9:10], v[2:3], off offset:16
	s_waitcnt vmcnt(0)
	v_cmp_eq_u64_e32 vcc_lo, 0, v[9:10]
	s_cbranch_vccnz .LBB4_737
; %bb.736:                              ;   in Loop: Header=BB4_672 Depth=1
	global_load_dword v5, v[2:3], off offset:24
	s_waitcnt vmcnt(0)
	v_and_b32_e32 v2, 0x7fffff, v5
	s_waitcnt_vscnt null, 0x0
	global_store_dwordx2 v[9:10], v[5:6], off
	v_readfirstlane_b32 m0, v2
	s_sendmsg sendmsg(MSG_INTERRUPT)
.LBB4_737:                              ;   in Loop: Header=BB4_672 Depth=1
	s_or_b32 exec_lo, exec_lo, s5
	v_add_co_u32 v2, vcc_lo, v27, v48
	v_add_co_ci_u32_e32 v3, vcc_lo, 0, v28, vcc_lo
	s_branch .LBB4_741
	.p2align	6
.LBB4_738:                              ;   in Loop: Header=BB4_741 Depth=2
	s_or_b32 exec_lo, exec_lo, s5
	v_readfirstlane_b32 s5, v4
	s_cmp_eq_u32 s5, 0
	s_cbranch_scc1 .LBB4_740
; %bb.739:                              ;   in Loop: Header=BB4_741 Depth=2
	s_sleep 1
	s_cbranch_execnz .LBB4_741
	s_branch .LBB4_743
	.p2align	6
.LBB4_740:                              ;   in Loop: Header=BB4_672 Depth=1
	s_branch .LBB4_743
.LBB4_741:                              ;   Parent Loop BB4_672 Depth=1
                                        ; =>  This Inner Loop Header: Depth=2
	v_mov_b32_e32 v4, 1
	s_and_saveexec_b32 s5, s4
	s_cbranch_execz .LBB4_738
; %bb.742:                              ;   in Loop: Header=BB4_741 Depth=2
	global_load_dword v4, v[29:30], off offset:20 glc dlc
	s_waitcnt vmcnt(0)
	buffer_gl1_inv
	buffer_gl0_inv
	v_and_b32_e32 v4, 1, v4
	s_branch .LBB4_738
.LBB4_743:                              ;   in Loop: Header=BB4_672 Depth=1
	global_load_dwordx4 v[2:5], v[2:3], off
	s_and_saveexec_b32 s5, s4
	s_cbranch_execz .LBB4_671
; %bb.744:                              ;   in Loop: Header=BB4_672 Depth=1
	s_clause 0x2
	global_load_dwordx2 v[4:5], v6, s[26:27] offset:40
	global_load_dwordx2 v[13:14], v6, s[26:27] offset:24 glc dlc
	global_load_dwordx2 v[11:12], v6, s[26:27]
	s_waitcnt vmcnt(2)
	v_add_co_u32 v15, vcc_lo, v4, 1
	v_add_co_ci_u32_e32 v16, vcc_lo, 0, v5, vcc_lo
	v_add_co_u32 v9, vcc_lo, v15, s18
	v_add_co_ci_u32_e32 v10, vcc_lo, s19, v16, vcc_lo
	v_cmp_eq_u64_e32 vcc_lo, 0, v[9:10]
	v_cndmask_b32_e32 v10, v10, v16, vcc_lo
	v_cndmask_b32_e32 v9, v9, v15, vcc_lo
	v_and_b32_e32 v5, v10, v5
	v_and_b32_e32 v4, v9, v4
	v_mul_lo_u32 v5, v5, 24
	v_mul_hi_u32 v15, v4, 24
	v_mul_lo_u32 v4, v4, 24
	v_add_nc_u32_e32 v5, v15, v5
	s_waitcnt vmcnt(0)
	v_add_co_u32 v4, vcc_lo, v11, v4
	v_mov_b32_e32 v11, v13
	v_add_co_ci_u32_e32 v5, vcc_lo, v12, v5, vcc_lo
	v_mov_b32_e32 v12, v14
	global_store_dwordx2 v[4:5], v[13:14], off
	s_waitcnt_vscnt null, 0x0
	global_atomic_cmpswap_x2 v[11:12], v6, v[9:12], s[26:27] offset:24 glc
	s_waitcnt vmcnt(0)
	v_cmp_ne_u64_e32 vcc_lo, v[11:12], v[13:14]
	s_and_b32 exec_lo, exec_lo, vcc_lo
	s_cbranch_execz .LBB4_671
; %bb.745:                              ;   in Loop: Header=BB4_672 Depth=1
	s_mov_b32 s4, 0
.LBB4_746:                              ;   Parent Loop BB4_672 Depth=1
                                        ; =>  This Inner Loop Header: Depth=2
	s_sleep 1
	global_store_dwordx2 v[4:5], v[11:12], off
	s_waitcnt_vscnt null, 0x0
	global_atomic_cmpswap_x2 v[13:14], v6, v[9:12], s[26:27] offset:24 glc
	s_waitcnt vmcnt(0)
	v_cmp_eq_u64_e32 vcc_lo, v[13:14], v[11:12]
	v_mov_b32_e32 v11, v13
	v_mov_b32_e32 v12, v14
	s_or_b32 s4, vcc_lo, s4
	s_andn2_b32 exec_lo, exec_lo, s4
	s_cbranch_execnz .LBB4_746
	s_branch .LBB4_671
.LBB4_747:
	s_branch .LBB4_776
.LBB4_748:
                                        ; implicit-def: $vgpr2_vgpr3
	s_cbranch_execz .LBB4_776
; %bb.749:
	v_readfirstlane_b32 s4, v49
	v_mov_b32_e32 v8, 0
	v_mov_b32_e32 v9, 0
	v_cmp_eq_u32_e64 s4, s4, v49
	s_and_saveexec_b32 s5, s4
	s_cbranch_execz .LBB4_755
; %bb.750:
	s_waitcnt vmcnt(0)
	v_mov_b32_e32 v2, 0
	s_mov_b32 s6, exec_lo
	global_load_dwordx2 v[5:6], v2, s[26:27] offset:24 glc dlc
	s_waitcnt vmcnt(0)
	buffer_gl1_inv
	buffer_gl0_inv
	s_clause 0x1
	global_load_dwordx2 v[3:4], v2, s[26:27] offset:40
	global_load_dwordx2 v[7:8], v2, s[26:27]
	s_waitcnt vmcnt(1)
	v_and_b32_e32 v4, v4, v6
	v_and_b32_e32 v3, v3, v5
	v_mul_lo_u32 v4, v4, 24
	v_mul_hi_u32 v9, v3, 24
	v_mul_lo_u32 v3, v3, 24
	v_add_nc_u32_e32 v4, v9, v4
	s_waitcnt vmcnt(0)
	v_add_co_u32 v3, vcc_lo, v7, v3
	v_add_co_ci_u32_e32 v4, vcc_lo, v8, v4, vcc_lo
	global_load_dwordx2 v[3:4], v[3:4], off glc dlc
	s_waitcnt vmcnt(0)
	global_atomic_cmpswap_x2 v[8:9], v2, v[3:6], s[26:27] offset:24 glc
	s_waitcnt vmcnt(0)
	buffer_gl1_inv
	buffer_gl0_inv
	v_cmpx_ne_u64_e64 v[8:9], v[5:6]
	s_cbranch_execz .LBB4_754
; %bb.751:
	s_mov_b32 s7, 0
	.p2align	6
.LBB4_752:                              ; =>This Inner Loop Header: Depth=1
	s_sleep 1
	s_clause 0x1
	global_load_dwordx2 v[3:4], v2, s[26:27] offset:40
	global_load_dwordx2 v[10:11], v2, s[26:27]
	v_mov_b32_e32 v5, v8
	v_mov_b32_e32 v6, v9
	s_waitcnt vmcnt(1)
	v_and_b32_e32 v3, v3, v5
	v_and_b32_e32 v4, v4, v6
	s_waitcnt vmcnt(0)
	v_mad_u64_u32 v[7:8], null, v3, 24, v[10:11]
	v_mov_b32_e32 v3, v8
	v_mad_u64_u32 v[3:4], null, v4, 24, v[3:4]
	v_mov_b32_e32 v8, v3
	global_load_dwordx2 v[3:4], v[7:8], off glc dlc
	s_waitcnt vmcnt(0)
	global_atomic_cmpswap_x2 v[8:9], v2, v[3:6], s[26:27] offset:24 glc
	s_waitcnt vmcnt(0)
	buffer_gl1_inv
	buffer_gl0_inv
	v_cmp_eq_u64_e32 vcc_lo, v[8:9], v[5:6]
	s_or_b32 s7, vcc_lo, s7
	s_andn2_b32 exec_lo, exec_lo, s7
	s_cbranch_execnz .LBB4_752
; %bb.753:
	s_or_b32 exec_lo, exec_lo, s7
.LBB4_754:
	s_or_b32 exec_lo, exec_lo, s6
.LBB4_755:
	s_or_b32 exec_lo, exec_lo, s5
	s_waitcnt vmcnt(0)
	v_mov_b32_e32 v2, 0
	v_readfirstlane_b32 s6, v8
	v_readfirstlane_b32 s7, v9
	s_mov_b32 s5, exec_lo
	s_clause 0x1
	global_load_dwordx2 v[10:11], v2, s[26:27] offset:40
	global_load_dwordx4 v[4:7], v2, s[26:27]
	s_waitcnt vmcnt(1)
	v_readfirstlane_b32 s10, v10
	v_readfirstlane_b32 s11, v11
	s_and_b64 s[10:11], s[6:7], s[10:11]
	s_mul_i32 s16, s11, 24
	s_mul_hi_u32 s17, s10, 24
	s_mul_i32 s18, s10, 24
	s_add_i32 s17, s17, s16
	s_waitcnt vmcnt(0)
	v_add_co_u32 v8, vcc_lo, v4, s18
	v_add_co_ci_u32_e32 v9, vcc_lo, s17, v5, vcc_lo
	s_and_saveexec_b32 s16, s4
	s_cbranch_execz .LBB4_757
; %bb.756:
	v_mov_b32_e32 v10, s5
	v_mov_b32_e32 v11, v2
	;; [unrolled: 1-line block ×4, first 2 shown]
	global_store_dwordx4 v[8:9], v[10:13], off offset:8
.LBB4_757:
	s_or_b32 exec_lo, exec_lo, s16
	s_lshl_b64 s[10:11], s[10:11], 12
	s_mov_b32 s16, 0
	v_add_co_u32 v6, vcc_lo, v6, s10
	v_add_co_ci_u32_e32 v7, vcc_lo, s11, v7, vcc_lo
	s_mov_b32 s17, s16
	v_readfirstlane_b32 s10, v6
	v_add_co_u32 v6, vcc_lo, v6, v48
	s_mov_b32 s18, s16
	s_mov_b32 s19, s16
	v_and_or_b32 v0, 0xffffff1f, v0, 32
	v_mov_b32_e32 v3, v2
	v_readfirstlane_b32 s11, v7
	v_mov_b32_e32 v10, s16
	v_add_co_ci_u32_e32 v7, vcc_lo, 0, v7, vcc_lo
	v_mov_b32_e32 v11, s17
	v_mov_b32_e32 v12, s18
	;; [unrolled: 1-line block ×3, first 2 shown]
	global_store_dwordx4 v48, v[0:3], s[10:11]
	global_store_dwordx4 v48, v[10:13], s[10:11] offset:16
	global_store_dwordx4 v48, v[10:13], s[10:11] offset:32
	;; [unrolled: 1-line block ×3, first 2 shown]
	s_and_saveexec_b32 s5, s4
	s_cbranch_execz .LBB4_765
; %bb.758:
	v_mov_b32_e32 v10, 0
	v_mov_b32_e32 v11, s6
	;; [unrolled: 1-line block ×3, first 2 shown]
	s_clause 0x1
	global_load_dwordx2 v[13:14], v10, s[26:27] offset:32 glc dlc
	global_load_dwordx2 v[0:1], v10, s[26:27] offset:40
	s_waitcnt vmcnt(0)
	v_readfirstlane_b32 s10, v0
	v_readfirstlane_b32 s11, v1
	s_and_b64 s[10:11], s[10:11], s[6:7]
	s_mul_i32 s11, s11, 24
	s_mul_hi_u32 s16, s10, 24
	s_mul_i32 s10, s10, 24
	s_add_i32 s16, s16, s11
	v_add_co_u32 v4, vcc_lo, v4, s10
	v_add_co_ci_u32_e32 v5, vcc_lo, s16, v5, vcc_lo
	s_mov_b32 s10, exec_lo
	global_store_dwordx2 v[4:5], v[13:14], off
	s_waitcnt_vscnt null, 0x0
	global_atomic_cmpswap_x2 v[2:3], v10, v[11:14], s[26:27] offset:32 glc
	s_waitcnt vmcnt(0)
	v_cmpx_ne_u64_e64 v[2:3], v[13:14]
	s_cbranch_execz .LBB4_761
; %bb.759:
	s_mov_b32 s11, 0
.LBB4_760:                              ; =>This Inner Loop Header: Depth=1
	v_mov_b32_e32 v0, s6
	v_mov_b32_e32 v1, s7
	s_sleep 1
	global_store_dwordx2 v[4:5], v[2:3], off
	s_waitcnt_vscnt null, 0x0
	global_atomic_cmpswap_x2 v[0:1], v10, v[0:3], s[26:27] offset:32 glc
	s_waitcnt vmcnt(0)
	v_cmp_eq_u64_e32 vcc_lo, v[0:1], v[2:3]
	v_mov_b32_e32 v3, v1
	v_mov_b32_e32 v2, v0
	s_or_b32 s11, vcc_lo, s11
	s_andn2_b32 exec_lo, exec_lo, s11
	s_cbranch_execnz .LBB4_760
.LBB4_761:
	s_or_b32 exec_lo, exec_lo, s10
	v_mov_b32_e32 v3, 0
	s_mov_b32 s11, exec_lo
	s_mov_b32 s10, exec_lo
	v_mbcnt_lo_u32_b32 v2, s11, 0
	global_load_dwordx2 v[0:1], v3, s[26:27] offset:16
	v_cmpx_eq_u32_e32 0, v2
	s_cbranch_execz .LBB4_763
; %bb.762:
	s_bcnt1_i32_b32 s11, s11
	v_mov_b32_e32 v2, s11
	s_waitcnt vmcnt(0)
	global_atomic_add_x2 v[0:1], v[2:3], off offset:8
.LBB4_763:
	s_or_b32 exec_lo, exec_lo, s10
	s_waitcnt vmcnt(0)
	global_load_dwordx2 v[2:3], v[0:1], off offset:16
	s_waitcnt vmcnt(0)
	v_cmp_eq_u64_e32 vcc_lo, 0, v[2:3]
	s_cbranch_vccnz .LBB4_765
; %bb.764:
	global_load_dword v0, v[0:1], off offset:24
	v_mov_b32_e32 v1, 0
	s_waitcnt vmcnt(0)
	v_and_b32_e32 v4, 0x7fffff, v0
	s_waitcnt_vscnt null, 0x0
	global_store_dwordx2 v[2:3], v[0:1], off
	v_readfirstlane_b32 m0, v4
	s_sendmsg sendmsg(MSG_INTERRUPT)
.LBB4_765:
	s_or_b32 exec_lo, exec_lo, s5
	s_branch .LBB4_769
	.p2align	6
.LBB4_766:                              ;   in Loop: Header=BB4_769 Depth=1
	s_or_b32 exec_lo, exec_lo, s5
	v_readfirstlane_b32 s5, v0
	s_cmp_eq_u32 s5, 0
	s_cbranch_scc1 .LBB4_768
; %bb.767:                              ;   in Loop: Header=BB4_769 Depth=1
	s_sleep 1
	s_cbranch_execnz .LBB4_769
	s_branch .LBB4_771
	.p2align	6
.LBB4_768:
	s_branch .LBB4_771
.LBB4_769:                              ; =>This Inner Loop Header: Depth=1
	v_mov_b32_e32 v0, 1
	s_and_saveexec_b32 s5, s4
	s_cbranch_execz .LBB4_766
; %bb.770:                              ;   in Loop: Header=BB4_769 Depth=1
	global_load_dword v0, v[8:9], off offset:20 glc dlc
	s_waitcnt vmcnt(0)
	buffer_gl1_inv
	buffer_gl0_inv
	v_and_b32_e32 v0, 1, v0
	s_branch .LBB4_766
.LBB4_771:
	global_load_dwordx2 v[2:3], v[6:7], off
	s_and_saveexec_b32 s5, s4
	s_cbranch_execz .LBB4_775
; %bb.772:
	v_mov_b32_e32 v8, 0
	s_clause 0x2
	global_load_dwordx2 v[0:1], v8, s[26:27] offset:40
	global_load_dwordx2 v[9:10], v8, s[26:27] offset:24 glc dlc
	global_load_dwordx2 v[6:7], v8, s[26:27]
	s_waitcnt vmcnt(2)
	v_add_co_u32 v11, vcc_lo, v0, 1
	v_add_co_ci_u32_e32 v12, vcc_lo, 0, v1, vcc_lo
	v_add_co_u32 v4, vcc_lo, v11, s6
	v_add_co_ci_u32_e32 v5, vcc_lo, s7, v12, vcc_lo
	v_cmp_eq_u64_e32 vcc_lo, 0, v[4:5]
	v_cndmask_b32_e32 v5, v5, v12, vcc_lo
	v_cndmask_b32_e32 v4, v4, v11, vcc_lo
	v_and_b32_e32 v1, v5, v1
	v_and_b32_e32 v0, v4, v0
	v_mul_lo_u32 v1, v1, 24
	v_mul_hi_u32 v11, v0, 24
	v_mul_lo_u32 v0, v0, 24
	v_add_nc_u32_e32 v1, v11, v1
	s_waitcnt vmcnt(0)
	v_add_co_u32 v0, vcc_lo, v6, v0
	v_mov_b32_e32 v6, v9
	v_add_co_ci_u32_e32 v1, vcc_lo, v7, v1, vcc_lo
	v_mov_b32_e32 v7, v10
	global_store_dwordx2 v[0:1], v[9:10], off
	s_waitcnt_vscnt null, 0x0
	global_atomic_cmpswap_x2 v[6:7], v8, v[4:7], s[26:27] offset:24 glc
	s_waitcnt vmcnt(0)
	v_cmp_ne_u64_e32 vcc_lo, v[6:7], v[9:10]
	s_and_b32 exec_lo, exec_lo, vcc_lo
	s_cbranch_execz .LBB4_775
; %bb.773:
	s_mov_b32 s4, 0
.LBB4_774:                              ; =>This Inner Loop Header: Depth=1
	s_sleep 1
	global_store_dwordx2 v[0:1], v[6:7], off
	s_waitcnt_vscnt null, 0x0
	global_atomic_cmpswap_x2 v[9:10], v8, v[4:7], s[26:27] offset:24 glc
	s_waitcnt vmcnt(0)
	v_cmp_eq_u64_e32 vcc_lo, v[9:10], v[6:7]
	v_mov_b32_e32 v6, v9
	v_mov_b32_e32 v7, v10
	s_or_b32 s4, vcc_lo, s4
	s_andn2_b32 exec_lo, exec_lo, s4
	s_cbranch_execnz .LBB4_774
.LBB4_775:
	s_or_b32 exec_lo, exec_lo, s5
.LBB4_776:
	v_readfirstlane_b32 s4, v49
	s_waitcnt vmcnt(0)
	v_mov_b32_e32 v0, 0
	v_mov_b32_e32 v1, 0
	v_cmp_eq_u32_e64 s4, s4, v49
	s_and_saveexec_b32 s5, s4
	s_cbranch_execz .LBB4_782
; %bb.777:
	v_mov_b32_e32 v4, 0
	s_mov_b32 s6, exec_lo
	global_load_dwordx2 v[7:8], v4, s[26:27] offset:24 glc dlc
	s_waitcnt vmcnt(0)
	buffer_gl1_inv
	buffer_gl0_inv
	s_clause 0x1
	global_load_dwordx2 v[0:1], v4, s[26:27] offset:40
	global_load_dwordx2 v[5:6], v4, s[26:27]
	s_waitcnt vmcnt(1)
	v_and_b32_e32 v1, v1, v8
	v_and_b32_e32 v0, v0, v7
	v_mul_lo_u32 v1, v1, 24
	v_mul_hi_u32 v9, v0, 24
	v_mul_lo_u32 v0, v0, 24
	v_add_nc_u32_e32 v1, v9, v1
	s_waitcnt vmcnt(0)
	v_add_co_u32 v0, vcc_lo, v5, v0
	v_add_co_ci_u32_e32 v1, vcc_lo, v6, v1, vcc_lo
	global_load_dwordx2 v[5:6], v[0:1], off glc dlc
	s_waitcnt vmcnt(0)
	global_atomic_cmpswap_x2 v[0:1], v4, v[5:8], s[26:27] offset:24 glc
	s_waitcnt vmcnt(0)
	buffer_gl1_inv
	buffer_gl0_inv
	v_cmpx_ne_u64_e64 v[0:1], v[7:8]
	s_cbranch_execz .LBB4_781
; %bb.778:
	s_mov_b32 s7, 0
	.p2align	6
.LBB4_779:                              ; =>This Inner Loop Header: Depth=1
	s_sleep 1
	s_clause 0x1
	global_load_dwordx2 v[5:6], v4, s[26:27] offset:40
	global_load_dwordx2 v[9:10], v4, s[26:27]
	v_mov_b32_e32 v8, v1
	v_mov_b32_e32 v7, v0
	s_waitcnt vmcnt(1)
	v_and_b32_e32 v0, v5, v7
	v_and_b32_e32 v5, v6, v8
	s_waitcnt vmcnt(0)
	v_mad_u64_u32 v[0:1], null, v0, 24, v[9:10]
	v_mad_u64_u32 v[5:6], null, v5, 24, v[1:2]
	v_mov_b32_e32 v1, v5
	global_load_dwordx2 v[5:6], v[0:1], off glc dlc
	s_waitcnt vmcnt(0)
	global_atomic_cmpswap_x2 v[0:1], v4, v[5:8], s[26:27] offset:24 glc
	s_waitcnt vmcnt(0)
	buffer_gl1_inv
	buffer_gl0_inv
	v_cmp_eq_u64_e32 vcc_lo, v[0:1], v[7:8]
	s_or_b32 s7, vcc_lo, s7
	s_andn2_b32 exec_lo, exec_lo, s7
	s_cbranch_execnz .LBB4_779
; %bb.780:
	s_or_b32 exec_lo, exec_lo, s7
.LBB4_781:
	s_or_b32 exec_lo, exec_lo, s6
.LBB4_782:
	s_or_b32 exec_lo, exec_lo, s5
	v_mov_b32_e32 v5, 0
	v_readfirstlane_b32 s6, v0
	v_readfirstlane_b32 s7, v1
	s_mov_b32 s5, exec_lo
	s_clause 0x1
	global_load_dwordx2 v[10:11], v5, s[26:27] offset:40
	global_load_dwordx4 v[6:9], v5, s[26:27]
	s_waitcnt vmcnt(1)
	v_readfirstlane_b32 s10, v10
	v_readfirstlane_b32 s11, v11
	s_and_b64 s[10:11], s[6:7], s[10:11]
	s_mul_i32 s16, s11, 24
	s_mul_hi_u32 s17, s10, 24
	s_mul_i32 s18, s10, 24
	s_add_i32 s17, s17, s16
	s_waitcnt vmcnt(0)
	v_add_co_u32 v10, vcc_lo, v6, s18
	v_add_co_ci_u32_e32 v11, vcc_lo, s17, v7, vcc_lo
	s_and_saveexec_b32 s16, s4
	s_cbranch_execz .LBB4_784
; %bb.783:
	v_mov_b32_e32 v4, s5
	v_mov_b32_e32 v13, v5
	;; [unrolled: 1-line block ×5, first 2 shown]
	global_store_dwordx4 v[10:11], v[12:15], off offset:8
.LBB4_784:
	s_or_b32 exec_lo, exec_lo, s16
	s_lshl_b64 s[10:11], s[10:11], 12
	s_mov_b32 s16, 0
	v_add_co_u32 v0, vcc_lo, v8, s10
	v_add_co_ci_u32_e32 v1, vcc_lo, s11, v9, vcc_lo
	s_mov_b32 s17, s16
	s_mov_b32 s18, s16
	;; [unrolled: 1-line block ×3, first 2 shown]
	v_and_or_b32 v2, 0xffffff1d, v2, 34
	v_mov_b32_e32 v4, 58
	v_readfirstlane_b32 s10, v0
	v_readfirstlane_b32 s11, v1
	v_mov_b32_e32 v12, s16
	v_mov_b32_e32 v13, s17
	v_mov_b32_e32 v14, s18
	v_mov_b32_e32 v15, s19
	global_store_dwordx4 v48, v[2:5], s[10:11]
	global_store_dwordx4 v48, v[12:15], s[10:11] offset:16
	global_store_dwordx4 v48, v[12:15], s[10:11] offset:32
	;; [unrolled: 1-line block ×3, first 2 shown]
	s_and_saveexec_b32 s5, s4
	s_cbranch_execz .LBB4_792
; %bb.785:
	v_mov_b32_e32 v8, 0
	v_mov_b32_e32 v12, s6
	;; [unrolled: 1-line block ×3, first 2 shown]
	s_clause 0x1
	global_load_dwordx2 v[14:15], v8, s[26:27] offset:32 glc dlc
	global_load_dwordx2 v[0:1], v8, s[26:27] offset:40
	s_waitcnt vmcnt(0)
	v_readfirstlane_b32 s10, v0
	v_readfirstlane_b32 s11, v1
	s_and_b64 s[10:11], s[10:11], s[6:7]
	s_mul_i32 s11, s11, 24
	s_mul_hi_u32 s16, s10, 24
	s_mul_i32 s10, s10, 24
	s_add_i32 s16, s16, s11
	v_add_co_u32 v4, vcc_lo, v6, s10
	v_add_co_ci_u32_e32 v5, vcc_lo, s16, v7, vcc_lo
	s_mov_b32 s10, exec_lo
	global_store_dwordx2 v[4:5], v[14:15], off
	s_waitcnt_vscnt null, 0x0
	global_atomic_cmpswap_x2 v[2:3], v8, v[12:15], s[26:27] offset:32 glc
	s_waitcnt vmcnt(0)
	v_cmpx_ne_u64_e64 v[2:3], v[14:15]
	s_cbranch_execz .LBB4_788
; %bb.786:
	s_mov_b32 s11, 0
.LBB4_787:                              ; =>This Inner Loop Header: Depth=1
	v_mov_b32_e32 v0, s6
	v_mov_b32_e32 v1, s7
	s_sleep 1
	global_store_dwordx2 v[4:5], v[2:3], off
	s_waitcnt_vscnt null, 0x0
	global_atomic_cmpswap_x2 v[0:1], v8, v[0:3], s[26:27] offset:32 glc
	s_waitcnt vmcnt(0)
	v_cmp_eq_u64_e32 vcc_lo, v[0:1], v[2:3]
	v_mov_b32_e32 v3, v1
	v_mov_b32_e32 v2, v0
	s_or_b32 s11, vcc_lo, s11
	s_andn2_b32 exec_lo, exec_lo, s11
	s_cbranch_execnz .LBB4_787
.LBB4_788:
	s_or_b32 exec_lo, exec_lo, s10
	v_mov_b32_e32 v3, 0
	s_mov_b32 s11, exec_lo
	s_mov_b32 s10, exec_lo
	v_mbcnt_lo_u32_b32 v2, s11, 0
	global_load_dwordx2 v[0:1], v3, s[26:27] offset:16
	v_cmpx_eq_u32_e32 0, v2
	s_cbranch_execz .LBB4_790
; %bb.789:
	s_bcnt1_i32_b32 s11, s11
	v_mov_b32_e32 v2, s11
	s_waitcnt vmcnt(0)
	global_atomic_add_x2 v[0:1], v[2:3], off offset:8
.LBB4_790:
	s_or_b32 exec_lo, exec_lo, s10
	s_waitcnt vmcnt(0)
	global_load_dwordx2 v[2:3], v[0:1], off offset:16
	s_waitcnt vmcnt(0)
	v_cmp_eq_u64_e32 vcc_lo, 0, v[2:3]
	s_cbranch_vccnz .LBB4_792
; %bb.791:
	global_load_dword v0, v[0:1], off offset:24
	v_mov_b32_e32 v1, 0
	s_waitcnt vmcnt(0)
	v_and_b32_e32 v4, 0x7fffff, v0
	s_waitcnt_vscnt null, 0x0
	global_store_dwordx2 v[2:3], v[0:1], off
	v_readfirstlane_b32 m0, v4
	s_sendmsg sendmsg(MSG_INTERRUPT)
.LBB4_792:
	s_or_b32 exec_lo, exec_lo, s5
	s_branch .LBB4_796
	.p2align	6
.LBB4_793:                              ;   in Loop: Header=BB4_796 Depth=1
	s_or_b32 exec_lo, exec_lo, s5
	v_readfirstlane_b32 s5, v0
	s_cmp_eq_u32 s5, 0
	s_cbranch_scc1 .LBB4_795
; %bb.794:                              ;   in Loop: Header=BB4_796 Depth=1
	s_sleep 1
	s_cbranch_execnz .LBB4_796
	s_branch .LBB4_798
	.p2align	6
.LBB4_795:
	s_branch .LBB4_798
.LBB4_796:                              ; =>This Inner Loop Header: Depth=1
	v_mov_b32_e32 v0, 1
	s_and_saveexec_b32 s5, s4
	s_cbranch_execz .LBB4_793
; %bb.797:                              ;   in Loop: Header=BB4_796 Depth=1
	global_load_dword v0, v[10:11], off offset:20 glc dlc
	s_waitcnt vmcnt(0)
	buffer_gl1_inv
	buffer_gl0_inv
	v_and_b32_e32 v0, 1, v0
	s_branch .LBB4_793
.LBB4_798:
	s_and_saveexec_b32 s5, s4
	s_cbranch_execz .LBB4_802
; %bb.799:
	v_mov_b32_e32 v6, 0
	s_clause 0x2
	global_load_dwordx2 v[2:3], v6, s[26:27] offset:40
	global_load_dwordx2 v[7:8], v6, s[26:27] offset:24 glc dlc
	global_load_dwordx2 v[4:5], v6, s[26:27]
	s_waitcnt vmcnt(2)
	v_add_co_u32 v9, vcc_lo, v2, 1
	v_add_co_ci_u32_e32 v10, vcc_lo, 0, v3, vcc_lo
	v_add_co_u32 v0, vcc_lo, v9, s6
	v_add_co_ci_u32_e32 v1, vcc_lo, s7, v10, vcc_lo
	v_cmp_eq_u64_e32 vcc_lo, 0, v[0:1]
	v_cndmask_b32_e32 v1, v1, v10, vcc_lo
	v_cndmask_b32_e32 v0, v0, v9, vcc_lo
	v_and_b32_e32 v3, v1, v3
	v_and_b32_e32 v2, v0, v2
	v_mul_lo_u32 v3, v3, 24
	v_mul_hi_u32 v9, v2, 24
	v_mul_lo_u32 v2, v2, 24
	v_add_nc_u32_e32 v3, v9, v3
	s_waitcnt vmcnt(0)
	v_add_co_u32 v4, vcc_lo, v4, v2
	v_mov_b32_e32 v2, v7
	v_add_co_ci_u32_e32 v5, vcc_lo, v5, v3, vcc_lo
	v_mov_b32_e32 v3, v8
	global_store_dwordx2 v[4:5], v[7:8], off
	s_waitcnt_vscnt null, 0x0
	global_atomic_cmpswap_x2 v[2:3], v6, v[0:3], s[26:27] offset:24 glc
	s_waitcnt vmcnt(0)
	v_cmp_ne_u64_e32 vcc_lo, v[2:3], v[7:8]
	s_and_b32 exec_lo, exec_lo, vcc_lo
	s_cbranch_execz .LBB4_802
; %bb.800:
	s_mov_b32 s4, 0
.LBB4_801:                              ; =>This Inner Loop Header: Depth=1
	s_sleep 1
	global_store_dwordx2 v[4:5], v[2:3], off
	s_waitcnt_vscnt null, 0x0
	global_atomic_cmpswap_x2 v[7:8], v6, v[0:3], s[26:27] offset:24 glc
	s_waitcnt vmcnt(0)
	v_cmp_eq_u64_e32 vcc_lo, v[7:8], v[2:3]
	v_mov_b32_e32 v2, v7
	v_mov_b32_e32 v3, v8
	s_or_b32 s4, vcc_lo, s4
	s_andn2_b32 exec_lo, exec_lo, s4
	s_cbranch_execnz .LBB4_801
.LBB4_802:
	s_or_b32 exec_lo, exec_lo, s5
	v_readfirstlane_b32 s4, v49
	v_mov_b32_e32 v6, 0
	v_mov_b32_e32 v7, 0
	v_cmp_eq_u32_e64 s4, s4, v49
	s_and_saveexec_b32 s5, s4
	s_cbranch_execz .LBB4_808
; %bb.803:
	v_mov_b32_e32 v0, 0
	s_mov_b32 s6, exec_lo
	global_load_dwordx2 v[3:4], v0, s[26:27] offset:24 glc dlc
	s_waitcnt vmcnt(0)
	buffer_gl1_inv
	buffer_gl0_inv
	s_clause 0x1
	global_load_dwordx2 v[1:2], v0, s[26:27] offset:40
	global_load_dwordx2 v[5:6], v0, s[26:27]
	s_waitcnt vmcnt(1)
	v_and_b32_e32 v2, v2, v4
	v_and_b32_e32 v1, v1, v3
	v_mul_lo_u32 v2, v2, 24
	v_mul_hi_u32 v7, v1, 24
	v_mul_lo_u32 v1, v1, 24
	v_add_nc_u32_e32 v2, v7, v2
	s_waitcnt vmcnt(0)
	v_add_co_u32 v1, vcc_lo, v5, v1
	v_add_co_ci_u32_e32 v2, vcc_lo, v6, v2, vcc_lo
	global_load_dwordx2 v[1:2], v[1:2], off glc dlc
	s_waitcnt vmcnt(0)
	global_atomic_cmpswap_x2 v[6:7], v0, v[1:4], s[26:27] offset:24 glc
	s_waitcnt vmcnt(0)
	buffer_gl1_inv
	buffer_gl0_inv
	v_cmpx_ne_u64_e64 v[6:7], v[3:4]
	s_cbranch_execz .LBB4_807
; %bb.804:
	s_mov_b32 s7, 0
	.p2align	6
.LBB4_805:                              ; =>This Inner Loop Header: Depth=1
	s_sleep 1
	s_clause 0x1
	global_load_dwordx2 v[1:2], v0, s[26:27] offset:40
	global_load_dwordx2 v[8:9], v0, s[26:27]
	v_mov_b32_e32 v3, v6
	v_mov_b32_e32 v4, v7
	s_waitcnt vmcnt(1)
	v_and_b32_e32 v1, v1, v3
	v_and_b32_e32 v2, v2, v4
	s_waitcnt vmcnt(0)
	v_mad_u64_u32 v[5:6], null, v1, 24, v[8:9]
	v_mov_b32_e32 v1, v6
	v_mad_u64_u32 v[1:2], null, v2, 24, v[1:2]
	v_mov_b32_e32 v6, v1
	global_load_dwordx2 v[1:2], v[5:6], off glc dlc
	s_waitcnt vmcnt(0)
	global_atomic_cmpswap_x2 v[6:7], v0, v[1:4], s[26:27] offset:24 glc
	s_waitcnt vmcnt(0)
	buffer_gl1_inv
	buffer_gl0_inv
	v_cmp_eq_u64_e32 vcc_lo, v[6:7], v[3:4]
	s_or_b32 s7, vcc_lo, s7
	s_andn2_b32 exec_lo, exec_lo, s7
	s_cbranch_execnz .LBB4_805
; %bb.806:
	s_or_b32 exec_lo, exec_lo, s7
.LBB4_807:
	s_or_b32 exec_lo, exec_lo, s6
.LBB4_808:
	s_or_b32 exec_lo, exec_lo, s5
	v_mov_b32_e32 v5, 0
	v_readfirstlane_b32 s6, v6
	v_readfirstlane_b32 s7, v7
	s_mov_b32 s5, exec_lo
	s_clause 0x1
	global_load_dwordx2 v[8:9], v5, s[26:27] offset:40
	global_load_dwordx4 v[0:3], v5, s[26:27]
	s_waitcnt vmcnt(1)
	v_readfirstlane_b32 s10, v8
	v_readfirstlane_b32 s11, v9
	s_and_b64 s[10:11], s[6:7], s[10:11]
	s_mul_i32 s16, s11, 24
	s_mul_hi_u32 s17, s10, 24
	s_mul_i32 s18, s10, 24
	s_add_i32 s17, s17, s16
	s_waitcnt vmcnt(0)
	v_add_co_u32 v8, vcc_lo, v0, s18
	v_add_co_ci_u32_e32 v9, vcc_lo, s17, v1, vcc_lo
	s_and_saveexec_b32 s16, s4
	s_cbranch_execz .LBB4_810
; %bb.809:
	v_mov_b32_e32 v4, s5
	v_mov_b32_e32 v6, 2
	;; [unrolled: 1-line block ×3, first 2 shown]
	global_store_dwordx4 v[8:9], v[4:7], off offset:8
.LBB4_810:
	s_or_b32 exec_lo, exec_lo, s16
	s_lshl_b64 s[10:11], s[10:11], 12
	s_mov_b32 s16, 0
	v_add_co_u32 v2, vcc_lo, v2, s10
	v_add_co_ci_u32_e32 v3, vcc_lo, s11, v3, vcc_lo
	s_mov_b32 s17, s16
	v_add_co_u32 v10, vcc_lo, v2, v48
	s_mov_b32 s18, s16
	s_mov_b32 s19, s16
	v_mov_b32_e32 v4, 33
	v_mov_b32_e32 v6, v5
	;; [unrolled: 1-line block ×3, first 2 shown]
	v_readfirstlane_b32 s10, v2
	v_readfirstlane_b32 s11, v3
	v_mov_b32_e32 v12, s16
	v_add_co_ci_u32_e32 v11, vcc_lo, 0, v3, vcc_lo
	v_mov_b32_e32 v13, s17
	v_mov_b32_e32 v14, s18
	;; [unrolled: 1-line block ×3, first 2 shown]
	global_store_dwordx4 v48, v[4:7], s[10:11]
	global_store_dwordx4 v48, v[12:15], s[10:11] offset:16
	global_store_dwordx4 v48, v[12:15], s[10:11] offset:32
	global_store_dwordx4 v48, v[12:15], s[10:11] offset:48
	s_and_saveexec_b32 s5, s4
	s_cbranch_execz .LBB4_818
; %bb.811:
	v_mov_b32_e32 v6, 0
	v_mov_b32_e32 v12, s6
	v_mov_b32_e32 v13, s7
	s_clause 0x1
	global_load_dwordx2 v[14:15], v6, s[26:27] offset:32 glc dlc
	global_load_dwordx2 v[2:3], v6, s[26:27] offset:40
	s_waitcnt vmcnt(0)
	v_readfirstlane_b32 s10, v2
	v_readfirstlane_b32 s11, v3
	s_and_b64 s[10:11], s[10:11], s[6:7]
	s_mul_i32 s11, s11, 24
	s_mul_hi_u32 s16, s10, 24
	s_mul_i32 s10, s10, 24
	s_add_i32 s16, s16, s11
	v_add_co_u32 v4, vcc_lo, v0, s10
	v_add_co_ci_u32_e32 v5, vcc_lo, s16, v1, vcc_lo
	s_mov_b32 s10, exec_lo
	global_store_dwordx2 v[4:5], v[14:15], off
	s_waitcnt_vscnt null, 0x0
	global_atomic_cmpswap_x2 v[2:3], v6, v[12:15], s[26:27] offset:32 glc
	s_waitcnt vmcnt(0)
	v_cmpx_ne_u64_e64 v[2:3], v[14:15]
	s_cbranch_execz .LBB4_814
; %bb.812:
	s_mov_b32 s11, 0
.LBB4_813:                              ; =>This Inner Loop Header: Depth=1
	v_mov_b32_e32 v0, s6
	v_mov_b32_e32 v1, s7
	s_sleep 1
	global_store_dwordx2 v[4:5], v[2:3], off
	s_waitcnt_vscnt null, 0x0
	global_atomic_cmpswap_x2 v[0:1], v6, v[0:3], s[26:27] offset:32 glc
	s_waitcnt vmcnt(0)
	v_cmp_eq_u64_e32 vcc_lo, v[0:1], v[2:3]
	v_mov_b32_e32 v3, v1
	v_mov_b32_e32 v2, v0
	s_or_b32 s11, vcc_lo, s11
	s_andn2_b32 exec_lo, exec_lo, s11
	s_cbranch_execnz .LBB4_813
.LBB4_814:
	s_or_b32 exec_lo, exec_lo, s10
	v_mov_b32_e32 v3, 0
	s_mov_b32 s11, exec_lo
	s_mov_b32 s10, exec_lo
	v_mbcnt_lo_u32_b32 v2, s11, 0
	global_load_dwordx2 v[0:1], v3, s[26:27] offset:16
	v_cmpx_eq_u32_e32 0, v2
	s_cbranch_execz .LBB4_816
; %bb.815:
	s_bcnt1_i32_b32 s11, s11
	v_mov_b32_e32 v2, s11
	s_waitcnt vmcnt(0)
	global_atomic_add_x2 v[0:1], v[2:3], off offset:8
.LBB4_816:
	s_or_b32 exec_lo, exec_lo, s10
	s_waitcnt vmcnt(0)
	global_load_dwordx2 v[2:3], v[0:1], off offset:16
	s_waitcnt vmcnt(0)
	v_cmp_eq_u64_e32 vcc_lo, 0, v[2:3]
	s_cbranch_vccnz .LBB4_818
; %bb.817:
	global_load_dword v0, v[0:1], off offset:24
	v_mov_b32_e32 v1, 0
	s_waitcnt vmcnt(0)
	v_and_b32_e32 v4, 0x7fffff, v0
	s_waitcnt_vscnt null, 0x0
	global_store_dwordx2 v[2:3], v[0:1], off
	v_readfirstlane_b32 m0, v4
	s_sendmsg sendmsg(MSG_INTERRUPT)
.LBB4_818:
	s_or_b32 exec_lo, exec_lo, s5
	s_branch .LBB4_822
	.p2align	6
.LBB4_819:                              ;   in Loop: Header=BB4_822 Depth=1
	s_or_b32 exec_lo, exec_lo, s5
	v_readfirstlane_b32 s5, v0
	s_cmp_eq_u32 s5, 0
	s_cbranch_scc1 .LBB4_821
; %bb.820:                              ;   in Loop: Header=BB4_822 Depth=1
	s_sleep 1
	s_cbranch_execnz .LBB4_822
	s_branch .LBB4_824
	.p2align	6
.LBB4_821:
	s_branch .LBB4_824
.LBB4_822:                              ; =>This Inner Loop Header: Depth=1
	v_mov_b32_e32 v0, 1
	s_and_saveexec_b32 s5, s4
	s_cbranch_execz .LBB4_819
; %bb.823:                              ;   in Loop: Header=BB4_822 Depth=1
	global_load_dword v0, v[8:9], off offset:20 glc dlc
	s_waitcnt vmcnt(0)
	buffer_gl1_inv
	buffer_gl0_inv
	v_and_b32_e32 v0, 1, v0
	s_branch .LBB4_819
.LBB4_824:
	global_load_dwordx2 v[0:1], v[10:11], off
	s_and_saveexec_b32 s5, s4
	s_cbranch_execz .LBB4_828
; %bb.825:
	v_mov_b32_e32 v8, 0
	s_clause 0x2
	global_load_dwordx2 v[4:5], v8, s[26:27] offset:40
	global_load_dwordx2 v[9:10], v8, s[26:27] offset:24 glc dlc
	global_load_dwordx2 v[6:7], v8, s[26:27]
	s_waitcnt vmcnt(2)
	v_add_co_u32 v11, vcc_lo, v4, 1
	v_add_co_ci_u32_e32 v12, vcc_lo, 0, v5, vcc_lo
	v_add_co_u32 v2, vcc_lo, v11, s6
	v_add_co_ci_u32_e32 v3, vcc_lo, s7, v12, vcc_lo
	v_cmp_eq_u64_e32 vcc_lo, 0, v[2:3]
	v_cndmask_b32_e32 v3, v3, v12, vcc_lo
	v_cndmask_b32_e32 v2, v2, v11, vcc_lo
	v_and_b32_e32 v5, v3, v5
	v_and_b32_e32 v4, v2, v4
	v_mul_lo_u32 v5, v5, 24
	v_mul_hi_u32 v11, v4, 24
	v_mul_lo_u32 v4, v4, 24
	v_add_nc_u32_e32 v5, v11, v5
	s_waitcnt vmcnt(0)
	v_add_co_u32 v6, vcc_lo, v6, v4
	v_mov_b32_e32 v4, v9
	v_add_co_ci_u32_e32 v7, vcc_lo, v7, v5, vcc_lo
	v_mov_b32_e32 v5, v10
	global_store_dwordx2 v[6:7], v[9:10], off
	s_waitcnt_vscnt null, 0x0
	global_atomic_cmpswap_x2 v[4:5], v8, v[2:5], s[26:27] offset:24 glc
	s_waitcnt vmcnt(0)
	v_cmp_ne_u64_e32 vcc_lo, v[4:5], v[9:10]
	s_and_b32 exec_lo, exec_lo, vcc_lo
	s_cbranch_execz .LBB4_828
; %bb.826:
	s_mov_b32 s4, 0
.LBB4_827:                              ; =>This Inner Loop Header: Depth=1
	s_sleep 1
	global_store_dwordx2 v[6:7], v[4:5], off
	s_waitcnt_vscnt null, 0x0
	global_atomic_cmpswap_x2 v[9:10], v8, v[2:5], s[26:27] offset:24 glc
	s_waitcnt vmcnt(0)
	v_cmp_eq_u64_e32 vcc_lo, v[9:10], v[4:5]
	v_mov_b32_e32 v4, v9
	v_mov_b32_e32 v5, v10
	s_or_b32 s4, vcc_lo, s4
	s_andn2_b32 exec_lo, exec_lo, s4
	s_cbranch_execnz .LBB4_827
.LBB4_828:
	s_or_b32 exec_lo, exec_lo, s5
	s_getpc_b64 s[6:7]
	s_add_u32 s6, s6, .str.7@rel32@lo+4
	s_addc_u32 s7, s7, .str.7@rel32@hi+12
	s_cmp_lg_u64 s[6:7], 0
	s_cbranch_scc0 .LBB4_907
; %bb.829:
	s_waitcnt vmcnt(0)
	v_and_b32_e32 v31, 2, v0
	v_mov_b32_e32 v6, 0
	v_and_b32_e32 v2, -3, v0
	v_mov_b32_e32 v3, v1
	v_mov_b32_e32 v7, 2
	;; [unrolled: 1-line block ×3, first 2 shown]
	s_mov_b64 s[10:11], 4
	s_branch .LBB4_831
.LBB4_830:                              ;   in Loop: Header=BB4_831 Depth=1
	s_or_b32 exec_lo, exec_lo, s5
	s_sub_u32 s10, s10, s16
	s_subb_u32 s11, s11, s17
	s_add_u32 s6, s6, s16
	s_addc_u32 s7, s7, s17
	s_cmp_lg_u64 s[10:11], 0
	s_cbranch_scc0 .LBB4_906
.LBB4_831:                              ; =>This Loop Header: Depth=1
                                        ;     Child Loop BB4_840 Depth 2
                                        ;     Child Loop BB4_836 Depth 2
	;; [unrolled: 1-line block ×11, first 2 shown]
	v_cmp_lt_u64_e64 s4, s[10:11], 56
	v_cmp_gt_u64_e64 s5, s[10:11], 7
                                        ; implicit-def: $vgpr11_vgpr12
                                        ; implicit-def: $sgpr22
	s_and_b32 s4, s4, exec_lo
	s_cselect_b32 s17, s11, 0
	s_cselect_b32 s16, s10, 56
	s_and_b32 vcc_lo, exec_lo, s5
	s_mov_b32 s4, -1
	s_cbranch_vccz .LBB4_838
; %bb.832:                              ;   in Loop: Header=BB4_831 Depth=1
	s_andn2_b32 vcc_lo, exec_lo, s4
	s_mov_b64 s[4:5], s[6:7]
	s_cbranch_vccz .LBB4_842
.LBB4_833:                              ;   in Loop: Header=BB4_831 Depth=1
	s_cmp_gt_u32 s22, 7
	s_cbranch_scc1 .LBB4_843
.LBB4_834:                              ;   in Loop: Header=BB4_831 Depth=1
	v_mov_b32_e32 v13, 0
	v_mov_b32_e32 v14, 0
	s_cmp_eq_u32 s22, 0
	s_cbranch_scc1 .LBB4_837
; %bb.835:                              ;   in Loop: Header=BB4_831 Depth=1
	s_mov_b64 s[18:19], 0
	s_mov_b64 s[20:21], 0
.LBB4_836:                              ;   Parent Loop BB4_831 Depth=1
                                        ; =>  This Inner Loop Header: Depth=2
	s_add_u32 s24, s4, s20
	s_addc_u32 s25, s5, s21
	s_add_u32 s20, s20, 1
	global_load_ubyte v4, v6, s[24:25]
	s_addc_u32 s21, s21, 0
	s_waitcnt vmcnt(0)
	v_and_b32_e32 v5, 0xffff, v4
	v_lshlrev_b64 v[4:5], s18, v[5:6]
	s_add_u32 s18, s18, 8
	s_addc_u32 s19, s19, 0
	s_cmp_lg_u32 s22, s20
	v_or_b32_e32 v13, v4, v13
	v_or_b32_e32 v14, v5, v14
	s_cbranch_scc1 .LBB4_836
.LBB4_837:                              ;   in Loop: Header=BB4_831 Depth=1
	s_mov_b32 s23, 0
	s_cbranch_execz .LBB4_844
	s_branch .LBB4_845
.LBB4_838:                              ;   in Loop: Header=BB4_831 Depth=1
	v_mov_b32_e32 v11, 0
	v_mov_b32_e32 v12, 0
	s_cmp_eq_u64 s[10:11], 0
	s_mov_b64 s[4:5], 0
	s_cbranch_scc1 .LBB4_841
; %bb.839:                              ;   in Loop: Header=BB4_831 Depth=1
	v_mov_b32_e32 v11, 0
	v_mov_b32_e32 v12, 0
	s_lshl_b64 s[18:19], s[16:17], 3
	s_mov_b64 s[20:21], s[6:7]
.LBB4_840:                              ;   Parent Loop BB4_831 Depth=1
                                        ; =>  This Inner Loop Header: Depth=2
	global_load_ubyte v4, v6, s[20:21]
	s_waitcnt vmcnt(0)
	v_and_b32_e32 v5, 0xffff, v4
	v_lshlrev_b64 v[4:5], s4, v[5:6]
	s_add_u32 s4, s4, 8
	s_addc_u32 s5, s5, 0
	s_add_u32 s20, s20, 1
	s_addc_u32 s21, s21, 0
	s_cmp_lg_u32 s18, s4
	v_or_b32_e32 v11, v4, v11
	v_or_b32_e32 v12, v5, v12
	s_cbranch_scc1 .LBB4_840
.LBB4_841:                              ;   in Loop: Header=BB4_831 Depth=1
	s_mov_b32 s22, 0
	s_mov_b64 s[4:5], s[6:7]
	s_cbranch_execnz .LBB4_833
.LBB4_842:                              ;   in Loop: Header=BB4_831 Depth=1
	global_load_dwordx2 v[11:12], v6, s[6:7]
	s_add_i32 s22, s16, -8
	s_add_u32 s4, s6, 8
	s_addc_u32 s5, s7, 0
	s_cmp_gt_u32 s22, 7
	s_cbranch_scc0 .LBB4_834
.LBB4_843:                              ;   in Loop: Header=BB4_831 Depth=1
                                        ; implicit-def: $vgpr13_vgpr14
                                        ; implicit-def: $sgpr23
.LBB4_844:                              ;   in Loop: Header=BB4_831 Depth=1
	global_load_dwordx2 v[13:14], v6, s[4:5]
	s_add_i32 s23, s22, -8
	s_add_u32 s4, s4, 8
	s_addc_u32 s5, s5, 0
.LBB4_845:                              ;   in Loop: Header=BB4_831 Depth=1
	s_cmp_gt_u32 s23, 7
	s_cbranch_scc1 .LBB4_850
; %bb.846:                              ;   in Loop: Header=BB4_831 Depth=1
	v_mov_b32_e32 v15, 0
	v_mov_b32_e32 v16, 0
	s_cmp_eq_u32 s23, 0
	s_cbranch_scc1 .LBB4_849
; %bb.847:                              ;   in Loop: Header=BB4_831 Depth=1
	s_mov_b64 s[18:19], 0
	s_mov_b64 s[20:21], 0
.LBB4_848:                              ;   Parent Loop BB4_831 Depth=1
                                        ; =>  This Inner Loop Header: Depth=2
	s_add_u32 s24, s4, s20
	s_addc_u32 s25, s5, s21
	s_add_u32 s20, s20, 1
	global_load_ubyte v4, v6, s[24:25]
	s_addc_u32 s21, s21, 0
	s_waitcnt vmcnt(0)
	v_and_b32_e32 v5, 0xffff, v4
	v_lshlrev_b64 v[4:5], s18, v[5:6]
	s_add_u32 s18, s18, 8
	s_addc_u32 s19, s19, 0
	s_cmp_lg_u32 s23, s20
	v_or_b32_e32 v15, v4, v15
	v_or_b32_e32 v16, v5, v16
	s_cbranch_scc1 .LBB4_848
.LBB4_849:                              ;   in Loop: Header=BB4_831 Depth=1
	s_mov_b32 s22, 0
	s_cbranch_execz .LBB4_851
	s_branch .LBB4_852
.LBB4_850:                              ;   in Loop: Header=BB4_831 Depth=1
                                        ; implicit-def: $sgpr22
.LBB4_851:                              ;   in Loop: Header=BB4_831 Depth=1
	global_load_dwordx2 v[15:16], v6, s[4:5]
	s_add_i32 s22, s23, -8
	s_add_u32 s4, s4, 8
	s_addc_u32 s5, s5, 0
.LBB4_852:                              ;   in Loop: Header=BB4_831 Depth=1
	s_cmp_gt_u32 s22, 7
	s_cbranch_scc1 .LBB4_857
; %bb.853:                              ;   in Loop: Header=BB4_831 Depth=1
	v_mov_b32_e32 v17, 0
	v_mov_b32_e32 v18, 0
	s_cmp_eq_u32 s22, 0
	s_cbranch_scc1 .LBB4_856
; %bb.854:                              ;   in Loop: Header=BB4_831 Depth=1
	s_mov_b64 s[18:19], 0
	s_mov_b64 s[20:21], 0
.LBB4_855:                              ;   Parent Loop BB4_831 Depth=1
                                        ; =>  This Inner Loop Header: Depth=2
	s_add_u32 s24, s4, s20
	s_addc_u32 s25, s5, s21
	s_add_u32 s20, s20, 1
	global_load_ubyte v4, v6, s[24:25]
	s_addc_u32 s21, s21, 0
	s_waitcnt vmcnt(0)
	v_and_b32_e32 v5, 0xffff, v4
	v_lshlrev_b64 v[4:5], s18, v[5:6]
	s_add_u32 s18, s18, 8
	s_addc_u32 s19, s19, 0
	s_cmp_lg_u32 s22, s20
	v_or_b32_e32 v17, v4, v17
	v_or_b32_e32 v18, v5, v18
	s_cbranch_scc1 .LBB4_855
.LBB4_856:                              ;   in Loop: Header=BB4_831 Depth=1
	s_mov_b32 s23, 0
	s_cbranch_execz .LBB4_858
	s_branch .LBB4_859
.LBB4_857:                              ;   in Loop: Header=BB4_831 Depth=1
                                        ; implicit-def: $vgpr17_vgpr18
                                        ; implicit-def: $sgpr23
.LBB4_858:                              ;   in Loop: Header=BB4_831 Depth=1
	global_load_dwordx2 v[17:18], v6, s[4:5]
	s_add_i32 s23, s22, -8
	s_add_u32 s4, s4, 8
	s_addc_u32 s5, s5, 0
.LBB4_859:                              ;   in Loop: Header=BB4_831 Depth=1
	s_cmp_gt_u32 s23, 7
	s_cbranch_scc1 .LBB4_864
; %bb.860:                              ;   in Loop: Header=BB4_831 Depth=1
	v_mov_b32_e32 v19, 0
	v_mov_b32_e32 v20, 0
	s_cmp_eq_u32 s23, 0
	s_cbranch_scc1 .LBB4_863
; %bb.861:                              ;   in Loop: Header=BB4_831 Depth=1
	s_mov_b64 s[18:19], 0
	s_mov_b64 s[20:21], 0
.LBB4_862:                              ;   Parent Loop BB4_831 Depth=1
                                        ; =>  This Inner Loop Header: Depth=2
	s_add_u32 s24, s4, s20
	s_addc_u32 s25, s5, s21
	s_add_u32 s20, s20, 1
	global_load_ubyte v4, v6, s[24:25]
	s_addc_u32 s21, s21, 0
	s_waitcnt vmcnt(0)
	v_and_b32_e32 v5, 0xffff, v4
	v_lshlrev_b64 v[4:5], s18, v[5:6]
	s_add_u32 s18, s18, 8
	s_addc_u32 s19, s19, 0
	s_cmp_lg_u32 s23, s20
	v_or_b32_e32 v19, v4, v19
	v_or_b32_e32 v20, v5, v20
	s_cbranch_scc1 .LBB4_862
.LBB4_863:                              ;   in Loop: Header=BB4_831 Depth=1
	s_mov_b32 s22, 0
	s_cbranch_execz .LBB4_865
	s_branch .LBB4_866
.LBB4_864:                              ;   in Loop: Header=BB4_831 Depth=1
                                        ; implicit-def: $sgpr22
.LBB4_865:                              ;   in Loop: Header=BB4_831 Depth=1
	global_load_dwordx2 v[19:20], v6, s[4:5]
	s_add_i32 s22, s23, -8
	s_add_u32 s4, s4, 8
	s_addc_u32 s5, s5, 0
.LBB4_866:                              ;   in Loop: Header=BB4_831 Depth=1
	s_cmp_gt_u32 s22, 7
	s_cbranch_scc1 .LBB4_871
; %bb.867:                              ;   in Loop: Header=BB4_831 Depth=1
	v_mov_b32_e32 v21, 0
	v_mov_b32_e32 v22, 0
	s_cmp_eq_u32 s22, 0
	s_cbranch_scc1 .LBB4_870
; %bb.868:                              ;   in Loop: Header=BB4_831 Depth=1
	s_mov_b64 s[18:19], 0
	s_mov_b64 s[20:21], 0
.LBB4_869:                              ;   Parent Loop BB4_831 Depth=1
                                        ; =>  This Inner Loop Header: Depth=2
	s_add_u32 s24, s4, s20
	s_addc_u32 s25, s5, s21
	s_add_u32 s20, s20, 1
	global_load_ubyte v4, v6, s[24:25]
	s_addc_u32 s21, s21, 0
	s_waitcnt vmcnt(0)
	v_and_b32_e32 v5, 0xffff, v4
	v_lshlrev_b64 v[4:5], s18, v[5:6]
	s_add_u32 s18, s18, 8
	s_addc_u32 s19, s19, 0
	s_cmp_lg_u32 s22, s20
	v_or_b32_e32 v21, v4, v21
	v_or_b32_e32 v22, v5, v22
	s_cbranch_scc1 .LBB4_869
.LBB4_870:                              ;   in Loop: Header=BB4_831 Depth=1
	s_mov_b32 s23, 0
	s_cbranch_execz .LBB4_872
	s_branch .LBB4_873
.LBB4_871:                              ;   in Loop: Header=BB4_831 Depth=1
                                        ; implicit-def: $vgpr21_vgpr22
                                        ; implicit-def: $sgpr23
.LBB4_872:                              ;   in Loop: Header=BB4_831 Depth=1
	global_load_dwordx2 v[21:22], v6, s[4:5]
	s_add_i32 s23, s22, -8
	s_add_u32 s4, s4, 8
	s_addc_u32 s5, s5, 0
.LBB4_873:                              ;   in Loop: Header=BB4_831 Depth=1
	s_cmp_gt_u32 s23, 7
	s_cbranch_scc1 .LBB4_878
; %bb.874:                              ;   in Loop: Header=BB4_831 Depth=1
	v_mov_b32_e32 v23, 0
	v_mov_b32_e32 v24, 0
	s_cmp_eq_u32 s23, 0
	s_cbranch_scc1 .LBB4_877
; %bb.875:                              ;   in Loop: Header=BB4_831 Depth=1
	s_mov_b64 s[18:19], 0
	s_mov_b64 s[20:21], s[4:5]
.LBB4_876:                              ;   Parent Loop BB4_831 Depth=1
                                        ; =>  This Inner Loop Header: Depth=2
	global_load_ubyte v4, v6, s[20:21]
	s_add_i32 s23, s23, -1
	s_waitcnt vmcnt(0)
	v_and_b32_e32 v5, 0xffff, v4
	v_lshlrev_b64 v[4:5], s18, v[5:6]
	s_add_u32 s18, s18, 8
	s_addc_u32 s19, s19, 0
	s_add_u32 s20, s20, 1
	s_addc_u32 s21, s21, 0
	s_cmp_lg_u32 s23, 0
	v_or_b32_e32 v23, v4, v23
	v_or_b32_e32 v24, v5, v24
	s_cbranch_scc1 .LBB4_876
.LBB4_877:                              ;   in Loop: Header=BB4_831 Depth=1
	s_cbranch_execz .LBB4_879
	s_branch .LBB4_880
.LBB4_878:                              ;   in Loop: Header=BB4_831 Depth=1
.LBB4_879:                              ;   in Loop: Header=BB4_831 Depth=1
	global_load_dwordx2 v[23:24], v6, s[4:5]
.LBB4_880:                              ;   in Loop: Header=BB4_831 Depth=1
	v_readfirstlane_b32 s4, v49
	s_waitcnt vmcnt(0)
	v_mov_b32_e32 v4, 0
	v_mov_b32_e32 v5, 0
	v_cmp_eq_u32_e64 s4, s4, v49
	s_and_saveexec_b32 s5, s4
	s_cbranch_execz .LBB4_886
; %bb.881:                              ;   in Loop: Header=BB4_831 Depth=1
	global_load_dwordx2 v[27:28], v6, s[26:27] offset:24 glc dlc
	s_waitcnt vmcnt(0)
	buffer_gl1_inv
	buffer_gl0_inv
	s_clause 0x1
	global_load_dwordx2 v[4:5], v6, s[26:27] offset:40
	global_load_dwordx2 v[9:10], v6, s[26:27]
	s_mov_b32 s18, exec_lo
	s_waitcnt vmcnt(1)
	v_and_b32_e32 v5, v5, v28
	v_and_b32_e32 v4, v4, v27
	v_mul_lo_u32 v5, v5, 24
	v_mul_hi_u32 v25, v4, 24
	v_mul_lo_u32 v4, v4, 24
	v_add_nc_u32_e32 v5, v25, v5
	s_waitcnt vmcnt(0)
	v_add_co_u32 v4, vcc_lo, v9, v4
	v_add_co_ci_u32_e32 v5, vcc_lo, v10, v5, vcc_lo
	global_load_dwordx2 v[25:26], v[4:5], off glc dlc
	s_waitcnt vmcnt(0)
	global_atomic_cmpswap_x2 v[4:5], v6, v[25:28], s[26:27] offset:24 glc
	s_waitcnt vmcnt(0)
	buffer_gl1_inv
	buffer_gl0_inv
	v_cmpx_ne_u64_e64 v[4:5], v[27:28]
	s_cbranch_execz .LBB4_885
; %bb.882:                              ;   in Loop: Header=BB4_831 Depth=1
	s_mov_b32 s19, 0
	.p2align	6
.LBB4_883:                              ;   Parent Loop BB4_831 Depth=1
                                        ; =>  This Inner Loop Header: Depth=2
	s_sleep 1
	s_clause 0x1
	global_load_dwordx2 v[9:10], v6, s[26:27] offset:40
	global_load_dwordx2 v[25:26], v6, s[26:27]
	v_mov_b32_e32 v28, v5
	v_mov_b32_e32 v27, v4
	s_waitcnt vmcnt(1)
	v_and_b32_e32 v4, v9, v27
	v_and_b32_e32 v9, v10, v28
	s_waitcnt vmcnt(0)
	v_mad_u64_u32 v[4:5], null, v4, 24, v[25:26]
	v_mad_u64_u32 v[9:10], null, v9, 24, v[5:6]
	v_mov_b32_e32 v5, v9
	global_load_dwordx2 v[25:26], v[4:5], off glc dlc
	s_waitcnt vmcnt(0)
	global_atomic_cmpswap_x2 v[4:5], v6, v[25:28], s[26:27] offset:24 glc
	s_waitcnt vmcnt(0)
	buffer_gl1_inv
	buffer_gl0_inv
	v_cmp_eq_u64_e32 vcc_lo, v[4:5], v[27:28]
	s_or_b32 s19, vcc_lo, s19
	s_andn2_b32 exec_lo, exec_lo, s19
	s_cbranch_execnz .LBB4_883
; %bb.884:                              ;   in Loop: Header=BB4_831 Depth=1
	s_or_b32 exec_lo, exec_lo, s19
.LBB4_885:                              ;   in Loop: Header=BB4_831 Depth=1
	s_or_b32 exec_lo, exec_lo, s18
.LBB4_886:                              ;   in Loop: Header=BB4_831 Depth=1
	s_or_b32 exec_lo, exec_lo, s5
	s_clause 0x1
	global_load_dwordx2 v[9:10], v6, s[26:27] offset:40
	global_load_dwordx4 v[25:28], v6, s[26:27]
	v_readfirstlane_b32 s18, v4
	v_readfirstlane_b32 s19, v5
	s_mov_b32 s5, exec_lo
	s_waitcnt vmcnt(1)
	v_readfirstlane_b32 s20, v9
	v_readfirstlane_b32 s21, v10
	s_and_b64 s[20:21], s[18:19], s[20:21]
	s_mul_i32 s22, s21, 24
	s_mul_hi_u32 s23, s20, 24
	s_mul_i32 s24, s20, 24
	s_add_i32 s23, s23, s22
	s_waitcnt vmcnt(0)
	v_add_co_u32 v29, vcc_lo, v25, s24
	v_add_co_ci_u32_e32 v30, vcc_lo, s23, v26, vcc_lo
	s_and_saveexec_b32 s22, s4
	s_cbranch_execz .LBB4_888
; %bb.887:                              ;   in Loop: Header=BB4_831 Depth=1
	v_mov_b32_e32 v5, s5
	global_store_dwordx4 v[29:30], v[5:8], off offset:8
.LBB4_888:                              ;   in Loop: Header=BB4_831 Depth=1
	s_or_b32 exec_lo, exec_lo, s22
	s_lshl_b64 s[20:21], s[20:21], 12
	v_cmp_gt_u64_e64 vcc_lo, s[10:11], 56
	v_or_b32_e32 v5, v2, v31
	v_add_co_u32 v27, s5, v27, s20
	v_add_co_ci_u32_e64 v28, s5, s21, v28, s5
	s_lshl_b32 s5, s16, 2
	v_or_b32_e32 v4, 0, v3
	v_cndmask_b32_e32 v2, v5, v2, vcc_lo
	s_add_i32 s5, s5, 28
	v_readfirstlane_b32 s20, v27
	s_and_b32 s5, s5, 0x1e0
	v_cndmask_b32_e32 v10, v4, v3, vcc_lo
	v_readfirstlane_b32 s21, v28
	v_and_or_b32 v9, 0xffffff1f, v2, s5
	global_store_dwordx4 v48, v[9:12], s[20:21]
	global_store_dwordx4 v48, v[13:16], s[20:21] offset:16
	global_store_dwordx4 v48, v[17:20], s[20:21] offset:32
	;; [unrolled: 1-line block ×3, first 2 shown]
	s_and_saveexec_b32 s5, s4
	s_cbranch_execz .LBB4_896
; %bb.889:                              ;   in Loop: Header=BB4_831 Depth=1
	s_clause 0x1
	global_load_dwordx2 v[13:14], v6, s[26:27] offset:32 glc dlc
	global_load_dwordx2 v[2:3], v6, s[26:27] offset:40
	v_mov_b32_e32 v11, s18
	v_mov_b32_e32 v12, s19
	s_waitcnt vmcnt(0)
	v_readfirstlane_b32 s20, v2
	v_readfirstlane_b32 s21, v3
	s_and_b64 s[20:21], s[20:21], s[18:19]
	s_mul_i32 s21, s21, 24
	s_mul_hi_u32 s22, s20, 24
	s_mul_i32 s20, s20, 24
	s_add_i32 s22, s22, s21
	v_add_co_u32 v9, vcc_lo, v25, s20
	v_add_co_ci_u32_e32 v10, vcc_lo, s22, v26, vcc_lo
	s_mov_b32 s20, exec_lo
	global_store_dwordx2 v[9:10], v[13:14], off
	s_waitcnt_vscnt null, 0x0
	global_atomic_cmpswap_x2 v[4:5], v6, v[11:14], s[26:27] offset:32 glc
	s_waitcnt vmcnt(0)
	v_cmpx_ne_u64_e64 v[4:5], v[13:14]
	s_cbranch_execz .LBB4_892
; %bb.890:                              ;   in Loop: Header=BB4_831 Depth=1
	s_mov_b32 s21, 0
.LBB4_891:                              ;   Parent Loop BB4_831 Depth=1
                                        ; =>  This Inner Loop Header: Depth=2
	v_mov_b32_e32 v2, s18
	v_mov_b32_e32 v3, s19
	s_sleep 1
	global_store_dwordx2 v[9:10], v[4:5], off
	s_waitcnt_vscnt null, 0x0
	global_atomic_cmpswap_x2 v[2:3], v6, v[2:5], s[26:27] offset:32 glc
	s_waitcnt vmcnt(0)
	v_cmp_eq_u64_e32 vcc_lo, v[2:3], v[4:5]
	v_mov_b32_e32 v5, v3
	v_mov_b32_e32 v4, v2
	s_or_b32 s21, vcc_lo, s21
	s_andn2_b32 exec_lo, exec_lo, s21
	s_cbranch_execnz .LBB4_891
.LBB4_892:                              ;   in Loop: Header=BB4_831 Depth=1
	s_or_b32 exec_lo, exec_lo, s20
	global_load_dwordx2 v[2:3], v6, s[26:27] offset:16
	s_mov_b32 s21, exec_lo
	s_mov_b32 s20, exec_lo
	v_mbcnt_lo_u32_b32 v4, s21, 0
	v_cmpx_eq_u32_e32 0, v4
	s_cbranch_execz .LBB4_894
; %bb.893:                              ;   in Loop: Header=BB4_831 Depth=1
	s_bcnt1_i32_b32 s21, s21
	v_mov_b32_e32 v5, s21
	s_waitcnt vmcnt(0)
	global_atomic_add_x2 v[2:3], v[5:6], off offset:8
.LBB4_894:                              ;   in Loop: Header=BB4_831 Depth=1
	s_or_b32 exec_lo, exec_lo, s20
	s_waitcnt vmcnt(0)
	global_load_dwordx2 v[9:10], v[2:3], off offset:16
	s_waitcnt vmcnt(0)
	v_cmp_eq_u64_e32 vcc_lo, 0, v[9:10]
	s_cbranch_vccnz .LBB4_896
; %bb.895:                              ;   in Loop: Header=BB4_831 Depth=1
	global_load_dword v5, v[2:3], off offset:24
	s_waitcnt vmcnt(0)
	v_and_b32_e32 v2, 0x7fffff, v5
	s_waitcnt_vscnt null, 0x0
	global_store_dwordx2 v[9:10], v[5:6], off
	v_readfirstlane_b32 m0, v2
	s_sendmsg sendmsg(MSG_INTERRUPT)
.LBB4_896:                              ;   in Loop: Header=BB4_831 Depth=1
	s_or_b32 exec_lo, exec_lo, s5
	v_add_co_u32 v2, vcc_lo, v27, v48
	v_add_co_ci_u32_e32 v3, vcc_lo, 0, v28, vcc_lo
	s_branch .LBB4_900
	.p2align	6
.LBB4_897:                              ;   in Loop: Header=BB4_900 Depth=2
	s_or_b32 exec_lo, exec_lo, s5
	v_readfirstlane_b32 s5, v4
	s_cmp_eq_u32 s5, 0
	s_cbranch_scc1 .LBB4_899
; %bb.898:                              ;   in Loop: Header=BB4_900 Depth=2
	s_sleep 1
	s_cbranch_execnz .LBB4_900
	s_branch .LBB4_902
	.p2align	6
.LBB4_899:                              ;   in Loop: Header=BB4_831 Depth=1
	s_branch .LBB4_902
.LBB4_900:                              ;   Parent Loop BB4_831 Depth=1
                                        ; =>  This Inner Loop Header: Depth=2
	v_mov_b32_e32 v4, 1
	s_and_saveexec_b32 s5, s4
	s_cbranch_execz .LBB4_897
; %bb.901:                              ;   in Loop: Header=BB4_900 Depth=2
	global_load_dword v4, v[29:30], off offset:20 glc dlc
	s_waitcnt vmcnt(0)
	buffer_gl1_inv
	buffer_gl0_inv
	v_and_b32_e32 v4, 1, v4
	s_branch .LBB4_897
.LBB4_902:                              ;   in Loop: Header=BB4_831 Depth=1
	global_load_dwordx4 v[2:5], v[2:3], off
	s_and_saveexec_b32 s5, s4
	s_cbranch_execz .LBB4_830
; %bb.903:                              ;   in Loop: Header=BB4_831 Depth=1
	s_clause 0x2
	global_load_dwordx2 v[4:5], v6, s[26:27] offset:40
	global_load_dwordx2 v[13:14], v6, s[26:27] offset:24 glc dlc
	global_load_dwordx2 v[11:12], v6, s[26:27]
	s_waitcnt vmcnt(2)
	v_add_co_u32 v15, vcc_lo, v4, 1
	v_add_co_ci_u32_e32 v16, vcc_lo, 0, v5, vcc_lo
	v_add_co_u32 v9, vcc_lo, v15, s18
	v_add_co_ci_u32_e32 v10, vcc_lo, s19, v16, vcc_lo
	v_cmp_eq_u64_e32 vcc_lo, 0, v[9:10]
	v_cndmask_b32_e32 v10, v10, v16, vcc_lo
	v_cndmask_b32_e32 v9, v9, v15, vcc_lo
	v_and_b32_e32 v5, v10, v5
	v_and_b32_e32 v4, v9, v4
	v_mul_lo_u32 v5, v5, 24
	v_mul_hi_u32 v15, v4, 24
	v_mul_lo_u32 v4, v4, 24
	v_add_nc_u32_e32 v5, v15, v5
	s_waitcnt vmcnt(0)
	v_add_co_u32 v4, vcc_lo, v11, v4
	v_mov_b32_e32 v11, v13
	v_add_co_ci_u32_e32 v5, vcc_lo, v12, v5, vcc_lo
	v_mov_b32_e32 v12, v14
	global_store_dwordx2 v[4:5], v[13:14], off
	s_waitcnt_vscnt null, 0x0
	global_atomic_cmpswap_x2 v[11:12], v6, v[9:12], s[26:27] offset:24 glc
	s_waitcnt vmcnt(0)
	v_cmp_ne_u64_e32 vcc_lo, v[11:12], v[13:14]
	s_and_b32 exec_lo, exec_lo, vcc_lo
	s_cbranch_execz .LBB4_830
; %bb.904:                              ;   in Loop: Header=BB4_831 Depth=1
	s_mov_b32 s4, 0
.LBB4_905:                              ;   Parent Loop BB4_831 Depth=1
                                        ; =>  This Inner Loop Header: Depth=2
	s_sleep 1
	global_store_dwordx2 v[4:5], v[11:12], off
	s_waitcnt_vscnt null, 0x0
	global_atomic_cmpswap_x2 v[13:14], v6, v[9:12], s[26:27] offset:24 glc
	s_waitcnt vmcnt(0)
	v_cmp_eq_u64_e32 vcc_lo, v[13:14], v[11:12]
	v_mov_b32_e32 v11, v13
	v_mov_b32_e32 v12, v14
	s_or_b32 s4, vcc_lo, s4
	s_andn2_b32 exec_lo, exec_lo, s4
	s_cbranch_execnz .LBB4_905
	s_branch .LBB4_830
.LBB4_906:
	s_branch .LBB4_935
.LBB4_907:
                                        ; implicit-def: $vgpr2_vgpr3
	s_cbranch_execz .LBB4_935
; %bb.908:
	v_readfirstlane_b32 s4, v49
	v_mov_b32_e32 v8, 0
	v_mov_b32_e32 v9, 0
	v_cmp_eq_u32_e64 s4, s4, v49
	s_and_saveexec_b32 s5, s4
	s_cbranch_execz .LBB4_914
; %bb.909:
	s_waitcnt vmcnt(0)
	v_mov_b32_e32 v2, 0
	s_mov_b32 s6, exec_lo
	global_load_dwordx2 v[5:6], v2, s[26:27] offset:24 glc dlc
	s_waitcnt vmcnt(0)
	buffer_gl1_inv
	buffer_gl0_inv
	s_clause 0x1
	global_load_dwordx2 v[3:4], v2, s[26:27] offset:40
	global_load_dwordx2 v[7:8], v2, s[26:27]
	s_waitcnt vmcnt(1)
	v_and_b32_e32 v4, v4, v6
	v_and_b32_e32 v3, v3, v5
	v_mul_lo_u32 v4, v4, 24
	v_mul_hi_u32 v9, v3, 24
	v_mul_lo_u32 v3, v3, 24
	v_add_nc_u32_e32 v4, v9, v4
	s_waitcnt vmcnt(0)
	v_add_co_u32 v3, vcc_lo, v7, v3
	v_add_co_ci_u32_e32 v4, vcc_lo, v8, v4, vcc_lo
	global_load_dwordx2 v[3:4], v[3:4], off glc dlc
	s_waitcnt vmcnt(0)
	global_atomic_cmpswap_x2 v[8:9], v2, v[3:6], s[26:27] offset:24 glc
	s_waitcnt vmcnt(0)
	buffer_gl1_inv
	buffer_gl0_inv
	v_cmpx_ne_u64_e64 v[8:9], v[5:6]
	s_cbranch_execz .LBB4_913
; %bb.910:
	s_mov_b32 s7, 0
	.p2align	6
.LBB4_911:                              ; =>This Inner Loop Header: Depth=1
	s_sleep 1
	s_clause 0x1
	global_load_dwordx2 v[3:4], v2, s[26:27] offset:40
	global_load_dwordx2 v[10:11], v2, s[26:27]
	v_mov_b32_e32 v5, v8
	v_mov_b32_e32 v6, v9
	s_waitcnt vmcnt(1)
	v_and_b32_e32 v3, v3, v5
	v_and_b32_e32 v4, v4, v6
	s_waitcnt vmcnt(0)
	v_mad_u64_u32 v[7:8], null, v3, 24, v[10:11]
	v_mov_b32_e32 v3, v8
	v_mad_u64_u32 v[3:4], null, v4, 24, v[3:4]
	v_mov_b32_e32 v8, v3
	global_load_dwordx2 v[3:4], v[7:8], off glc dlc
	s_waitcnt vmcnt(0)
	global_atomic_cmpswap_x2 v[8:9], v2, v[3:6], s[26:27] offset:24 glc
	s_waitcnt vmcnt(0)
	buffer_gl1_inv
	buffer_gl0_inv
	v_cmp_eq_u64_e32 vcc_lo, v[8:9], v[5:6]
	s_or_b32 s7, vcc_lo, s7
	s_andn2_b32 exec_lo, exec_lo, s7
	s_cbranch_execnz .LBB4_911
; %bb.912:
	s_or_b32 exec_lo, exec_lo, s7
.LBB4_913:
	s_or_b32 exec_lo, exec_lo, s6
.LBB4_914:
	s_or_b32 exec_lo, exec_lo, s5
	s_waitcnt vmcnt(0)
	v_mov_b32_e32 v2, 0
	v_readfirstlane_b32 s6, v8
	v_readfirstlane_b32 s7, v9
	s_mov_b32 s5, exec_lo
	s_clause 0x1
	global_load_dwordx2 v[10:11], v2, s[26:27] offset:40
	global_load_dwordx4 v[4:7], v2, s[26:27]
	s_waitcnt vmcnt(1)
	v_readfirstlane_b32 s10, v10
	v_readfirstlane_b32 s11, v11
	s_and_b64 s[10:11], s[6:7], s[10:11]
	s_mul_i32 s16, s11, 24
	s_mul_hi_u32 s17, s10, 24
	s_mul_i32 s18, s10, 24
	s_add_i32 s17, s17, s16
	s_waitcnt vmcnt(0)
	v_add_co_u32 v8, vcc_lo, v4, s18
	v_add_co_ci_u32_e32 v9, vcc_lo, s17, v5, vcc_lo
	s_and_saveexec_b32 s16, s4
	s_cbranch_execz .LBB4_916
; %bb.915:
	v_mov_b32_e32 v10, s5
	v_mov_b32_e32 v11, v2
	;; [unrolled: 1-line block ×4, first 2 shown]
	global_store_dwordx4 v[8:9], v[10:13], off offset:8
.LBB4_916:
	s_or_b32 exec_lo, exec_lo, s16
	s_lshl_b64 s[10:11], s[10:11], 12
	s_mov_b32 s16, 0
	v_add_co_u32 v6, vcc_lo, v6, s10
	v_add_co_ci_u32_e32 v7, vcc_lo, s11, v7, vcc_lo
	s_mov_b32 s17, s16
	v_readfirstlane_b32 s10, v6
	v_add_co_u32 v6, vcc_lo, v6, v48
	s_mov_b32 s18, s16
	s_mov_b32 s19, s16
	v_and_or_b32 v0, 0xffffff1f, v0, 32
	v_mov_b32_e32 v3, v2
	v_readfirstlane_b32 s11, v7
	v_mov_b32_e32 v10, s16
	v_add_co_ci_u32_e32 v7, vcc_lo, 0, v7, vcc_lo
	v_mov_b32_e32 v11, s17
	v_mov_b32_e32 v12, s18
	;; [unrolled: 1-line block ×3, first 2 shown]
	global_store_dwordx4 v48, v[0:3], s[10:11]
	global_store_dwordx4 v48, v[10:13], s[10:11] offset:16
	global_store_dwordx4 v48, v[10:13], s[10:11] offset:32
	;; [unrolled: 1-line block ×3, first 2 shown]
	s_and_saveexec_b32 s5, s4
	s_cbranch_execz .LBB4_924
; %bb.917:
	v_mov_b32_e32 v10, 0
	v_mov_b32_e32 v11, s6
	;; [unrolled: 1-line block ×3, first 2 shown]
	s_clause 0x1
	global_load_dwordx2 v[13:14], v10, s[26:27] offset:32 glc dlc
	global_load_dwordx2 v[0:1], v10, s[26:27] offset:40
	s_waitcnt vmcnt(0)
	v_readfirstlane_b32 s10, v0
	v_readfirstlane_b32 s11, v1
	s_and_b64 s[10:11], s[10:11], s[6:7]
	s_mul_i32 s11, s11, 24
	s_mul_hi_u32 s16, s10, 24
	s_mul_i32 s10, s10, 24
	s_add_i32 s16, s16, s11
	v_add_co_u32 v4, vcc_lo, v4, s10
	v_add_co_ci_u32_e32 v5, vcc_lo, s16, v5, vcc_lo
	s_mov_b32 s10, exec_lo
	global_store_dwordx2 v[4:5], v[13:14], off
	s_waitcnt_vscnt null, 0x0
	global_atomic_cmpswap_x2 v[2:3], v10, v[11:14], s[26:27] offset:32 glc
	s_waitcnt vmcnt(0)
	v_cmpx_ne_u64_e64 v[2:3], v[13:14]
	s_cbranch_execz .LBB4_920
; %bb.918:
	s_mov_b32 s11, 0
.LBB4_919:                              ; =>This Inner Loop Header: Depth=1
	v_mov_b32_e32 v0, s6
	v_mov_b32_e32 v1, s7
	s_sleep 1
	global_store_dwordx2 v[4:5], v[2:3], off
	s_waitcnt_vscnt null, 0x0
	global_atomic_cmpswap_x2 v[0:1], v10, v[0:3], s[26:27] offset:32 glc
	s_waitcnt vmcnt(0)
	v_cmp_eq_u64_e32 vcc_lo, v[0:1], v[2:3]
	v_mov_b32_e32 v3, v1
	v_mov_b32_e32 v2, v0
	s_or_b32 s11, vcc_lo, s11
	s_andn2_b32 exec_lo, exec_lo, s11
	s_cbranch_execnz .LBB4_919
.LBB4_920:
	s_or_b32 exec_lo, exec_lo, s10
	v_mov_b32_e32 v3, 0
	s_mov_b32 s11, exec_lo
	s_mov_b32 s10, exec_lo
	v_mbcnt_lo_u32_b32 v2, s11, 0
	global_load_dwordx2 v[0:1], v3, s[26:27] offset:16
	v_cmpx_eq_u32_e32 0, v2
	s_cbranch_execz .LBB4_922
; %bb.921:
	s_bcnt1_i32_b32 s11, s11
	v_mov_b32_e32 v2, s11
	s_waitcnt vmcnt(0)
	global_atomic_add_x2 v[0:1], v[2:3], off offset:8
.LBB4_922:
	s_or_b32 exec_lo, exec_lo, s10
	s_waitcnt vmcnt(0)
	global_load_dwordx2 v[2:3], v[0:1], off offset:16
	s_waitcnt vmcnt(0)
	v_cmp_eq_u64_e32 vcc_lo, 0, v[2:3]
	s_cbranch_vccnz .LBB4_924
; %bb.923:
	global_load_dword v0, v[0:1], off offset:24
	v_mov_b32_e32 v1, 0
	s_waitcnt vmcnt(0)
	v_and_b32_e32 v4, 0x7fffff, v0
	s_waitcnt_vscnt null, 0x0
	global_store_dwordx2 v[2:3], v[0:1], off
	v_readfirstlane_b32 m0, v4
	s_sendmsg sendmsg(MSG_INTERRUPT)
.LBB4_924:
	s_or_b32 exec_lo, exec_lo, s5
	s_branch .LBB4_928
	.p2align	6
.LBB4_925:                              ;   in Loop: Header=BB4_928 Depth=1
	s_or_b32 exec_lo, exec_lo, s5
	v_readfirstlane_b32 s5, v0
	s_cmp_eq_u32 s5, 0
	s_cbranch_scc1 .LBB4_927
; %bb.926:                              ;   in Loop: Header=BB4_928 Depth=1
	s_sleep 1
	s_cbranch_execnz .LBB4_928
	s_branch .LBB4_930
	.p2align	6
.LBB4_927:
	s_branch .LBB4_930
.LBB4_928:                              ; =>This Inner Loop Header: Depth=1
	v_mov_b32_e32 v0, 1
	s_and_saveexec_b32 s5, s4
	s_cbranch_execz .LBB4_925
; %bb.929:                              ;   in Loop: Header=BB4_928 Depth=1
	global_load_dword v0, v[8:9], off offset:20 glc dlc
	s_waitcnt vmcnt(0)
	buffer_gl1_inv
	buffer_gl0_inv
	v_and_b32_e32 v0, 1, v0
	s_branch .LBB4_925
.LBB4_930:
	global_load_dwordx2 v[2:3], v[6:7], off
	s_and_saveexec_b32 s5, s4
	s_cbranch_execz .LBB4_934
; %bb.931:
	v_mov_b32_e32 v8, 0
	s_clause 0x2
	global_load_dwordx2 v[0:1], v8, s[26:27] offset:40
	global_load_dwordx2 v[9:10], v8, s[26:27] offset:24 glc dlc
	global_load_dwordx2 v[6:7], v8, s[26:27]
	s_waitcnt vmcnt(2)
	v_add_co_u32 v11, vcc_lo, v0, 1
	v_add_co_ci_u32_e32 v12, vcc_lo, 0, v1, vcc_lo
	v_add_co_u32 v4, vcc_lo, v11, s6
	v_add_co_ci_u32_e32 v5, vcc_lo, s7, v12, vcc_lo
	v_cmp_eq_u64_e32 vcc_lo, 0, v[4:5]
	v_cndmask_b32_e32 v5, v5, v12, vcc_lo
	v_cndmask_b32_e32 v4, v4, v11, vcc_lo
	v_and_b32_e32 v1, v5, v1
	v_and_b32_e32 v0, v4, v0
	v_mul_lo_u32 v1, v1, 24
	v_mul_hi_u32 v11, v0, 24
	v_mul_lo_u32 v0, v0, 24
	v_add_nc_u32_e32 v1, v11, v1
	s_waitcnt vmcnt(0)
	v_add_co_u32 v0, vcc_lo, v6, v0
	v_mov_b32_e32 v6, v9
	v_add_co_ci_u32_e32 v1, vcc_lo, v7, v1, vcc_lo
	v_mov_b32_e32 v7, v10
	global_store_dwordx2 v[0:1], v[9:10], off
	s_waitcnt_vscnt null, 0x0
	global_atomic_cmpswap_x2 v[6:7], v8, v[4:7], s[26:27] offset:24 glc
	s_waitcnt vmcnt(0)
	v_cmp_ne_u64_e32 vcc_lo, v[6:7], v[9:10]
	s_and_b32 exec_lo, exec_lo, vcc_lo
	s_cbranch_execz .LBB4_934
; %bb.932:
	s_mov_b32 s4, 0
.LBB4_933:                              ; =>This Inner Loop Header: Depth=1
	s_sleep 1
	global_store_dwordx2 v[0:1], v[6:7], off
	s_waitcnt_vscnt null, 0x0
	global_atomic_cmpswap_x2 v[9:10], v8, v[4:7], s[26:27] offset:24 glc
	s_waitcnt vmcnt(0)
	v_cmp_eq_u64_e32 vcc_lo, v[9:10], v[6:7]
	v_mov_b32_e32 v6, v9
	v_mov_b32_e32 v7, v10
	s_or_b32 s4, vcc_lo, s4
	s_andn2_b32 exec_lo, exec_lo, s4
	s_cbranch_execnz .LBB4_933
.LBB4_934:
	s_or_b32 exec_lo, exec_lo, s5
.LBB4_935:
	v_readfirstlane_b32 s4, v49
	s_waitcnt vmcnt(0)
	v_mov_b32_e32 v0, 0
	v_mov_b32_e32 v1, 0
	v_cmp_eq_u32_e64 s4, s4, v49
	s_and_saveexec_b32 s5, s4
	s_cbranch_execz .LBB4_941
; %bb.936:
	v_mov_b32_e32 v4, 0
	s_mov_b32 s6, exec_lo
	global_load_dwordx2 v[7:8], v4, s[26:27] offset:24 glc dlc
	s_waitcnt vmcnt(0)
	buffer_gl1_inv
	buffer_gl0_inv
	s_clause 0x1
	global_load_dwordx2 v[0:1], v4, s[26:27] offset:40
	global_load_dwordx2 v[5:6], v4, s[26:27]
	s_waitcnt vmcnt(1)
	v_and_b32_e32 v1, v1, v8
	v_and_b32_e32 v0, v0, v7
	v_mul_lo_u32 v1, v1, 24
	v_mul_hi_u32 v9, v0, 24
	v_mul_lo_u32 v0, v0, 24
	v_add_nc_u32_e32 v1, v9, v1
	s_waitcnt vmcnt(0)
	v_add_co_u32 v0, vcc_lo, v5, v0
	v_add_co_ci_u32_e32 v1, vcc_lo, v6, v1, vcc_lo
	global_load_dwordx2 v[5:6], v[0:1], off glc dlc
	s_waitcnt vmcnt(0)
	global_atomic_cmpswap_x2 v[0:1], v4, v[5:8], s[26:27] offset:24 glc
	s_waitcnt vmcnt(0)
	buffer_gl1_inv
	buffer_gl0_inv
	v_cmpx_ne_u64_e64 v[0:1], v[7:8]
	s_cbranch_execz .LBB4_940
; %bb.937:
	s_mov_b32 s7, 0
	.p2align	6
.LBB4_938:                              ; =>This Inner Loop Header: Depth=1
	s_sleep 1
	s_clause 0x1
	global_load_dwordx2 v[5:6], v4, s[26:27] offset:40
	global_load_dwordx2 v[9:10], v4, s[26:27]
	v_mov_b32_e32 v8, v1
	v_mov_b32_e32 v7, v0
	s_waitcnt vmcnt(1)
	v_and_b32_e32 v0, v5, v7
	v_and_b32_e32 v5, v6, v8
	s_waitcnt vmcnt(0)
	v_mad_u64_u32 v[0:1], null, v0, 24, v[9:10]
	v_mad_u64_u32 v[5:6], null, v5, 24, v[1:2]
	v_mov_b32_e32 v1, v5
	global_load_dwordx2 v[5:6], v[0:1], off glc dlc
	s_waitcnt vmcnt(0)
	global_atomic_cmpswap_x2 v[0:1], v4, v[5:8], s[26:27] offset:24 glc
	s_waitcnt vmcnt(0)
	buffer_gl1_inv
	buffer_gl0_inv
	v_cmp_eq_u64_e32 vcc_lo, v[0:1], v[7:8]
	s_or_b32 s7, vcc_lo, s7
	s_andn2_b32 exec_lo, exec_lo, s7
	s_cbranch_execnz .LBB4_938
; %bb.939:
	s_or_b32 exec_lo, exec_lo, s7
.LBB4_940:
	s_or_b32 exec_lo, exec_lo, s6
.LBB4_941:
	s_or_b32 exec_lo, exec_lo, s5
	v_mov_b32_e32 v5, 0
	v_readfirstlane_b32 s6, v0
	v_readfirstlane_b32 s7, v1
	s_mov_b32 s5, exec_lo
	s_clause 0x1
	global_load_dwordx2 v[10:11], v5, s[26:27] offset:40
	global_load_dwordx4 v[6:9], v5, s[26:27]
	s_waitcnt vmcnt(1)
	v_readfirstlane_b32 s10, v10
	v_readfirstlane_b32 s11, v11
	s_and_b64 s[10:11], s[6:7], s[10:11]
	s_mul_i32 s16, s11, 24
	s_mul_hi_u32 s17, s10, 24
	s_mul_i32 s18, s10, 24
	s_add_i32 s17, s17, s16
	s_waitcnt vmcnt(0)
	v_add_co_u32 v10, vcc_lo, v6, s18
	v_add_co_ci_u32_e32 v11, vcc_lo, s17, v7, vcc_lo
	s_and_saveexec_b32 s16, s4
	s_cbranch_execz .LBB4_943
; %bb.942:
	v_mov_b32_e32 v4, s5
	v_mov_b32_e32 v13, v5
	;; [unrolled: 1-line block ×5, first 2 shown]
	global_store_dwordx4 v[10:11], v[12:15], off offset:8
.LBB4_943:
	s_or_b32 exec_lo, exec_lo, s16
	s_lshl_b64 s[10:11], s[10:11], 12
	s_mov_b32 s16, 0
	v_add_co_u32 v0, vcc_lo, v8, s10
	v_add_co_ci_u32_e32 v1, vcc_lo, s11, v9, vcc_lo
	s_mov_b32 s17, s16
	s_mov_b32 s18, s16
	;; [unrolled: 1-line block ×3, first 2 shown]
	v_and_or_b32 v2, 0xffffff1d, v2, 34
	v_mov_b32_e32 v4, 0x318
	v_readfirstlane_b32 s10, v0
	v_readfirstlane_b32 s11, v1
	v_mov_b32_e32 v12, s16
	v_mov_b32_e32 v13, s17
	;; [unrolled: 1-line block ×4, first 2 shown]
	global_store_dwordx4 v48, v[2:5], s[10:11]
	global_store_dwordx4 v48, v[12:15], s[10:11] offset:16
	global_store_dwordx4 v48, v[12:15], s[10:11] offset:32
	;; [unrolled: 1-line block ×3, first 2 shown]
	s_and_saveexec_b32 s5, s4
	s_cbranch_execz .LBB4_951
; %bb.944:
	v_mov_b32_e32 v8, 0
	v_mov_b32_e32 v12, s6
	;; [unrolled: 1-line block ×3, first 2 shown]
	s_clause 0x1
	global_load_dwordx2 v[14:15], v8, s[26:27] offset:32 glc dlc
	global_load_dwordx2 v[0:1], v8, s[26:27] offset:40
	s_waitcnt vmcnt(0)
	v_readfirstlane_b32 s10, v0
	v_readfirstlane_b32 s11, v1
	s_and_b64 s[10:11], s[10:11], s[6:7]
	s_mul_i32 s11, s11, 24
	s_mul_hi_u32 s16, s10, 24
	s_mul_i32 s10, s10, 24
	s_add_i32 s16, s16, s11
	v_add_co_u32 v4, vcc_lo, v6, s10
	v_add_co_ci_u32_e32 v5, vcc_lo, s16, v7, vcc_lo
	s_mov_b32 s10, exec_lo
	global_store_dwordx2 v[4:5], v[14:15], off
	s_waitcnt_vscnt null, 0x0
	global_atomic_cmpswap_x2 v[2:3], v8, v[12:15], s[26:27] offset:32 glc
	s_waitcnt vmcnt(0)
	v_cmpx_ne_u64_e64 v[2:3], v[14:15]
	s_cbranch_execz .LBB4_947
; %bb.945:
	s_mov_b32 s11, 0
.LBB4_946:                              ; =>This Inner Loop Header: Depth=1
	v_mov_b32_e32 v0, s6
	v_mov_b32_e32 v1, s7
	s_sleep 1
	global_store_dwordx2 v[4:5], v[2:3], off
	s_waitcnt_vscnt null, 0x0
	global_atomic_cmpswap_x2 v[0:1], v8, v[0:3], s[26:27] offset:32 glc
	s_waitcnt vmcnt(0)
	v_cmp_eq_u64_e32 vcc_lo, v[0:1], v[2:3]
	v_mov_b32_e32 v3, v1
	v_mov_b32_e32 v2, v0
	s_or_b32 s11, vcc_lo, s11
	s_andn2_b32 exec_lo, exec_lo, s11
	s_cbranch_execnz .LBB4_946
.LBB4_947:
	s_or_b32 exec_lo, exec_lo, s10
	v_mov_b32_e32 v3, 0
	s_mov_b32 s11, exec_lo
	s_mov_b32 s10, exec_lo
	v_mbcnt_lo_u32_b32 v2, s11, 0
	global_load_dwordx2 v[0:1], v3, s[26:27] offset:16
	v_cmpx_eq_u32_e32 0, v2
	s_cbranch_execz .LBB4_949
; %bb.948:
	s_bcnt1_i32_b32 s11, s11
	v_mov_b32_e32 v2, s11
	s_waitcnt vmcnt(0)
	global_atomic_add_x2 v[0:1], v[2:3], off offset:8
.LBB4_949:
	s_or_b32 exec_lo, exec_lo, s10
	s_waitcnt vmcnt(0)
	global_load_dwordx2 v[2:3], v[0:1], off offset:16
	s_waitcnt vmcnt(0)
	v_cmp_eq_u64_e32 vcc_lo, 0, v[2:3]
	s_cbranch_vccnz .LBB4_951
; %bb.950:
	global_load_dword v0, v[0:1], off offset:24
	v_mov_b32_e32 v1, 0
	s_waitcnt vmcnt(0)
	v_and_b32_e32 v4, 0x7fffff, v0
	s_waitcnt_vscnt null, 0x0
	global_store_dwordx2 v[2:3], v[0:1], off
	v_readfirstlane_b32 m0, v4
	s_sendmsg sendmsg(MSG_INTERRUPT)
.LBB4_951:
	s_or_b32 exec_lo, exec_lo, s5
	s_branch .LBB4_955
	.p2align	6
.LBB4_952:                              ;   in Loop: Header=BB4_955 Depth=1
	s_or_b32 exec_lo, exec_lo, s5
	v_readfirstlane_b32 s5, v0
	s_cmp_eq_u32 s5, 0
	s_cbranch_scc1 .LBB4_954
; %bb.953:                              ;   in Loop: Header=BB4_955 Depth=1
	s_sleep 1
	s_cbranch_execnz .LBB4_955
	s_branch .LBB4_957
	.p2align	6
.LBB4_954:
	s_branch .LBB4_957
.LBB4_955:                              ; =>This Inner Loop Header: Depth=1
	v_mov_b32_e32 v0, 1
	s_and_saveexec_b32 s5, s4
	s_cbranch_execz .LBB4_952
; %bb.956:                              ;   in Loop: Header=BB4_955 Depth=1
	global_load_dword v0, v[10:11], off offset:20 glc dlc
	s_waitcnt vmcnt(0)
	buffer_gl1_inv
	buffer_gl0_inv
	v_and_b32_e32 v0, 1, v0
	s_branch .LBB4_952
.LBB4_957:
	s_and_saveexec_b32 s5, s4
	s_cbranch_execz .LBB4_961
; %bb.958:
	v_mov_b32_e32 v6, 0
	s_clause 0x2
	global_load_dwordx2 v[2:3], v6, s[26:27] offset:40
	global_load_dwordx2 v[7:8], v6, s[26:27] offset:24 glc dlc
	global_load_dwordx2 v[4:5], v6, s[26:27]
	s_waitcnt vmcnt(2)
	v_add_co_u32 v9, vcc_lo, v2, 1
	v_add_co_ci_u32_e32 v10, vcc_lo, 0, v3, vcc_lo
	v_add_co_u32 v0, vcc_lo, v9, s6
	v_add_co_ci_u32_e32 v1, vcc_lo, s7, v10, vcc_lo
	v_cmp_eq_u64_e32 vcc_lo, 0, v[0:1]
	v_cndmask_b32_e32 v1, v1, v10, vcc_lo
	v_cndmask_b32_e32 v0, v0, v9, vcc_lo
	v_and_b32_e32 v3, v1, v3
	v_and_b32_e32 v2, v0, v2
	v_mul_lo_u32 v3, v3, 24
	v_mul_hi_u32 v9, v2, 24
	v_mul_lo_u32 v2, v2, 24
	v_add_nc_u32_e32 v3, v9, v3
	s_waitcnt vmcnt(0)
	v_add_co_u32 v4, vcc_lo, v4, v2
	v_mov_b32_e32 v2, v7
	v_add_co_ci_u32_e32 v5, vcc_lo, v5, v3, vcc_lo
	v_mov_b32_e32 v3, v8
	global_store_dwordx2 v[4:5], v[7:8], off
	s_waitcnt_vscnt null, 0x0
	global_atomic_cmpswap_x2 v[2:3], v6, v[0:3], s[26:27] offset:24 glc
	s_waitcnt vmcnt(0)
	v_cmp_ne_u64_e32 vcc_lo, v[2:3], v[7:8]
	s_and_b32 exec_lo, exec_lo, vcc_lo
	s_cbranch_execz .LBB4_961
; %bb.959:
	s_mov_b32 s4, 0
.LBB4_960:                              ; =>This Inner Loop Header: Depth=1
	s_sleep 1
	global_store_dwordx2 v[4:5], v[2:3], off
	s_waitcnt_vscnt null, 0x0
	global_atomic_cmpswap_x2 v[7:8], v6, v[0:3], s[26:27] offset:24 glc
	s_waitcnt vmcnt(0)
	v_cmp_eq_u64_e32 vcc_lo, v[7:8], v[2:3]
	v_mov_b32_e32 v2, v7
	v_mov_b32_e32 v3, v8
	s_or_b32 s4, vcc_lo, s4
	s_andn2_b32 exec_lo, exec_lo, s4
	s_cbranch_execnz .LBB4_960
.LBB4_961:
	s_or_b32 exec_lo, exec_lo, s5
	v_readfirstlane_b32 s4, v49
	v_mov_b32_e32 v6, 0
	v_mov_b32_e32 v7, 0
	v_cmp_eq_u32_e64 s4, s4, v49
	s_and_saveexec_b32 s5, s4
	s_cbranch_execz .LBB4_967
; %bb.962:
	v_mov_b32_e32 v0, 0
	s_mov_b32 s6, exec_lo
	global_load_dwordx2 v[3:4], v0, s[26:27] offset:24 glc dlc
	s_waitcnt vmcnt(0)
	buffer_gl1_inv
	buffer_gl0_inv
	s_clause 0x1
	global_load_dwordx2 v[1:2], v0, s[26:27] offset:40
	global_load_dwordx2 v[5:6], v0, s[26:27]
	s_waitcnt vmcnt(1)
	v_and_b32_e32 v2, v2, v4
	v_and_b32_e32 v1, v1, v3
	v_mul_lo_u32 v2, v2, 24
	v_mul_hi_u32 v7, v1, 24
	v_mul_lo_u32 v1, v1, 24
	v_add_nc_u32_e32 v2, v7, v2
	s_waitcnt vmcnt(0)
	v_add_co_u32 v1, vcc_lo, v5, v1
	v_add_co_ci_u32_e32 v2, vcc_lo, v6, v2, vcc_lo
	global_load_dwordx2 v[1:2], v[1:2], off glc dlc
	s_waitcnt vmcnt(0)
	global_atomic_cmpswap_x2 v[6:7], v0, v[1:4], s[26:27] offset:24 glc
	s_waitcnt vmcnt(0)
	buffer_gl1_inv
	buffer_gl0_inv
	v_cmpx_ne_u64_e64 v[6:7], v[3:4]
	s_cbranch_execz .LBB4_966
; %bb.963:
	s_mov_b32 s7, 0
	.p2align	6
.LBB4_964:                              ; =>This Inner Loop Header: Depth=1
	s_sleep 1
	s_clause 0x1
	global_load_dwordx2 v[1:2], v0, s[26:27] offset:40
	global_load_dwordx2 v[8:9], v0, s[26:27]
	v_mov_b32_e32 v3, v6
	v_mov_b32_e32 v4, v7
	s_waitcnt vmcnt(1)
	v_and_b32_e32 v1, v1, v3
	v_and_b32_e32 v2, v2, v4
	s_waitcnt vmcnt(0)
	v_mad_u64_u32 v[5:6], null, v1, 24, v[8:9]
	v_mov_b32_e32 v1, v6
	v_mad_u64_u32 v[1:2], null, v2, 24, v[1:2]
	v_mov_b32_e32 v6, v1
	global_load_dwordx2 v[1:2], v[5:6], off glc dlc
	s_waitcnt vmcnt(0)
	global_atomic_cmpswap_x2 v[6:7], v0, v[1:4], s[26:27] offset:24 glc
	s_waitcnt vmcnt(0)
	buffer_gl1_inv
	buffer_gl0_inv
	v_cmp_eq_u64_e32 vcc_lo, v[6:7], v[3:4]
	s_or_b32 s7, vcc_lo, s7
	s_andn2_b32 exec_lo, exec_lo, s7
	s_cbranch_execnz .LBB4_964
; %bb.965:
	s_or_b32 exec_lo, exec_lo, s7
.LBB4_966:
	s_or_b32 exec_lo, exec_lo, s6
.LBB4_967:
	s_or_b32 exec_lo, exec_lo, s5
	v_mov_b32_e32 v5, 0
	v_readfirstlane_b32 s6, v6
	v_readfirstlane_b32 s7, v7
	s_mov_b32 s5, exec_lo
	s_clause 0x1
	global_load_dwordx2 v[8:9], v5, s[26:27] offset:40
	global_load_dwordx4 v[0:3], v5, s[26:27]
	s_waitcnt vmcnt(1)
	v_readfirstlane_b32 s10, v8
	v_readfirstlane_b32 s11, v9
	s_and_b64 s[10:11], s[6:7], s[10:11]
	s_mul_i32 s16, s11, 24
	s_mul_hi_u32 s17, s10, 24
	s_mul_i32 s18, s10, 24
	s_add_i32 s17, s17, s16
	s_waitcnt vmcnt(0)
	v_add_co_u32 v8, vcc_lo, v0, s18
	v_add_co_ci_u32_e32 v9, vcc_lo, s17, v1, vcc_lo
	s_and_saveexec_b32 s16, s4
	s_cbranch_execz .LBB4_969
; %bb.968:
	v_mov_b32_e32 v4, s5
	v_mov_b32_e32 v6, 2
	;; [unrolled: 1-line block ×3, first 2 shown]
	global_store_dwordx4 v[8:9], v[4:7], off offset:8
.LBB4_969:
	s_or_b32 exec_lo, exec_lo, s16
	s_lshl_b64 s[10:11], s[10:11], 12
	s_mov_b32 s16, 0
	v_add_co_u32 v2, vcc_lo, v2, s10
	v_add_co_ci_u32_e32 v3, vcc_lo, s11, v3, vcc_lo
	s_mov_b32 s17, s16
	v_add_co_u32 v10, vcc_lo, v2, v48
	s_mov_b32 s18, s16
	s_mov_b32 s19, s16
	v_mov_b32_e32 v4, 33
	v_mov_b32_e32 v6, v5
	v_mov_b32_e32 v7, v5
	v_readfirstlane_b32 s10, v2
	v_readfirstlane_b32 s11, v3
	v_mov_b32_e32 v12, s16
	v_add_co_ci_u32_e32 v11, vcc_lo, 0, v3, vcc_lo
	v_mov_b32_e32 v13, s17
	v_mov_b32_e32 v14, s18
	;; [unrolled: 1-line block ×3, first 2 shown]
	global_store_dwordx4 v48, v[4:7], s[10:11]
	global_store_dwordx4 v48, v[12:15], s[10:11] offset:16
	global_store_dwordx4 v48, v[12:15], s[10:11] offset:32
	;; [unrolled: 1-line block ×3, first 2 shown]
	s_and_saveexec_b32 s5, s4
	s_cbranch_execz .LBB4_977
; %bb.970:
	v_mov_b32_e32 v6, 0
	v_mov_b32_e32 v12, s6
	;; [unrolled: 1-line block ×3, first 2 shown]
	s_clause 0x1
	global_load_dwordx2 v[14:15], v6, s[26:27] offset:32 glc dlc
	global_load_dwordx2 v[2:3], v6, s[26:27] offset:40
	s_waitcnt vmcnt(0)
	v_readfirstlane_b32 s10, v2
	v_readfirstlane_b32 s11, v3
	s_and_b64 s[10:11], s[10:11], s[6:7]
	s_mul_i32 s11, s11, 24
	s_mul_hi_u32 s16, s10, 24
	s_mul_i32 s10, s10, 24
	s_add_i32 s16, s16, s11
	v_add_co_u32 v4, vcc_lo, v0, s10
	v_add_co_ci_u32_e32 v5, vcc_lo, s16, v1, vcc_lo
	s_mov_b32 s10, exec_lo
	global_store_dwordx2 v[4:5], v[14:15], off
	s_waitcnt_vscnt null, 0x0
	global_atomic_cmpswap_x2 v[2:3], v6, v[12:15], s[26:27] offset:32 glc
	s_waitcnt vmcnt(0)
	v_cmpx_ne_u64_e64 v[2:3], v[14:15]
	s_cbranch_execz .LBB4_973
; %bb.971:
	s_mov_b32 s11, 0
.LBB4_972:                              ; =>This Inner Loop Header: Depth=1
	v_mov_b32_e32 v0, s6
	v_mov_b32_e32 v1, s7
	s_sleep 1
	global_store_dwordx2 v[4:5], v[2:3], off
	s_waitcnt_vscnt null, 0x0
	global_atomic_cmpswap_x2 v[0:1], v6, v[0:3], s[26:27] offset:32 glc
	s_waitcnt vmcnt(0)
	v_cmp_eq_u64_e32 vcc_lo, v[0:1], v[2:3]
	v_mov_b32_e32 v3, v1
	v_mov_b32_e32 v2, v0
	s_or_b32 s11, vcc_lo, s11
	s_andn2_b32 exec_lo, exec_lo, s11
	s_cbranch_execnz .LBB4_972
.LBB4_973:
	s_or_b32 exec_lo, exec_lo, s10
	v_mov_b32_e32 v3, 0
	s_mov_b32 s11, exec_lo
	s_mov_b32 s10, exec_lo
	v_mbcnt_lo_u32_b32 v2, s11, 0
	global_load_dwordx2 v[0:1], v3, s[26:27] offset:16
	v_cmpx_eq_u32_e32 0, v2
	s_cbranch_execz .LBB4_975
; %bb.974:
	s_bcnt1_i32_b32 s11, s11
	v_mov_b32_e32 v2, s11
	s_waitcnt vmcnt(0)
	global_atomic_add_x2 v[0:1], v[2:3], off offset:8
.LBB4_975:
	s_or_b32 exec_lo, exec_lo, s10
	s_waitcnt vmcnt(0)
	global_load_dwordx2 v[2:3], v[0:1], off offset:16
	s_waitcnt vmcnt(0)
	v_cmp_eq_u64_e32 vcc_lo, 0, v[2:3]
	s_cbranch_vccnz .LBB4_977
; %bb.976:
	global_load_dword v0, v[0:1], off offset:24
	v_mov_b32_e32 v1, 0
	s_waitcnt vmcnt(0)
	v_and_b32_e32 v4, 0x7fffff, v0
	s_waitcnt_vscnt null, 0x0
	global_store_dwordx2 v[2:3], v[0:1], off
	v_readfirstlane_b32 m0, v4
	s_sendmsg sendmsg(MSG_INTERRUPT)
.LBB4_977:
	s_or_b32 exec_lo, exec_lo, s5
	s_branch .LBB4_981
	.p2align	6
.LBB4_978:                              ;   in Loop: Header=BB4_981 Depth=1
	s_or_b32 exec_lo, exec_lo, s5
	v_readfirstlane_b32 s5, v0
	s_cmp_eq_u32 s5, 0
	s_cbranch_scc1 .LBB4_980
; %bb.979:                              ;   in Loop: Header=BB4_981 Depth=1
	s_sleep 1
	s_cbranch_execnz .LBB4_981
	s_branch .LBB4_983
	.p2align	6
.LBB4_980:
	s_branch .LBB4_983
.LBB4_981:                              ; =>This Inner Loop Header: Depth=1
	v_mov_b32_e32 v0, 1
	s_and_saveexec_b32 s5, s4
	s_cbranch_execz .LBB4_978
; %bb.982:                              ;   in Loop: Header=BB4_981 Depth=1
	global_load_dword v0, v[8:9], off offset:20 glc dlc
	s_waitcnt vmcnt(0)
	buffer_gl1_inv
	buffer_gl0_inv
	v_and_b32_e32 v0, 1, v0
	s_branch .LBB4_978
.LBB4_983:
	global_load_dwordx2 v[0:1], v[10:11], off
	s_and_saveexec_b32 s5, s4
	s_cbranch_execz .LBB4_987
; %bb.984:
	v_mov_b32_e32 v8, 0
	s_clause 0x2
	global_load_dwordx2 v[4:5], v8, s[26:27] offset:40
	global_load_dwordx2 v[9:10], v8, s[26:27] offset:24 glc dlc
	global_load_dwordx2 v[6:7], v8, s[26:27]
	s_waitcnt vmcnt(2)
	v_add_co_u32 v11, vcc_lo, v4, 1
	v_add_co_ci_u32_e32 v12, vcc_lo, 0, v5, vcc_lo
	v_add_co_u32 v2, vcc_lo, v11, s6
	v_add_co_ci_u32_e32 v3, vcc_lo, s7, v12, vcc_lo
	v_cmp_eq_u64_e32 vcc_lo, 0, v[2:3]
	v_cndmask_b32_e32 v3, v3, v12, vcc_lo
	v_cndmask_b32_e32 v2, v2, v11, vcc_lo
	v_and_b32_e32 v5, v3, v5
	v_and_b32_e32 v4, v2, v4
	v_mul_lo_u32 v5, v5, 24
	v_mul_hi_u32 v11, v4, 24
	v_mul_lo_u32 v4, v4, 24
	v_add_nc_u32_e32 v5, v11, v5
	s_waitcnt vmcnt(0)
	v_add_co_u32 v6, vcc_lo, v6, v4
	v_mov_b32_e32 v4, v9
	v_add_co_ci_u32_e32 v7, vcc_lo, v7, v5, vcc_lo
	v_mov_b32_e32 v5, v10
	global_store_dwordx2 v[6:7], v[9:10], off
	s_waitcnt_vscnt null, 0x0
	global_atomic_cmpswap_x2 v[4:5], v8, v[2:5], s[26:27] offset:24 glc
	s_waitcnt vmcnt(0)
	v_cmp_ne_u64_e32 vcc_lo, v[4:5], v[9:10]
	s_and_b32 exec_lo, exec_lo, vcc_lo
	s_cbranch_execz .LBB4_987
; %bb.985:
	s_mov_b32 s4, 0
.LBB4_986:                              ; =>This Inner Loop Header: Depth=1
	s_sleep 1
	global_store_dwordx2 v[6:7], v[4:5], off
	s_waitcnt_vscnt null, 0x0
	global_atomic_cmpswap_x2 v[9:10], v8, v[2:5], s[26:27] offset:24 glc
	s_waitcnt vmcnt(0)
	v_cmp_eq_u64_e32 vcc_lo, v[9:10], v[4:5]
	v_mov_b32_e32 v4, v9
	v_mov_b32_e32 v5, v10
	s_or_b32 s4, vcc_lo, s4
	s_andn2_b32 exec_lo, exec_lo, s4
	s_cbranch_execnz .LBB4_986
.LBB4_987:
	s_or_b32 exec_lo, exec_lo, s5
	s_and_b32 vcc_lo, exec_lo, s34
	s_cbranch_vccz .LBB4_1066
; %bb.988:
	s_waitcnt vmcnt(0)
	v_and_b32_e32 v31, 2, v0
	v_mov_b32_e32 v6, 0
	v_and_b32_e32 v2, -3, v0
	v_mov_b32_e32 v3, v1
	v_mov_b32_e32 v7, 2
	v_mov_b32_e32 v8, 1
	s_mov_b64 s[10:11], 3
	s_getpc_b64 s[6:7]
	s_add_u32 s6, s6, .str.6@rel32@lo+4
	s_addc_u32 s7, s7, .str.6@rel32@hi+12
	s_branch .LBB4_990
.LBB4_989:                              ;   in Loop: Header=BB4_990 Depth=1
	s_or_b32 exec_lo, exec_lo, s5
	s_sub_u32 s10, s10, s16
	s_subb_u32 s11, s11, s17
	s_add_u32 s6, s6, s16
	s_addc_u32 s7, s7, s17
	s_cmp_lg_u64 s[10:11], 0
	s_cbranch_scc0 .LBB4_1065
.LBB4_990:                              ; =>This Loop Header: Depth=1
                                        ;     Child Loop BB4_999 Depth 2
                                        ;     Child Loop BB4_995 Depth 2
	;; [unrolled: 1-line block ×11, first 2 shown]
	v_cmp_lt_u64_e64 s4, s[10:11], 56
	v_cmp_gt_u64_e64 s5, s[10:11], 7
                                        ; implicit-def: $vgpr11_vgpr12
                                        ; implicit-def: $sgpr22
	s_and_b32 s4, s4, exec_lo
	s_cselect_b32 s17, s11, 0
	s_cselect_b32 s16, s10, 56
	s_and_b32 vcc_lo, exec_lo, s5
	s_mov_b32 s4, -1
	s_cbranch_vccz .LBB4_997
; %bb.991:                              ;   in Loop: Header=BB4_990 Depth=1
	s_andn2_b32 vcc_lo, exec_lo, s4
	s_mov_b64 s[4:5], s[6:7]
	s_cbranch_vccz .LBB4_1001
.LBB4_992:                              ;   in Loop: Header=BB4_990 Depth=1
	s_cmp_gt_u32 s22, 7
	s_cbranch_scc1 .LBB4_1002
.LBB4_993:                              ;   in Loop: Header=BB4_990 Depth=1
	v_mov_b32_e32 v13, 0
	v_mov_b32_e32 v14, 0
	s_cmp_eq_u32 s22, 0
	s_cbranch_scc1 .LBB4_996
; %bb.994:                              ;   in Loop: Header=BB4_990 Depth=1
	s_mov_b64 s[18:19], 0
	s_mov_b64 s[20:21], 0
.LBB4_995:                              ;   Parent Loop BB4_990 Depth=1
                                        ; =>  This Inner Loop Header: Depth=2
	s_add_u32 s24, s4, s20
	s_addc_u32 s25, s5, s21
	s_add_u32 s20, s20, 1
	global_load_ubyte v4, v6, s[24:25]
	s_addc_u32 s21, s21, 0
	s_waitcnt vmcnt(0)
	v_and_b32_e32 v5, 0xffff, v4
	v_lshlrev_b64 v[4:5], s18, v[5:6]
	s_add_u32 s18, s18, 8
	s_addc_u32 s19, s19, 0
	s_cmp_lg_u32 s22, s20
	v_or_b32_e32 v13, v4, v13
	v_or_b32_e32 v14, v5, v14
	s_cbranch_scc1 .LBB4_995
.LBB4_996:                              ;   in Loop: Header=BB4_990 Depth=1
	s_mov_b32 s23, 0
	s_cbranch_execz .LBB4_1003
	s_branch .LBB4_1004
.LBB4_997:                              ;   in Loop: Header=BB4_990 Depth=1
	v_mov_b32_e32 v11, 0
	v_mov_b32_e32 v12, 0
	s_cmp_eq_u64 s[10:11], 0
	s_mov_b64 s[4:5], 0
	s_cbranch_scc1 .LBB4_1000
; %bb.998:                              ;   in Loop: Header=BB4_990 Depth=1
	v_mov_b32_e32 v11, 0
	v_mov_b32_e32 v12, 0
	s_lshl_b64 s[18:19], s[16:17], 3
	s_mov_b64 s[20:21], s[6:7]
.LBB4_999:                              ;   Parent Loop BB4_990 Depth=1
                                        ; =>  This Inner Loop Header: Depth=2
	global_load_ubyte v4, v6, s[20:21]
	s_waitcnt vmcnt(0)
	v_and_b32_e32 v5, 0xffff, v4
	v_lshlrev_b64 v[4:5], s4, v[5:6]
	s_add_u32 s4, s4, 8
	s_addc_u32 s5, s5, 0
	s_add_u32 s20, s20, 1
	s_addc_u32 s21, s21, 0
	s_cmp_lg_u32 s18, s4
	v_or_b32_e32 v11, v4, v11
	v_or_b32_e32 v12, v5, v12
	s_cbranch_scc1 .LBB4_999
.LBB4_1000:                             ;   in Loop: Header=BB4_990 Depth=1
	s_mov_b32 s22, 0
	s_mov_b64 s[4:5], s[6:7]
	s_cbranch_execnz .LBB4_992
.LBB4_1001:                             ;   in Loop: Header=BB4_990 Depth=1
	global_load_dwordx2 v[11:12], v6, s[6:7]
	s_add_i32 s22, s16, -8
	s_add_u32 s4, s6, 8
	s_addc_u32 s5, s7, 0
	s_cmp_gt_u32 s22, 7
	s_cbranch_scc0 .LBB4_993
.LBB4_1002:                             ;   in Loop: Header=BB4_990 Depth=1
                                        ; implicit-def: $vgpr13_vgpr14
                                        ; implicit-def: $sgpr23
.LBB4_1003:                             ;   in Loop: Header=BB4_990 Depth=1
	global_load_dwordx2 v[13:14], v6, s[4:5]
	s_add_i32 s23, s22, -8
	s_add_u32 s4, s4, 8
	s_addc_u32 s5, s5, 0
.LBB4_1004:                             ;   in Loop: Header=BB4_990 Depth=1
	s_cmp_gt_u32 s23, 7
	s_cbranch_scc1 .LBB4_1009
; %bb.1005:                             ;   in Loop: Header=BB4_990 Depth=1
	v_mov_b32_e32 v15, 0
	v_mov_b32_e32 v16, 0
	s_cmp_eq_u32 s23, 0
	s_cbranch_scc1 .LBB4_1008
; %bb.1006:                             ;   in Loop: Header=BB4_990 Depth=1
	s_mov_b64 s[18:19], 0
	s_mov_b64 s[20:21], 0
.LBB4_1007:                             ;   Parent Loop BB4_990 Depth=1
                                        ; =>  This Inner Loop Header: Depth=2
	s_add_u32 s24, s4, s20
	s_addc_u32 s25, s5, s21
	s_add_u32 s20, s20, 1
	global_load_ubyte v4, v6, s[24:25]
	s_addc_u32 s21, s21, 0
	s_waitcnt vmcnt(0)
	v_and_b32_e32 v5, 0xffff, v4
	v_lshlrev_b64 v[4:5], s18, v[5:6]
	s_add_u32 s18, s18, 8
	s_addc_u32 s19, s19, 0
	s_cmp_lg_u32 s23, s20
	v_or_b32_e32 v15, v4, v15
	v_or_b32_e32 v16, v5, v16
	s_cbranch_scc1 .LBB4_1007
.LBB4_1008:                             ;   in Loop: Header=BB4_990 Depth=1
	s_mov_b32 s22, 0
	s_cbranch_execz .LBB4_1010
	s_branch .LBB4_1011
.LBB4_1009:                             ;   in Loop: Header=BB4_990 Depth=1
                                        ; implicit-def: $sgpr22
.LBB4_1010:                             ;   in Loop: Header=BB4_990 Depth=1
	global_load_dwordx2 v[15:16], v6, s[4:5]
	s_add_i32 s22, s23, -8
	s_add_u32 s4, s4, 8
	s_addc_u32 s5, s5, 0
.LBB4_1011:                             ;   in Loop: Header=BB4_990 Depth=1
	s_cmp_gt_u32 s22, 7
	s_cbranch_scc1 .LBB4_1016
; %bb.1012:                             ;   in Loop: Header=BB4_990 Depth=1
	v_mov_b32_e32 v17, 0
	v_mov_b32_e32 v18, 0
	s_cmp_eq_u32 s22, 0
	s_cbranch_scc1 .LBB4_1015
; %bb.1013:                             ;   in Loop: Header=BB4_990 Depth=1
	s_mov_b64 s[18:19], 0
	s_mov_b64 s[20:21], 0
.LBB4_1014:                             ;   Parent Loop BB4_990 Depth=1
                                        ; =>  This Inner Loop Header: Depth=2
	s_add_u32 s24, s4, s20
	s_addc_u32 s25, s5, s21
	s_add_u32 s20, s20, 1
	global_load_ubyte v4, v6, s[24:25]
	s_addc_u32 s21, s21, 0
	s_waitcnt vmcnt(0)
	v_and_b32_e32 v5, 0xffff, v4
	v_lshlrev_b64 v[4:5], s18, v[5:6]
	s_add_u32 s18, s18, 8
	s_addc_u32 s19, s19, 0
	s_cmp_lg_u32 s22, s20
	v_or_b32_e32 v17, v4, v17
	v_or_b32_e32 v18, v5, v18
	s_cbranch_scc1 .LBB4_1014
.LBB4_1015:                             ;   in Loop: Header=BB4_990 Depth=1
	s_mov_b32 s23, 0
	s_cbranch_execz .LBB4_1017
	s_branch .LBB4_1018
.LBB4_1016:                             ;   in Loop: Header=BB4_990 Depth=1
                                        ; implicit-def: $vgpr17_vgpr18
                                        ; implicit-def: $sgpr23
.LBB4_1017:                             ;   in Loop: Header=BB4_990 Depth=1
	global_load_dwordx2 v[17:18], v6, s[4:5]
	s_add_i32 s23, s22, -8
	s_add_u32 s4, s4, 8
	s_addc_u32 s5, s5, 0
.LBB4_1018:                             ;   in Loop: Header=BB4_990 Depth=1
	s_cmp_gt_u32 s23, 7
	s_cbranch_scc1 .LBB4_1023
; %bb.1019:                             ;   in Loop: Header=BB4_990 Depth=1
	v_mov_b32_e32 v19, 0
	v_mov_b32_e32 v20, 0
	s_cmp_eq_u32 s23, 0
	s_cbranch_scc1 .LBB4_1022
; %bb.1020:                             ;   in Loop: Header=BB4_990 Depth=1
	s_mov_b64 s[18:19], 0
	s_mov_b64 s[20:21], 0
.LBB4_1021:                             ;   Parent Loop BB4_990 Depth=1
                                        ; =>  This Inner Loop Header: Depth=2
	s_add_u32 s24, s4, s20
	s_addc_u32 s25, s5, s21
	s_add_u32 s20, s20, 1
	global_load_ubyte v4, v6, s[24:25]
	s_addc_u32 s21, s21, 0
	s_waitcnt vmcnt(0)
	v_and_b32_e32 v5, 0xffff, v4
	v_lshlrev_b64 v[4:5], s18, v[5:6]
	s_add_u32 s18, s18, 8
	s_addc_u32 s19, s19, 0
	s_cmp_lg_u32 s23, s20
	v_or_b32_e32 v19, v4, v19
	v_or_b32_e32 v20, v5, v20
	s_cbranch_scc1 .LBB4_1021
.LBB4_1022:                             ;   in Loop: Header=BB4_990 Depth=1
	s_mov_b32 s22, 0
	s_cbranch_execz .LBB4_1024
	s_branch .LBB4_1025
.LBB4_1023:                             ;   in Loop: Header=BB4_990 Depth=1
                                        ; implicit-def: $sgpr22
.LBB4_1024:                             ;   in Loop: Header=BB4_990 Depth=1
	global_load_dwordx2 v[19:20], v6, s[4:5]
	s_add_i32 s22, s23, -8
	s_add_u32 s4, s4, 8
	s_addc_u32 s5, s5, 0
.LBB4_1025:                             ;   in Loop: Header=BB4_990 Depth=1
	s_cmp_gt_u32 s22, 7
	s_cbranch_scc1 .LBB4_1030
; %bb.1026:                             ;   in Loop: Header=BB4_990 Depth=1
	v_mov_b32_e32 v21, 0
	v_mov_b32_e32 v22, 0
	s_cmp_eq_u32 s22, 0
	s_cbranch_scc1 .LBB4_1029
; %bb.1027:                             ;   in Loop: Header=BB4_990 Depth=1
	s_mov_b64 s[18:19], 0
	s_mov_b64 s[20:21], 0
.LBB4_1028:                             ;   Parent Loop BB4_990 Depth=1
                                        ; =>  This Inner Loop Header: Depth=2
	s_add_u32 s24, s4, s20
	s_addc_u32 s25, s5, s21
	s_add_u32 s20, s20, 1
	global_load_ubyte v4, v6, s[24:25]
	s_addc_u32 s21, s21, 0
	s_waitcnt vmcnt(0)
	v_and_b32_e32 v5, 0xffff, v4
	v_lshlrev_b64 v[4:5], s18, v[5:6]
	s_add_u32 s18, s18, 8
	s_addc_u32 s19, s19, 0
	s_cmp_lg_u32 s22, s20
	v_or_b32_e32 v21, v4, v21
	v_or_b32_e32 v22, v5, v22
	s_cbranch_scc1 .LBB4_1028
.LBB4_1029:                             ;   in Loop: Header=BB4_990 Depth=1
	s_mov_b32 s23, 0
	s_cbranch_execz .LBB4_1031
	s_branch .LBB4_1032
.LBB4_1030:                             ;   in Loop: Header=BB4_990 Depth=1
                                        ; implicit-def: $vgpr21_vgpr22
                                        ; implicit-def: $sgpr23
.LBB4_1031:                             ;   in Loop: Header=BB4_990 Depth=1
	global_load_dwordx2 v[21:22], v6, s[4:5]
	s_add_i32 s23, s22, -8
	s_add_u32 s4, s4, 8
	s_addc_u32 s5, s5, 0
.LBB4_1032:                             ;   in Loop: Header=BB4_990 Depth=1
	s_cmp_gt_u32 s23, 7
	s_cbranch_scc1 .LBB4_1037
; %bb.1033:                             ;   in Loop: Header=BB4_990 Depth=1
	v_mov_b32_e32 v23, 0
	v_mov_b32_e32 v24, 0
	s_cmp_eq_u32 s23, 0
	s_cbranch_scc1 .LBB4_1036
; %bb.1034:                             ;   in Loop: Header=BB4_990 Depth=1
	s_mov_b64 s[18:19], 0
	s_mov_b64 s[20:21], s[4:5]
.LBB4_1035:                             ;   Parent Loop BB4_990 Depth=1
                                        ; =>  This Inner Loop Header: Depth=2
	global_load_ubyte v4, v6, s[20:21]
	s_add_i32 s23, s23, -1
	s_waitcnt vmcnt(0)
	v_and_b32_e32 v5, 0xffff, v4
	v_lshlrev_b64 v[4:5], s18, v[5:6]
	s_add_u32 s18, s18, 8
	s_addc_u32 s19, s19, 0
	s_add_u32 s20, s20, 1
	s_addc_u32 s21, s21, 0
	s_cmp_lg_u32 s23, 0
	v_or_b32_e32 v23, v4, v23
	v_or_b32_e32 v24, v5, v24
	s_cbranch_scc1 .LBB4_1035
.LBB4_1036:                             ;   in Loop: Header=BB4_990 Depth=1
	s_cbranch_execz .LBB4_1038
	s_branch .LBB4_1039
.LBB4_1037:                             ;   in Loop: Header=BB4_990 Depth=1
.LBB4_1038:                             ;   in Loop: Header=BB4_990 Depth=1
	global_load_dwordx2 v[23:24], v6, s[4:5]
.LBB4_1039:                             ;   in Loop: Header=BB4_990 Depth=1
	v_readfirstlane_b32 s4, v49
	s_waitcnt vmcnt(0)
	v_mov_b32_e32 v4, 0
	v_mov_b32_e32 v5, 0
	v_cmp_eq_u32_e64 s4, s4, v49
	s_and_saveexec_b32 s5, s4
	s_cbranch_execz .LBB4_1045
; %bb.1040:                             ;   in Loop: Header=BB4_990 Depth=1
	global_load_dwordx2 v[27:28], v6, s[26:27] offset:24 glc dlc
	s_waitcnt vmcnt(0)
	buffer_gl1_inv
	buffer_gl0_inv
	s_clause 0x1
	global_load_dwordx2 v[4:5], v6, s[26:27] offset:40
	global_load_dwordx2 v[9:10], v6, s[26:27]
	s_mov_b32 s18, exec_lo
	s_waitcnt vmcnt(1)
	v_and_b32_e32 v5, v5, v28
	v_and_b32_e32 v4, v4, v27
	v_mul_lo_u32 v5, v5, 24
	v_mul_hi_u32 v25, v4, 24
	v_mul_lo_u32 v4, v4, 24
	v_add_nc_u32_e32 v5, v25, v5
	s_waitcnt vmcnt(0)
	v_add_co_u32 v4, vcc_lo, v9, v4
	v_add_co_ci_u32_e32 v5, vcc_lo, v10, v5, vcc_lo
	global_load_dwordx2 v[25:26], v[4:5], off glc dlc
	s_waitcnt vmcnt(0)
	global_atomic_cmpswap_x2 v[4:5], v6, v[25:28], s[26:27] offset:24 glc
	s_waitcnt vmcnt(0)
	buffer_gl1_inv
	buffer_gl0_inv
	v_cmpx_ne_u64_e64 v[4:5], v[27:28]
	s_cbranch_execz .LBB4_1044
; %bb.1041:                             ;   in Loop: Header=BB4_990 Depth=1
	s_mov_b32 s19, 0
	.p2align	6
.LBB4_1042:                             ;   Parent Loop BB4_990 Depth=1
                                        ; =>  This Inner Loop Header: Depth=2
	s_sleep 1
	s_clause 0x1
	global_load_dwordx2 v[9:10], v6, s[26:27] offset:40
	global_load_dwordx2 v[25:26], v6, s[26:27]
	v_mov_b32_e32 v28, v5
	v_mov_b32_e32 v27, v4
	s_waitcnt vmcnt(1)
	v_and_b32_e32 v4, v9, v27
	v_and_b32_e32 v9, v10, v28
	s_waitcnt vmcnt(0)
	v_mad_u64_u32 v[4:5], null, v4, 24, v[25:26]
	v_mad_u64_u32 v[9:10], null, v9, 24, v[5:6]
	v_mov_b32_e32 v5, v9
	global_load_dwordx2 v[25:26], v[4:5], off glc dlc
	s_waitcnt vmcnt(0)
	global_atomic_cmpswap_x2 v[4:5], v6, v[25:28], s[26:27] offset:24 glc
	s_waitcnt vmcnt(0)
	buffer_gl1_inv
	buffer_gl0_inv
	v_cmp_eq_u64_e32 vcc_lo, v[4:5], v[27:28]
	s_or_b32 s19, vcc_lo, s19
	s_andn2_b32 exec_lo, exec_lo, s19
	s_cbranch_execnz .LBB4_1042
; %bb.1043:                             ;   in Loop: Header=BB4_990 Depth=1
	s_or_b32 exec_lo, exec_lo, s19
.LBB4_1044:                             ;   in Loop: Header=BB4_990 Depth=1
	s_or_b32 exec_lo, exec_lo, s18
.LBB4_1045:                             ;   in Loop: Header=BB4_990 Depth=1
	s_or_b32 exec_lo, exec_lo, s5
	s_clause 0x1
	global_load_dwordx2 v[9:10], v6, s[26:27] offset:40
	global_load_dwordx4 v[25:28], v6, s[26:27]
	v_readfirstlane_b32 s18, v4
	v_readfirstlane_b32 s19, v5
	s_mov_b32 s5, exec_lo
	s_waitcnt vmcnt(1)
	v_readfirstlane_b32 s20, v9
	v_readfirstlane_b32 s21, v10
	s_and_b64 s[20:21], s[18:19], s[20:21]
	s_mul_i32 s22, s21, 24
	s_mul_hi_u32 s23, s20, 24
	s_mul_i32 s24, s20, 24
	s_add_i32 s23, s23, s22
	s_waitcnt vmcnt(0)
	v_add_co_u32 v29, vcc_lo, v25, s24
	v_add_co_ci_u32_e32 v30, vcc_lo, s23, v26, vcc_lo
	s_and_saveexec_b32 s22, s4
	s_cbranch_execz .LBB4_1047
; %bb.1046:                             ;   in Loop: Header=BB4_990 Depth=1
	v_mov_b32_e32 v5, s5
	global_store_dwordx4 v[29:30], v[5:8], off offset:8
.LBB4_1047:                             ;   in Loop: Header=BB4_990 Depth=1
	s_or_b32 exec_lo, exec_lo, s22
	s_lshl_b64 s[20:21], s[20:21], 12
	v_cmp_gt_u64_e64 vcc_lo, s[10:11], 56
	v_or_b32_e32 v5, v2, v31
	v_add_co_u32 v27, s5, v27, s20
	v_add_co_ci_u32_e64 v28, s5, s21, v28, s5
	s_lshl_b32 s5, s16, 2
	v_or_b32_e32 v4, 0, v3
	v_cndmask_b32_e32 v2, v5, v2, vcc_lo
	s_add_i32 s5, s5, 28
	v_readfirstlane_b32 s20, v27
	s_and_b32 s5, s5, 0x1e0
	v_cndmask_b32_e32 v10, v4, v3, vcc_lo
	v_readfirstlane_b32 s21, v28
	v_and_or_b32 v9, 0xffffff1f, v2, s5
	global_store_dwordx4 v48, v[9:12], s[20:21]
	global_store_dwordx4 v48, v[13:16], s[20:21] offset:16
	global_store_dwordx4 v48, v[17:20], s[20:21] offset:32
	;; [unrolled: 1-line block ×3, first 2 shown]
	s_and_saveexec_b32 s5, s4
	s_cbranch_execz .LBB4_1055
; %bb.1048:                             ;   in Loop: Header=BB4_990 Depth=1
	s_clause 0x1
	global_load_dwordx2 v[13:14], v6, s[26:27] offset:32 glc dlc
	global_load_dwordx2 v[2:3], v6, s[26:27] offset:40
	v_mov_b32_e32 v11, s18
	v_mov_b32_e32 v12, s19
	s_waitcnt vmcnt(0)
	v_readfirstlane_b32 s20, v2
	v_readfirstlane_b32 s21, v3
	s_and_b64 s[20:21], s[20:21], s[18:19]
	s_mul_i32 s21, s21, 24
	s_mul_hi_u32 s22, s20, 24
	s_mul_i32 s20, s20, 24
	s_add_i32 s22, s22, s21
	v_add_co_u32 v9, vcc_lo, v25, s20
	v_add_co_ci_u32_e32 v10, vcc_lo, s22, v26, vcc_lo
	s_mov_b32 s20, exec_lo
	global_store_dwordx2 v[9:10], v[13:14], off
	s_waitcnt_vscnt null, 0x0
	global_atomic_cmpswap_x2 v[4:5], v6, v[11:14], s[26:27] offset:32 glc
	s_waitcnt vmcnt(0)
	v_cmpx_ne_u64_e64 v[4:5], v[13:14]
	s_cbranch_execz .LBB4_1051
; %bb.1049:                             ;   in Loop: Header=BB4_990 Depth=1
	s_mov_b32 s21, 0
.LBB4_1050:                             ;   Parent Loop BB4_990 Depth=1
                                        ; =>  This Inner Loop Header: Depth=2
	v_mov_b32_e32 v2, s18
	v_mov_b32_e32 v3, s19
	s_sleep 1
	global_store_dwordx2 v[9:10], v[4:5], off
	s_waitcnt_vscnt null, 0x0
	global_atomic_cmpswap_x2 v[2:3], v6, v[2:5], s[26:27] offset:32 glc
	s_waitcnt vmcnt(0)
	v_cmp_eq_u64_e32 vcc_lo, v[2:3], v[4:5]
	v_mov_b32_e32 v5, v3
	v_mov_b32_e32 v4, v2
	s_or_b32 s21, vcc_lo, s21
	s_andn2_b32 exec_lo, exec_lo, s21
	s_cbranch_execnz .LBB4_1050
.LBB4_1051:                             ;   in Loop: Header=BB4_990 Depth=1
	s_or_b32 exec_lo, exec_lo, s20
	global_load_dwordx2 v[2:3], v6, s[26:27] offset:16
	s_mov_b32 s21, exec_lo
	s_mov_b32 s20, exec_lo
	v_mbcnt_lo_u32_b32 v4, s21, 0
	v_cmpx_eq_u32_e32 0, v4
	s_cbranch_execz .LBB4_1053
; %bb.1052:                             ;   in Loop: Header=BB4_990 Depth=1
	s_bcnt1_i32_b32 s21, s21
	v_mov_b32_e32 v5, s21
	s_waitcnt vmcnt(0)
	global_atomic_add_x2 v[2:3], v[5:6], off offset:8
.LBB4_1053:                             ;   in Loop: Header=BB4_990 Depth=1
	s_or_b32 exec_lo, exec_lo, s20
	s_waitcnt vmcnt(0)
	global_load_dwordx2 v[9:10], v[2:3], off offset:16
	s_waitcnt vmcnt(0)
	v_cmp_eq_u64_e32 vcc_lo, 0, v[9:10]
	s_cbranch_vccnz .LBB4_1055
; %bb.1054:                             ;   in Loop: Header=BB4_990 Depth=1
	global_load_dword v5, v[2:3], off offset:24
	s_waitcnt vmcnt(0)
	v_and_b32_e32 v2, 0x7fffff, v5
	s_waitcnt_vscnt null, 0x0
	global_store_dwordx2 v[9:10], v[5:6], off
	v_readfirstlane_b32 m0, v2
	s_sendmsg sendmsg(MSG_INTERRUPT)
.LBB4_1055:                             ;   in Loop: Header=BB4_990 Depth=1
	s_or_b32 exec_lo, exec_lo, s5
	v_add_co_u32 v2, vcc_lo, v27, v48
	v_add_co_ci_u32_e32 v3, vcc_lo, 0, v28, vcc_lo
	s_branch .LBB4_1059
	.p2align	6
.LBB4_1056:                             ;   in Loop: Header=BB4_1059 Depth=2
	s_or_b32 exec_lo, exec_lo, s5
	v_readfirstlane_b32 s5, v4
	s_cmp_eq_u32 s5, 0
	s_cbranch_scc1 .LBB4_1058
; %bb.1057:                             ;   in Loop: Header=BB4_1059 Depth=2
	s_sleep 1
	s_cbranch_execnz .LBB4_1059
	s_branch .LBB4_1061
	.p2align	6
.LBB4_1058:                             ;   in Loop: Header=BB4_990 Depth=1
	s_branch .LBB4_1061
.LBB4_1059:                             ;   Parent Loop BB4_990 Depth=1
                                        ; =>  This Inner Loop Header: Depth=2
	v_mov_b32_e32 v4, 1
	s_and_saveexec_b32 s5, s4
	s_cbranch_execz .LBB4_1056
; %bb.1060:                             ;   in Loop: Header=BB4_1059 Depth=2
	global_load_dword v4, v[29:30], off offset:20 glc dlc
	s_waitcnt vmcnt(0)
	buffer_gl1_inv
	buffer_gl0_inv
	v_and_b32_e32 v4, 1, v4
	s_branch .LBB4_1056
.LBB4_1061:                             ;   in Loop: Header=BB4_990 Depth=1
	global_load_dwordx4 v[2:5], v[2:3], off
	s_and_saveexec_b32 s5, s4
	s_cbranch_execz .LBB4_989
; %bb.1062:                             ;   in Loop: Header=BB4_990 Depth=1
	s_clause 0x2
	global_load_dwordx2 v[4:5], v6, s[26:27] offset:40
	global_load_dwordx2 v[13:14], v6, s[26:27] offset:24 glc dlc
	global_load_dwordx2 v[11:12], v6, s[26:27]
	s_waitcnt vmcnt(2)
	v_add_co_u32 v15, vcc_lo, v4, 1
	v_add_co_ci_u32_e32 v16, vcc_lo, 0, v5, vcc_lo
	v_add_co_u32 v9, vcc_lo, v15, s18
	v_add_co_ci_u32_e32 v10, vcc_lo, s19, v16, vcc_lo
	v_cmp_eq_u64_e32 vcc_lo, 0, v[9:10]
	v_cndmask_b32_e32 v10, v10, v16, vcc_lo
	v_cndmask_b32_e32 v9, v9, v15, vcc_lo
	v_and_b32_e32 v5, v10, v5
	v_and_b32_e32 v4, v9, v4
	v_mul_lo_u32 v5, v5, 24
	v_mul_hi_u32 v15, v4, 24
	v_mul_lo_u32 v4, v4, 24
	v_add_nc_u32_e32 v5, v15, v5
	s_waitcnt vmcnt(0)
	v_add_co_u32 v4, vcc_lo, v11, v4
	v_mov_b32_e32 v11, v13
	v_add_co_ci_u32_e32 v5, vcc_lo, v12, v5, vcc_lo
	v_mov_b32_e32 v12, v14
	global_store_dwordx2 v[4:5], v[13:14], off
	s_waitcnt_vscnt null, 0x0
	global_atomic_cmpswap_x2 v[11:12], v6, v[9:12], s[26:27] offset:24 glc
	s_waitcnt vmcnt(0)
	v_cmp_ne_u64_e32 vcc_lo, v[11:12], v[13:14]
	s_and_b32 exec_lo, exec_lo, vcc_lo
	s_cbranch_execz .LBB4_989
; %bb.1063:                             ;   in Loop: Header=BB4_990 Depth=1
	s_mov_b32 s4, 0
.LBB4_1064:                             ;   Parent Loop BB4_990 Depth=1
                                        ; =>  This Inner Loop Header: Depth=2
	s_sleep 1
	global_store_dwordx2 v[4:5], v[11:12], off
	s_waitcnt_vscnt null, 0x0
	global_atomic_cmpswap_x2 v[13:14], v6, v[9:12], s[26:27] offset:24 glc
	s_waitcnt vmcnt(0)
	v_cmp_eq_u64_e32 vcc_lo, v[13:14], v[11:12]
	v_mov_b32_e32 v11, v13
	v_mov_b32_e32 v12, v14
	s_or_b32 s4, vcc_lo, s4
	s_andn2_b32 exec_lo, exec_lo, s4
	s_cbranch_execnz .LBB4_1064
	s_branch .LBB4_989
.LBB4_1065:
	s_branch .LBB4_1094
.LBB4_1066:
                                        ; implicit-def: $vgpr2_vgpr3
	s_cbranch_execz .LBB4_1094
; %bb.1067:
	v_readfirstlane_b32 s4, v49
	v_mov_b32_e32 v8, 0
	v_mov_b32_e32 v9, 0
	v_cmp_eq_u32_e64 s4, s4, v49
	s_and_saveexec_b32 s5, s4
	s_cbranch_execz .LBB4_1073
; %bb.1068:
	s_waitcnt vmcnt(0)
	v_mov_b32_e32 v2, 0
	s_mov_b32 s6, exec_lo
	global_load_dwordx2 v[5:6], v2, s[26:27] offset:24 glc dlc
	s_waitcnt vmcnt(0)
	buffer_gl1_inv
	buffer_gl0_inv
	s_clause 0x1
	global_load_dwordx2 v[3:4], v2, s[26:27] offset:40
	global_load_dwordx2 v[7:8], v2, s[26:27]
	s_waitcnt vmcnt(1)
	v_and_b32_e32 v4, v4, v6
	v_and_b32_e32 v3, v3, v5
	v_mul_lo_u32 v4, v4, 24
	v_mul_hi_u32 v9, v3, 24
	v_mul_lo_u32 v3, v3, 24
	v_add_nc_u32_e32 v4, v9, v4
	s_waitcnt vmcnt(0)
	v_add_co_u32 v3, vcc_lo, v7, v3
	v_add_co_ci_u32_e32 v4, vcc_lo, v8, v4, vcc_lo
	global_load_dwordx2 v[3:4], v[3:4], off glc dlc
	s_waitcnt vmcnt(0)
	global_atomic_cmpswap_x2 v[8:9], v2, v[3:6], s[26:27] offset:24 glc
	s_waitcnt vmcnt(0)
	buffer_gl1_inv
	buffer_gl0_inv
	v_cmpx_ne_u64_e64 v[8:9], v[5:6]
	s_cbranch_execz .LBB4_1072
; %bb.1069:
	s_mov_b32 s7, 0
	.p2align	6
.LBB4_1070:                             ; =>This Inner Loop Header: Depth=1
	s_sleep 1
	s_clause 0x1
	global_load_dwordx2 v[3:4], v2, s[26:27] offset:40
	global_load_dwordx2 v[10:11], v2, s[26:27]
	v_mov_b32_e32 v5, v8
	v_mov_b32_e32 v6, v9
	s_waitcnt vmcnt(1)
	v_and_b32_e32 v3, v3, v5
	v_and_b32_e32 v4, v4, v6
	s_waitcnt vmcnt(0)
	v_mad_u64_u32 v[7:8], null, v3, 24, v[10:11]
	v_mov_b32_e32 v3, v8
	v_mad_u64_u32 v[3:4], null, v4, 24, v[3:4]
	v_mov_b32_e32 v8, v3
	global_load_dwordx2 v[3:4], v[7:8], off glc dlc
	s_waitcnt vmcnt(0)
	global_atomic_cmpswap_x2 v[8:9], v2, v[3:6], s[26:27] offset:24 glc
	s_waitcnt vmcnt(0)
	buffer_gl1_inv
	buffer_gl0_inv
	v_cmp_eq_u64_e32 vcc_lo, v[8:9], v[5:6]
	s_or_b32 s7, vcc_lo, s7
	s_andn2_b32 exec_lo, exec_lo, s7
	s_cbranch_execnz .LBB4_1070
; %bb.1071:
	s_or_b32 exec_lo, exec_lo, s7
.LBB4_1072:
	s_or_b32 exec_lo, exec_lo, s6
.LBB4_1073:
	s_or_b32 exec_lo, exec_lo, s5
	s_waitcnt vmcnt(0)
	v_mov_b32_e32 v2, 0
	v_readfirstlane_b32 s6, v8
	v_readfirstlane_b32 s7, v9
	s_mov_b32 s5, exec_lo
	s_clause 0x1
	global_load_dwordx2 v[10:11], v2, s[26:27] offset:40
	global_load_dwordx4 v[4:7], v2, s[26:27]
	s_waitcnt vmcnt(1)
	v_readfirstlane_b32 s10, v10
	v_readfirstlane_b32 s11, v11
	s_and_b64 s[10:11], s[6:7], s[10:11]
	s_mul_i32 s16, s11, 24
	s_mul_hi_u32 s17, s10, 24
	s_mul_i32 s18, s10, 24
	s_add_i32 s17, s17, s16
	s_waitcnt vmcnt(0)
	v_add_co_u32 v8, vcc_lo, v4, s18
	v_add_co_ci_u32_e32 v9, vcc_lo, s17, v5, vcc_lo
	s_and_saveexec_b32 s16, s4
	s_cbranch_execz .LBB4_1075
; %bb.1074:
	v_mov_b32_e32 v10, s5
	v_mov_b32_e32 v11, v2
	;; [unrolled: 1-line block ×4, first 2 shown]
	global_store_dwordx4 v[8:9], v[10:13], off offset:8
.LBB4_1075:
	s_or_b32 exec_lo, exec_lo, s16
	s_lshl_b64 s[10:11], s[10:11], 12
	s_mov_b32 s16, 0
	v_add_co_u32 v6, vcc_lo, v6, s10
	v_add_co_ci_u32_e32 v7, vcc_lo, s11, v7, vcc_lo
	s_mov_b32 s17, s16
	v_readfirstlane_b32 s10, v6
	v_add_co_u32 v6, vcc_lo, v6, v48
	s_mov_b32 s18, s16
	s_mov_b32 s19, s16
	v_and_or_b32 v0, 0xffffff1f, v0, 32
	v_mov_b32_e32 v3, v2
	v_readfirstlane_b32 s11, v7
	v_mov_b32_e32 v10, s16
	v_add_co_ci_u32_e32 v7, vcc_lo, 0, v7, vcc_lo
	v_mov_b32_e32 v11, s17
	v_mov_b32_e32 v12, s18
	;; [unrolled: 1-line block ×3, first 2 shown]
	global_store_dwordx4 v48, v[0:3], s[10:11]
	global_store_dwordx4 v48, v[10:13], s[10:11] offset:16
	global_store_dwordx4 v48, v[10:13], s[10:11] offset:32
	;; [unrolled: 1-line block ×3, first 2 shown]
	s_and_saveexec_b32 s5, s4
	s_cbranch_execz .LBB4_1083
; %bb.1076:
	v_mov_b32_e32 v10, 0
	v_mov_b32_e32 v11, s6
	v_mov_b32_e32 v12, s7
	s_clause 0x1
	global_load_dwordx2 v[13:14], v10, s[26:27] offset:32 glc dlc
	global_load_dwordx2 v[0:1], v10, s[26:27] offset:40
	s_waitcnt vmcnt(0)
	v_readfirstlane_b32 s10, v0
	v_readfirstlane_b32 s11, v1
	s_and_b64 s[10:11], s[10:11], s[6:7]
	s_mul_i32 s11, s11, 24
	s_mul_hi_u32 s16, s10, 24
	s_mul_i32 s10, s10, 24
	s_add_i32 s16, s16, s11
	v_add_co_u32 v4, vcc_lo, v4, s10
	v_add_co_ci_u32_e32 v5, vcc_lo, s16, v5, vcc_lo
	s_mov_b32 s10, exec_lo
	global_store_dwordx2 v[4:5], v[13:14], off
	s_waitcnt_vscnt null, 0x0
	global_atomic_cmpswap_x2 v[2:3], v10, v[11:14], s[26:27] offset:32 glc
	s_waitcnt vmcnt(0)
	v_cmpx_ne_u64_e64 v[2:3], v[13:14]
	s_cbranch_execz .LBB4_1079
; %bb.1077:
	s_mov_b32 s11, 0
.LBB4_1078:                             ; =>This Inner Loop Header: Depth=1
	v_mov_b32_e32 v0, s6
	v_mov_b32_e32 v1, s7
	s_sleep 1
	global_store_dwordx2 v[4:5], v[2:3], off
	s_waitcnt_vscnt null, 0x0
	global_atomic_cmpswap_x2 v[0:1], v10, v[0:3], s[26:27] offset:32 glc
	s_waitcnt vmcnt(0)
	v_cmp_eq_u64_e32 vcc_lo, v[0:1], v[2:3]
	v_mov_b32_e32 v3, v1
	v_mov_b32_e32 v2, v0
	s_or_b32 s11, vcc_lo, s11
	s_andn2_b32 exec_lo, exec_lo, s11
	s_cbranch_execnz .LBB4_1078
.LBB4_1079:
	s_or_b32 exec_lo, exec_lo, s10
	v_mov_b32_e32 v3, 0
	s_mov_b32 s11, exec_lo
	s_mov_b32 s10, exec_lo
	v_mbcnt_lo_u32_b32 v2, s11, 0
	global_load_dwordx2 v[0:1], v3, s[26:27] offset:16
	v_cmpx_eq_u32_e32 0, v2
	s_cbranch_execz .LBB4_1081
; %bb.1080:
	s_bcnt1_i32_b32 s11, s11
	v_mov_b32_e32 v2, s11
	s_waitcnt vmcnt(0)
	global_atomic_add_x2 v[0:1], v[2:3], off offset:8
.LBB4_1081:
	s_or_b32 exec_lo, exec_lo, s10
	s_waitcnt vmcnt(0)
	global_load_dwordx2 v[2:3], v[0:1], off offset:16
	s_waitcnt vmcnt(0)
	v_cmp_eq_u64_e32 vcc_lo, 0, v[2:3]
	s_cbranch_vccnz .LBB4_1083
; %bb.1082:
	global_load_dword v0, v[0:1], off offset:24
	v_mov_b32_e32 v1, 0
	s_waitcnt vmcnt(0)
	v_and_b32_e32 v4, 0x7fffff, v0
	s_waitcnt_vscnt null, 0x0
	global_store_dwordx2 v[2:3], v[0:1], off
	v_readfirstlane_b32 m0, v4
	s_sendmsg sendmsg(MSG_INTERRUPT)
.LBB4_1083:
	s_or_b32 exec_lo, exec_lo, s5
	s_branch .LBB4_1087
	.p2align	6
.LBB4_1084:                             ;   in Loop: Header=BB4_1087 Depth=1
	s_or_b32 exec_lo, exec_lo, s5
	v_readfirstlane_b32 s5, v0
	s_cmp_eq_u32 s5, 0
	s_cbranch_scc1 .LBB4_1086
; %bb.1085:                             ;   in Loop: Header=BB4_1087 Depth=1
	s_sleep 1
	s_cbranch_execnz .LBB4_1087
	s_branch .LBB4_1089
	.p2align	6
.LBB4_1086:
	s_branch .LBB4_1089
.LBB4_1087:                             ; =>This Inner Loop Header: Depth=1
	v_mov_b32_e32 v0, 1
	s_and_saveexec_b32 s5, s4
	s_cbranch_execz .LBB4_1084
; %bb.1088:                             ;   in Loop: Header=BB4_1087 Depth=1
	global_load_dword v0, v[8:9], off offset:20 glc dlc
	s_waitcnt vmcnt(0)
	buffer_gl1_inv
	buffer_gl0_inv
	v_and_b32_e32 v0, 1, v0
	s_branch .LBB4_1084
.LBB4_1089:
	global_load_dwordx2 v[2:3], v[6:7], off
	s_and_saveexec_b32 s5, s4
	s_cbranch_execz .LBB4_1093
; %bb.1090:
	v_mov_b32_e32 v8, 0
	s_clause 0x2
	global_load_dwordx2 v[0:1], v8, s[26:27] offset:40
	global_load_dwordx2 v[9:10], v8, s[26:27] offset:24 glc dlc
	global_load_dwordx2 v[6:7], v8, s[26:27]
	s_waitcnt vmcnt(2)
	v_add_co_u32 v11, vcc_lo, v0, 1
	v_add_co_ci_u32_e32 v12, vcc_lo, 0, v1, vcc_lo
	v_add_co_u32 v4, vcc_lo, v11, s6
	v_add_co_ci_u32_e32 v5, vcc_lo, s7, v12, vcc_lo
	v_cmp_eq_u64_e32 vcc_lo, 0, v[4:5]
	v_cndmask_b32_e32 v5, v5, v12, vcc_lo
	v_cndmask_b32_e32 v4, v4, v11, vcc_lo
	v_and_b32_e32 v1, v5, v1
	v_and_b32_e32 v0, v4, v0
	v_mul_lo_u32 v1, v1, 24
	v_mul_hi_u32 v11, v0, 24
	v_mul_lo_u32 v0, v0, 24
	v_add_nc_u32_e32 v1, v11, v1
	s_waitcnt vmcnt(0)
	v_add_co_u32 v0, vcc_lo, v6, v0
	v_mov_b32_e32 v6, v9
	v_add_co_ci_u32_e32 v1, vcc_lo, v7, v1, vcc_lo
	v_mov_b32_e32 v7, v10
	global_store_dwordx2 v[0:1], v[9:10], off
	s_waitcnt_vscnt null, 0x0
	global_atomic_cmpswap_x2 v[6:7], v8, v[4:7], s[26:27] offset:24 glc
	s_waitcnt vmcnt(0)
	v_cmp_ne_u64_e32 vcc_lo, v[6:7], v[9:10]
	s_and_b32 exec_lo, exec_lo, vcc_lo
	s_cbranch_execz .LBB4_1093
; %bb.1091:
	s_mov_b32 s4, 0
.LBB4_1092:                             ; =>This Inner Loop Header: Depth=1
	s_sleep 1
	global_store_dwordx2 v[0:1], v[6:7], off
	s_waitcnt_vscnt null, 0x0
	global_atomic_cmpswap_x2 v[9:10], v8, v[4:7], s[26:27] offset:24 glc
	s_waitcnt vmcnt(0)
	v_cmp_eq_u64_e32 vcc_lo, v[9:10], v[6:7]
	v_mov_b32_e32 v6, v9
	v_mov_b32_e32 v7, v10
	s_or_b32 s4, vcc_lo, s4
	s_andn2_b32 exec_lo, exec_lo, s4
	s_cbranch_execnz .LBB4_1092
.LBB4_1093:
	s_or_b32 exec_lo, exec_lo, s5
.LBB4_1094:
	v_readfirstlane_b32 s4, v49
	s_waitcnt vmcnt(0)
	v_mov_b32_e32 v0, 0
	v_mov_b32_e32 v1, 0
	v_cmp_eq_u32_e64 s4, s4, v49
	s_and_saveexec_b32 s5, s4
	s_cbranch_execz .LBB4_1100
; %bb.1095:
	v_mov_b32_e32 v4, 0
	s_mov_b32 s6, exec_lo
	global_load_dwordx2 v[7:8], v4, s[26:27] offset:24 glc dlc
	s_waitcnt vmcnt(0)
	buffer_gl1_inv
	buffer_gl0_inv
	s_clause 0x1
	global_load_dwordx2 v[0:1], v4, s[26:27] offset:40
	global_load_dwordx2 v[5:6], v4, s[26:27]
	s_waitcnt vmcnt(1)
	v_and_b32_e32 v1, v1, v8
	v_and_b32_e32 v0, v0, v7
	v_mul_lo_u32 v1, v1, 24
	v_mul_hi_u32 v9, v0, 24
	v_mul_lo_u32 v0, v0, 24
	v_add_nc_u32_e32 v1, v9, v1
	s_waitcnt vmcnt(0)
	v_add_co_u32 v0, vcc_lo, v5, v0
	v_add_co_ci_u32_e32 v1, vcc_lo, v6, v1, vcc_lo
	global_load_dwordx2 v[5:6], v[0:1], off glc dlc
	s_waitcnt vmcnt(0)
	global_atomic_cmpswap_x2 v[0:1], v4, v[5:8], s[26:27] offset:24 glc
	s_waitcnt vmcnt(0)
	buffer_gl1_inv
	buffer_gl0_inv
	v_cmpx_ne_u64_e64 v[0:1], v[7:8]
	s_cbranch_execz .LBB4_1099
; %bb.1096:
	s_mov_b32 s7, 0
	.p2align	6
.LBB4_1097:                             ; =>This Inner Loop Header: Depth=1
	s_sleep 1
	s_clause 0x1
	global_load_dwordx2 v[5:6], v4, s[26:27] offset:40
	global_load_dwordx2 v[9:10], v4, s[26:27]
	v_mov_b32_e32 v8, v1
	v_mov_b32_e32 v7, v0
	s_waitcnt vmcnt(1)
	v_and_b32_e32 v0, v5, v7
	v_and_b32_e32 v5, v6, v8
	s_waitcnt vmcnt(0)
	v_mad_u64_u32 v[0:1], null, v0, 24, v[9:10]
	v_mad_u64_u32 v[5:6], null, v5, 24, v[1:2]
	v_mov_b32_e32 v1, v5
	global_load_dwordx2 v[5:6], v[0:1], off glc dlc
	s_waitcnt vmcnt(0)
	global_atomic_cmpswap_x2 v[0:1], v4, v[5:8], s[26:27] offset:24 glc
	s_waitcnt vmcnt(0)
	buffer_gl1_inv
	buffer_gl0_inv
	v_cmp_eq_u64_e32 vcc_lo, v[0:1], v[7:8]
	s_or_b32 s7, vcc_lo, s7
	s_andn2_b32 exec_lo, exec_lo, s7
	s_cbranch_execnz .LBB4_1097
; %bb.1098:
	s_or_b32 exec_lo, exec_lo, s7
.LBB4_1099:
	s_or_b32 exec_lo, exec_lo, s6
.LBB4_1100:
	s_or_b32 exec_lo, exec_lo, s5
	v_mov_b32_e32 v5, 0
	v_readfirstlane_b32 s6, v0
	v_readfirstlane_b32 s7, v1
	s_mov_b32 s5, exec_lo
	s_clause 0x1
	global_load_dwordx2 v[10:11], v5, s[26:27] offset:40
	global_load_dwordx4 v[6:9], v5, s[26:27]
	s_waitcnt vmcnt(1)
	v_readfirstlane_b32 s10, v10
	v_readfirstlane_b32 s11, v11
	s_and_b64 s[10:11], s[6:7], s[10:11]
	s_mul_i32 s16, s11, 24
	s_mul_hi_u32 s17, s10, 24
	s_mul_i32 s18, s10, 24
	s_add_i32 s17, s17, s16
	s_waitcnt vmcnt(0)
	v_add_co_u32 v10, vcc_lo, v6, s18
	v_add_co_ci_u32_e32 v11, vcc_lo, s17, v7, vcc_lo
	s_and_saveexec_b32 s16, s4
	s_cbranch_execz .LBB4_1102
; %bb.1101:
	v_mov_b32_e32 v4, s5
	v_mov_b32_e32 v13, v5
	;; [unrolled: 1-line block ×5, first 2 shown]
	global_store_dwordx4 v[10:11], v[12:15], off offset:8
.LBB4_1102:
	s_or_b32 exec_lo, exec_lo, s16
	s_lshl_b64 s[10:11], s[10:11], 12
	s_mov_b32 s16, 0
	v_add_co_u32 v0, vcc_lo, v8, s10
	v_add_co_ci_u32_e32 v1, vcc_lo, s11, v9, vcc_lo
	s_mov_b32 s17, s16
	s_mov_b32 s18, s16
	;; [unrolled: 1-line block ×3, first 2 shown]
	v_and_or_b32 v2, 0xffffff1d, v2, 34
	v_mov_b32_e32 v4, 58
	v_readfirstlane_b32 s10, v0
	v_readfirstlane_b32 s11, v1
	v_mov_b32_e32 v12, s16
	v_mov_b32_e32 v13, s17
	;; [unrolled: 1-line block ×4, first 2 shown]
	global_store_dwordx4 v48, v[2:5], s[10:11]
	global_store_dwordx4 v48, v[12:15], s[10:11] offset:16
	global_store_dwordx4 v48, v[12:15], s[10:11] offset:32
	;; [unrolled: 1-line block ×3, first 2 shown]
	s_and_saveexec_b32 s5, s4
	s_cbranch_execz .LBB4_1110
; %bb.1103:
	v_mov_b32_e32 v8, 0
	v_mov_b32_e32 v12, s6
	;; [unrolled: 1-line block ×3, first 2 shown]
	s_clause 0x1
	global_load_dwordx2 v[14:15], v8, s[26:27] offset:32 glc dlc
	global_load_dwordx2 v[0:1], v8, s[26:27] offset:40
	s_waitcnt vmcnt(0)
	v_readfirstlane_b32 s10, v0
	v_readfirstlane_b32 s11, v1
	s_and_b64 s[10:11], s[10:11], s[6:7]
	s_mul_i32 s11, s11, 24
	s_mul_hi_u32 s16, s10, 24
	s_mul_i32 s10, s10, 24
	s_add_i32 s16, s16, s11
	v_add_co_u32 v4, vcc_lo, v6, s10
	v_add_co_ci_u32_e32 v5, vcc_lo, s16, v7, vcc_lo
	s_mov_b32 s10, exec_lo
	global_store_dwordx2 v[4:5], v[14:15], off
	s_waitcnt_vscnt null, 0x0
	global_atomic_cmpswap_x2 v[2:3], v8, v[12:15], s[26:27] offset:32 glc
	s_waitcnt vmcnt(0)
	v_cmpx_ne_u64_e64 v[2:3], v[14:15]
	s_cbranch_execz .LBB4_1106
; %bb.1104:
	s_mov_b32 s11, 0
.LBB4_1105:                             ; =>This Inner Loop Header: Depth=1
	v_mov_b32_e32 v0, s6
	v_mov_b32_e32 v1, s7
	s_sleep 1
	global_store_dwordx2 v[4:5], v[2:3], off
	s_waitcnt_vscnt null, 0x0
	global_atomic_cmpswap_x2 v[0:1], v8, v[0:3], s[26:27] offset:32 glc
	s_waitcnt vmcnt(0)
	v_cmp_eq_u64_e32 vcc_lo, v[0:1], v[2:3]
	v_mov_b32_e32 v3, v1
	v_mov_b32_e32 v2, v0
	s_or_b32 s11, vcc_lo, s11
	s_andn2_b32 exec_lo, exec_lo, s11
	s_cbranch_execnz .LBB4_1105
.LBB4_1106:
	s_or_b32 exec_lo, exec_lo, s10
	v_mov_b32_e32 v3, 0
	s_mov_b32 s11, exec_lo
	s_mov_b32 s10, exec_lo
	v_mbcnt_lo_u32_b32 v2, s11, 0
	global_load_dwordx2 v[0:1], v3, s[26:27] offset:16
	v_cmpx_eq_u32_e32 0, v2
	s_cbranch_execz .LBB4_1108
; %bb.1107:
	s_bcnt1_i32_b32 s11, s11
	v_mov_b32_e32 v2, s11
	s_waitcnt vmcnt(0)
	global_atomic_add_x2 v[0:1], v[2:3], off offset:8
.LBB4_1108:
	s_or_b32 exec_lo, exec_lo, s10
	s_waitcnt vmcnt(0)
	global_load_dwordx2 v[2:3], v[0:1], off offset:16
	s_waitcnt vmcnt(0)
	v_cmp_eq_u64_e32 vcc_lo, 0, v[2:3]
	s_cbranch_vccnz .LBB4_1110
; %bb.1109:
	global_load_dword v0, v[0:1], off offset:24
	v_mov_b32_e32 v1, 0
	s_waitcnt vmcnt(0)
	v_and_b32_e32 v4, 0x7fffff, v0
	s_waitcnt_vscnt null, 0x0
	global_store_dwordx2 v[2:3], v[0:1], off
	v_readfirstlane_b32 m0, v4
	s_sendmsg sendmsg(MSG_INTERRUPT)
.LBB4_1110:
	s_or_b32 exec_lo, exec_lo, s5
	s_branch .LBB4_1114
	.p2align	6
.LBB4_1111:                             ;   in Loop: Header=BB4_1114 Depth=1
	s_or_b32 exec_lo, exec_lo, s5
	v_readfirstlane_b32 s5, v0
	s_cmp_eq_u32 s5, 0
	s_cbranch_scc1 .LBB4_1113
; %bb.1112:                             ;   in Loop: Header=BB4_1114 Depth=1
	s_sleep 1
	s_cbranch_execnz .LBB4_1114
	s_branch .LBB4_1116
	.p2align	6
.LBB4_1113:
	s_branch .LBB4_1116
.LBB4_1114:                             ; =>This Inner Loop Header: Depth=1
	v_mov_b32_e32 v0, 1
	s_and_saveexec_b32 s5, s4
	s_cbranch_execz .LBB4_1111
; %bb.1115:                             ;   in Loop: Header=BB4_1114 Depth=1
	global_load_dword v0, v[10:11], off offset:20 glc dlc
	s_waitcnt vmcnt(0)
	buffer_gl1_inv
	buffer_gl0_inv
	v_and_b32_e32 v0, 1, v0
	s_branch .LBB4_1111
.LBB4_1116:
	s_and_saveexec_b32 s5, s4
	s_cbranch_execz .LBB4_1120
; %bb.1117:
	v_mov_b32_e32 v6, 0
	s_clause 0x2
	global_load_dwordx2 v[2:3], v6, s[26:27] offset:40
	global_load_dwordx2 v[7:8], v6, s[26:27] offset:24 glc dlc
	global_load_dwordx2 v[4:5], v6, s[26:27]
	s_waitcnt vmcnt(2)
	v_add_co_u32 v9, vcc_lo, v2, 1
	v_add_co_ci_u32_e32 v10, vcc_lo, 0, v3, vcc_lo
	v_add_co_u32 v0, vcc_lo, v9, s6
	v_add_co_ci_u32_e32 v1, vcc_lo, s7, v10, vcc_lo
	v_cmp_eq_u64_e32 vcc_lo, 0, v[0:1]
	v_cndmask_b32_e32 v1, v1, v10, vcc_lo
	v_cndmask_b32_e32 v0, v0, v9, vcc_lo
	v_and_b32_e32 v3, v1, v3
	v_and_b32_e32 v2, v0, v2
	v_mul_lo_u32 v3, v3, 24
	v_mul_hi_u32 v9, v2, 24
	v_mul_lo_u32 v2, v2, 24
	v_add_nc_u32_e32 v3, v9, v3
	s_waitcnt vmcnt(0)
	v_add_co_u32 v4, vcc_lo, v4, v2
	v_mov_b32_e32 v2, v7
	v_add_co_ci_u32_e32 v5, vcc_lo, v5, v3, vcc_lo
	v_mov_b32_e32 v3, v8
	global_store_dwordx2 v[4:5], v[7:8], off
	s_waitcnt_vscnt null, 0x0
	global_atomic_cmpswap_x2 v[2:3], v6, v[0:3], s[26:27] offset:24 glc
	s_waitcnt vmcnt(0)
	v_cmp_ne_u64_e32 vcc_lo, v[2:3], v[7:8]
	s_and_b32 exec_lo, exec_lo, vcc_lo
	s_cbranch_execz .LBB4_1120
; %bb.1118:
	s_mov_b32 s4, 0
.LBB4_1119:                             ; =>This Inner Loop Header: Depth=1
	s_sleep 1
	global_store_dwordx2 v[4:5], v[2:3], off
	s_waitcnt_vscnt null, 0x0
	global_atomic_cmpswap_x2 v[7:8], v6, v[0:3], s[26:27] offset:24 glc
	s_waitcnt vmcnt(0)
	v_cmp_eq_u64_e32 vcc_lo, v[7:8], v[2:3]
	v_mov_b32_e32 v2, v7
	v_mov_b32_e32 v3, v8
	s_or_b32 s4, vcc_lo, s4
	s_andn2_b32 exec_lo, exec_lo, s4
	s_cbranch_execnz .LBB4_1119
.LBB4_1120:
	s_or_b32 exec_lo, exec_lo, s5
	v_readfirstlane_b32 s4, v49
	v_mov_b32_e32 v6, 0
	v_mov_b32_e32 v7, 0
	v_cmp_eq_u32_e64 s4, s4, v49
	s_and_saveexec_b32 s5, s4
	s_cbranch_execz .LBB4_1126
; %bb.1121:
	v_mov_b32_e32 v0, 0
	s_mov_b32 s6, exec_lo
	global_load_dwordx2 v[3:4], v0, s[26:27] offset:24 glc dlc
	s_waitcnt vmcnt(0)
	buffer_gl1_inv
	buffer_gl0_inv
	s_clause 0x1
	global_load_dwordx2 v[1:2], v0, s[26:27] offset:40
	global_load_dwordx2 v[5:6], v0, s[26:27]
	s_waitcnt vmcnt(1)
	v_and_b32_e32 v2, v2, v4
	v_and_b32_e32 v1, v1, v3
	v_mul_lo_u32 v2, v2, 24
	v_mul_hi_u32 v7, v1, 24
	v_mul_lo_u32 v1, v1, 24
	v_add_nc_u32_e32 v2, v7, v2
	s_waitcnt vmcnt(0)
	v_add_co_u32 v1, vcc_lo, v5, v1
	v_add_co_ci_u32_e32 v2, vcc_lo, v6, v2, vcc_lo
	global_load_dwordx2 v[1:2], v[1:2], off glc dlc
	s_waitcnt vmcnt(0)
	global_atomic_cmpswap_x2 v[6:7], v0, v[1:4], s[26:27] offset:24 glc
	s_waitcnt vmcnt(0)
	buffer_gl1_inv
	buffer_gl0_inv
	v_cmpx_ne_u64_e64 v[6:7], v[3:4]
	s_cbranch_execz .LBB4_1125
; %bb.1122:
	s_mov_b32 s7, 0
	.p2align	6
.LBB4_1123:                             ; =>This Inner Loop Header: Depth=1
	s_sleep 1
	s_clause 0x1
	global_load_dwordx2 v[1:2], v0, s[26:27] offset:40
	global_load_dwordx2 v[8:9], v0, s[26:27]
	v_mov_b32_e32 v3, v6
	v_mov_b32_e32 v4, v7
	s_waitcnt vmcnt(1)
	v_and_b32_e32 v1, v1, v3
	v_and_b32_e32 v2, v2, v4
	s_waitcnt vmcnt(0)
	v_mad_u64_u32 v[5:6], null, v1, 24, v[8:9]
	v_mov_b32_e32 v1, v6
	v_mad_u64_u32 v[1:2], null, v2, 24, v[1:2]
	v_mov_b32_e32 v6, v1
	global_load_dwordx2 v[1:2], v[5:6], off glc dlc
	s_waitcnt vmcnt(0)
	global_atomic_cmpswap_x2 v[6:7], v0, v[1:4], s[26:27] offset:24 glc
	s_waitcnt vmcnt(0)
	buffer_gl1_inv
	buffer_gl0_inv
	v_cmp_eq_u64_e32 vcc_lo, v[6:7], v[3:4]
	s_or_b32 s7, vcc_lo, s7
	s_andn2_b32 exec_lo, exec_lo, s7
	s_cbranch_execnz .LBB4_1123
; %bb.1124:
	s_or_b32 exec_lo, exec_lo, s7
.LBB4_1125:
	s_or_b32 exec_lo, exec_lo, s6
.LBB4_1126:
	s_or_b32 exec_lo, exec_lo, s5
	v_mov_b32_e32 v5, 0
	v_readfirstlane_b32 s6, v6
	v_readfirstlane_b32 s7, v7
	s_mov_b32 s5, exec_lo
	s_clause 0x1
	global_load_dwordx2 v[8:9], v5, s[26:27] offset:40
	global_load_dwordx4 v[0:3], v5, s[26:27]
	s_waitcnt vmcnt(1)
	v_readfirstlane_b32 s10, v8
	v_readfirstlane_b32 s11, v9
	s_and_b64 s[10:11], s[6:7], s[10:11]
	s_mul_i32 s16, s11, 24
	s_mul_hi_u32 s17, s10, 24
	s_mul_i32 s18, s10, 24
	s_add_i32 s17, s17, s16
	s_waitcnt vmcnt(0)
	v_add_co_u32 v8, vcc_lo, v0, s18
	v_add_co_ci_u32_e32 v9, vcc_lo, s17, v1, vcc_lo
	s_and_saveexec_b32 s16, s4
	s_cbranch_execz .LBB4_1128
; %bb.1127:
	v_mov_b32_e32 v4, s5
	v_mov_b32_e32 v6, 2
	;; [unrolled: 1-line block ×3, first 2 shown]
	global_store_dwordx4 v[8:9], v[4:7], off offset:8
.LBB4_1128:
	s_or_b32 exec_lo, exec_lo, s16
	s_lshl_b64 s[10:11], s[10:11], 12
	s_mov_b32 s16, 0
	v_add_co_u32 v2, vcc_lo, v2, s10
	v_add_co_ci_u32_e32 v3, vcc_lo, s11, v3, vcc_lo
	s_mov_b32 s17, s16
	v_add_co_u32 v10, vcc_lo, v2, v48
	s_mov_b32 s18, s16
	s_mov_b32 s19, s16
	v_mov_b32_e32 v4, 33
	v_mov_b32_e32 v6, v5
	v_mov_b32_e32 v7, v5
	v_readfirstlane_b32 s10, v2
	v_readfirstlane_b32 s11, v3
	v_mov_b32_e32 v12, s16
	v_add_co_ci_u32_e32 v11, vcc_lo, 0, v3, vcc_lo
	v_mov_b32_e32 v13, s17
	v_mov_b32_e32 v14, s18
	;; [unrolled: 1-line block ×3, first 2 shown]
	global_store_dwordx4 v48, v[4:7], s[10:11]
	global_store_dwordx4 v48, v[12:15], s[10:11] offset:16
	global_store_dwordx4 v48, v[12:15], s[10:11] offset:32
	;; [unrolled: 1-line block ×3, first 2 shown]
	s_and_saveexec_b32 s5, s4
	s_cbranch_execz .LBB4_1136
; %bb.1129:
	v_mov_b32_e32 v6, 0
	v_mov_b32_e32 v12, s6
	;; [unrolled: 1-line block ×3, first 2 shown]
	s_clause 0x1
	global_load_dwordx2 v[14:15], v6, s[26:27] offset:32 glc dlc
	global_load_dwordx2 v[2:3], v6, s[26:27] offset:40
	s_waitcnt vmcnt(0)
	v_readfirstlane_b32 s10, v2
	v_readfirstlane_b32 s11, v3
	s_and_b64 s[10:11], s[10:11], s[6:7]
	s_mul_i32 s11, s11, 24
	s_mul_hi_u32 s16, s10, 24
	s_mul_i32 s10, s10, 24
	s_add_i32 s16, s16, s11
	v_add_co_u32 v4, vcc_lo, v0, s10
	v_add_co_ci_u32_e32 v5, vcc_lo, s16, v1, vcc_lo
	s_mov_b32 s10, exec_lo
	global_store_dwordx2 v[4:5], v[14:15], off
	s_waitcnt_vscnt null, 0x0
	global_atomic_cmpswap_x2 v[2:3], v6, v[12:15], s[26:27] offset:32 glc
	s_waitcnt vmcnt(0)
	v_cmpx_ne_u64_e64 v[2:3], v[14:15]
	s_cbranch_execz .LBB4_1132
; %bb.1130:
	s_mov_b32 s11, 0
.LBB4_1131:                             ; =>This Inner Loop Header: Depth=1
	v_mov_b32_e32 v0, s6
	v_mov_b32_e32 v1, s7
	s_sleep 1
	global_store_dwordx2 v[4:5], v[2:3], off
	s_waitcnt_vscnt null, 0x0
	global_atomic_cmpswap_x2 v[0:1], v6, v[0:3], s[26:27] offset:32 glc
	s_waitcnt vmcnt(0)
	v_cmp_eq_u64_e32 vcc_lo, v[0:1], v[2:3]
	v_mov_b32_e32 v3, v1
	v_mov_b32_e32 v2, v0
	s_or_b32 s11, vcc_lo, s11
	s_andn2_b32 exec_lo, exec_lo, s11
	s_cbranch_execnz .LBB4_1131
.LBB4_1132:
	s_or_b32 exec_lo, exec_lo, s10
	v_mov_b32_e32 v3, 0
	s_mov_b32 s11, exec_lo
	s_mov_b32 s10, exec_lo
	v_mbcnt_lo_u32_b32 v2, s11, 0
	global_load_dwordx2 v[0:1], v3, s[26:27] offset:16
	v_cmpx_eq_u32_e32 0, v2
	s_cbranch_execz .LBB4_1134
; %bb.1133:
	s_bcnt1_i32_b32 s11, s11
	v_mov_b32_e32 v2, s11
	s_waitcnt vmcnt(0)
	global_atomic_add_x2 v[0:1], v[2:3], off offset:8
.LBB4_1134:
	s_or_b32 exec_lo, exec_lo, s10
	s_waitcnt vmcnt(0)
	global_load_dwordx2 v[2:3], v[0:1], off offset:16
	s_waitcnt vmcnt(0)
	v_cmp_eq_u64_e32 vcc_lo, 0, v[2:3]
	s_cbranch_vccnz .LBB4_1136
; %bb.1135:
	global_load_dword v0, v[0:1], off offset:24
	v_mov_b32_e32 v1, 0
	s_waitcnt vmcnt(0)
	v_and_b32_e32 v4, 0x7fffff, v0
	s_waitcnt_vscnt null, 0x0
	global_store_dwordx2 v[2:3], v[0:1], off
	v_readfirstlane_b32 m0, v4
	s_sendmsg sendmsg(MSG_INTERRUPT)
.LBB4_1136:
	s_or_b32 exec_lo, exec_lo, s5
	s_branch .LBB4_1140
	.p2align	6
.LBB4_1137:                             ;   in Loop: Header=BB4_1140 Depth=1
	s_or_b32 exec_lo, exec_lo, s5
	v_readfirstlane_b32 s5, v0
	s_cmp_eq_u32 s5, 0
	s_cbranch_scc1 .LBB4_1139
; %bb.1138:                             ;   in Loop: Header=BB4_1140 Depth=1
	s_sleep 1
	s_cbranch_execnz .LBB4_1140
	s_branch .LBB4_1142
	.p2align	6
.LBB4_1139:
	s_branch .LBB4_1142
.LBB4_1140:                             ; =>This Inner Loop Header: Depth=1
	v_mov_b32_e32 v0, 1
	s_and_saveexec_b32 s5, s4
	s_cbranch_execz .LBB4_1137
; %bb.1141:                             ;   in Loop: Header=BB4_1140 Depth=1
	global_load_dword v0, v[8:9], off offset:20 glc dlc
	s_waitcnt vmcnt(0)
	buffer_gl1_inv
	buffer_gl0_inv
	v_and_b32_e32 v0, 1, v0
	s_branch .LBB4_1137
.LBB4_1142:
	global_load_dwordx2 v[0:1], v[10:11], off
	s_and_saveexec_b32 s5, s4
	s_cbranch_execz .LBB4_1146
; %bb.1143:
	v_mov_b32_e32 v8, 0
	s_clause 0x2
	global_load_dwordx2 v[4:5], v8, s[26:27] offset:40
	global_load_dwordx2 v[9:10], v8, s[26:27] offset:24 glc dlc
	global_load_dwordx2 v[6:7], v8, s[26:27]
	s_waitcnt vmcnt(2)
	v_add_co_u32 v11, vcc_lo, v4, 1
	v_add_co_ci_u32_e32 v12, vcc_lo, 0, v5, vcc_lo
	v_add_co_u32 v2, vcc_lo, v11, s6
	v_add_co_ci_u32_e32 v3, vcc_lo, s7, v12, vcc_lo
	v_cmp_eq_u64_e32 vcc_lo, 0, v[2:3]
	v_cndmask_b32_e32 v3, v3, v12, vcc_lo
	v_cndmask_b32_e32 v2, v2, v11, vcc_lo
	v_and_b32_e32 v5, v3, v5
	v_and_b32_e32 v4, v2, v4
	v_mul_lo_u32 v5, v5, 24
	v_mul_hi_u32 v11, v4, 24
	v_mul_lo_u32 v4, v4, 24
	v_add_nc_u32_e32 v5, v11, v5
	s_waitcnt vmcnt(0)
	v_add_co_u32 v6, vcc_lo, v6, v4
	v_mov_b32_e32 v4, v9
	v_add_co_ci_u32_e32 v7, vcc_lo, v7, v5, vcc_lo
	v_mov_b32_e32 v5, v10
	global_store_dwordx2 v[6:7], v[9:10], off
	s_waitcnt_vscnt null, 0x0
	global_atomic_cmpswap_x2 v[4:5], v8, v[2:5], s[26:27] offset:24 glc
	s_waitcnt vmcnt(0)
	v_cmp_ne_u64_e32 vcc_lo, v[4:5], v[9:10]
	s_and_b32 exec_lo, exec_lo, vcc_lo
	s_cbranch_execz .LBB4_1146
; %bb.1144:
	s_mov_b32 s4, 0
.LBB4_1145:                             ; =>This Inner Loop Header: Depth=1
	s_sleep 1
	global_store_dwordx2 v[6:7], v[4:5], off
	s_waitcnt_vscnt null, 0x0
	global_atomic_cmpswap_x2 v[9:10], v8, v[2:5], s[26:27] offset:24 glc
	s_waitcnt vmcnt(0)
	v_cmp_eq_u64_e32 vcc_lo, v[9:10], v[4:5]
	v_mov_b32_e32 v4, v9
	v_mov_b32_e32 v5, v10
	s_or_b32 s4, vcc_lo, s4
	s_andn2_b32 exec_lo, exec_lo, s4
	s_cbranch_execnz .LBB4_1145
.LBB4_1146:
	s_or_b32 exec_lo, exec_lo, s5
	s_and_b32 vcc_lo, exec_lo, s34
	s_cbranch_vccz .LBB4_1225
; %bb.1147:
	s_waitcnt vmcnt(0)
	v_and_b32_e32 v31, 2, v0
	v_mov_b32_e32 v6, 0
	v_and_b32_e32 v2, -3, v0
	v_mov_b32_e32 v3, v1
	v_mov_b32_e32 v7, 2
	;; [unrolled: 1-line block ×3, first 2 shown]
	s_mov_b64 s[10:11], 3
	s_getpc_b64 s[6:7]
	s_add_u32 s6, s6, .str.6@rel32@lo+4
	s_addc_u32 s7, s7, .str.6@rel32@hi+12
	s_branch .LBB4_1149
.LBB4_1148:                             ;   in Loop: Header=BB4_1149 Depth=1
	s_or_b32 exec_lo, exec_lo, s5
	s_sub_u32 s10, s10, s16
	s_subb_u32 s11, s11, s17
	s_add_u32 s6, s6, s16
	s_addc_u32 s7, s7, s17
	s_cmp_lg_u64 s[10:11], 0
	s_cbranch_scc0 .LBB4_1224
.LBB4_1149:                             ; =>This Loop Header: Depth=1
                                        ;     Child Loop BB4_1158 Depth 2
                                        ;     Child Loop BB4_1154 Depth 2
	;; [unrolled: 1-line block ×11, first 2 shown]
	v_cmp_lt_u64_e64 s4, s[10:11], 56
	v_cmp_gt_u64_e64 s5, s[10:11], 7
                                        ; implicit-def: $vgpr11_vgpr12
                                        ; implicit-def: $sgpr22
	s_and_b32 s4, s4, exec_lo
	s_cselect_b32 s17, s11, 0
	s_cselect_b32 s16, s10, 56
	s_and_b32 vcc_lo, exec_lo, s5
	s_mov_b32 s4, -1
	s_cbranch_vccz .LBB4_1156
; %bb.1150:                             ;   in Loop: Header=BB4_1149 Depth=1
	s_andn2_b32 vcc_lo, exec_lo, s4
	s_mov_b64 s[4:5], s[6:7]
	s_cbranch_vccz .LBB4_1160
.LBB4_1151:                             ;   in Loop: Header=BB4_1149 Depth=1
	s_cmp_gt_u32 s22, 7
	s_cbranch_scc1 .LBB4_1161
.LBB4_1152:                             ;   in Loop: Header=BB4_1149 Depth=1
	v_mov_b32_e32 v13, 0
	v_mov_b32_e32 v14, 0
	s_cmp_eq_u32 s22, 0
	s_cbranch_scc1 .LBB4_1155
; %bb.1153:                             ;   in Loop: Header=BB4_1149 Depth=1
	s_mov_b64 s[18:19], 0
	s_mov_b64 s[20:21], 0
.LBB4_1154:                             ;   Parent Loop BB4_1149 Depth=1
                                        ; =>  This Inner Loop Header: Depth=2
	s_add_u32 s24, s4, s20
	s_addc_u32 s25, s5, s21
	s_add_u32 s20, s20, 1
	global_load_ubyte v4, v6, s[24:25]
	s_addc_u32 s21, s21, 0
	s_waitcnt vmcnt(0)
	v_and_b32_e32 v5, 0xffff, v4
	v_lshlrev_b64 v[4:5], s18, v[5:6]
	s_add_u32 s18, s18, 8
	s_addc_u32 s19, s19, 0
	s_cmp_lg_u32 s22, s20
	v_or_b32_e32 v13, v4, v13
	v_or_b32_e32 v14, v5, v14
	s_cbranch_scc1 .LBB4_1154
.LBB4_1155:                             ;   in Loop: Header=BB4_1149 Depth=1
	s_mov_b32 s23, 0
	s_cbranch_execz .LBB4_1162
	s_branch .LBB4_1163
.LBB4_1156:                             ;   in Loop: Header=BB4_1149 Depth=1
	v_mov_b32_e32 v11, 0
	v_mov_b32_e32 v12, 0
	s_cmp_eq_u64 s[10:11], 0
	s_mov_b64 s[4:5], 0
	s_cbranch_scc1 .LBB4_1159
; %bb.1157:                             ;   in Loop: Header=BB4_1149 Depth=1
	v_mov_b32_e32 v11, 0
	v_mov_b32_e32 v12, 0
	s_lshl_b64 s[18:19], s[16:17], 3
	s_mov_b64 s[20:21], s[6:7]
.LBB4_1158:                             ;   Parent Loop BB4_1149 Depth=1
                                        ; =>  This Inner Loop Header: Depth=2
	global_load_ubyte v4, v6, s[20:21]
	s_waitcnt vmcnt(0)
	v_and_b32_e32 v5, 0xffff, v4
	v_lshlrev_b64 v[4:5], s4, v[5:6]
	s_add_u32 s4, s4, 8
	s_addc_u32 s5, s5, 0
	s_add_u32 s20, s20, 1
	s_addc_u32 s21, s21, 0
	s_cmp_lg_u32 s18, s4
	v_or_b32_e32 v11, v4, v11
	v_or_b32_e32 v12, v5, v12
	s_cbranch_scc1 .LBB4_1158
.LBB4_1159:                             ;   in Loop: Header=BB4_1149 Depth=1
	s_mov_b32 s22, 0
	s_mov_b64 s[4:5], s[6:7]
	s_cbranch_execnz .LBB4_1151
.LBB4_1160:                             ;   in Loop: Header=BB4_1149 Depth=1
	global_load_dwordx2 v[11:12], v6, s[6:7]
	s_add_i32 s22, s16, -8
	s_add_u32 s4, s6, 8
	s_addc_u32 s5, s7, 0
	s_cmp_gt_u32 s22, 7
	s_cbranch_scc0 .LBB4_1152
.LBB4_1161:                             ;   in Loop: Header=BB4_1149 Depth=1
                                        ; implicit-def: $vgpr13_vgpr14
                                        ; implicit-def: $sgpr23
.LBB4_1162:                             ;   in Loop: Header=BB4_1149 Depth=1
	global_load_dwordx2 v[13:14], v6, s[4:5]
	s_add_i32 s23, s22, -8
	s_add_u32 s4, s4, 8
	s_addc_u32 s5, s5, 0
.LBB4_1163:                             ;   in Loop: Header=BB4_1149 Depth=1
	s_cmp_gt_u32 s23, 7
	s_cbranch_scc1 .LBB4_1168
; %bb.1164:                             ;   in Loop: Header=BB4_1149 Depth=1
	v_mov_b32_e32 v15, 0
	v_mov_b32_e32 v16, 0
	s_cmp_eq_u32 s23, 0
	s_cbranch_scc1 .LBB4_1167
; %bb.1165:                             ;   in Loop: Header=BB4_1149 Depth=1
	s_mov_b64 s[18:19], 0
	s_mov_b64 s[20:21], 0
.LBB4_1166:                             ;   Parent Loop BB4_1149 Depth=1
                                        ; =>  This Inner Loop Header: Depth=2
	s_add_u32 s24, s4, s20
	s_addc_u32 s25, s5, s21
	s_add_u32 s20, s20, 1
	global_load_ubyte v4, v6, s[24:25]
	s_addc_u32 s21, s21, 0
	s_waitcnt vmcnt(0)
	v_and_b32_e32 v5, 0xffff, v4
	v_lshlrev_b64 v[4:5], s18, v[5:6]
	s_add_u32 s18, s18, 8
	s_addc_u32 s19, s19, 0
	s_cmp_lg_u32 s23, s20
	v_or_b32_e32 v15, v4, v15
	v_or_b32_e32 v16, v5, v16
	s_cbranch_scc1 .LBB4_1166
.LBB4_1167:                             ;   in Loop: Header=BB4_1149 Depth=1
	s_mov_b32 s22, 0
	s_cbranch_execz .LBB4_1169
	s_branch .LBB4_1170
.LBB4_1168:                             ;   in Loop: Header=BB4_1149 Depth=1
                                        ; implicit-def: $sgpr22
.LBB4_1169:                             ;   in Loop: Header=BB4_1149 Depth=1
	global_load_dwordx2 v[15:16], v6, s[4:5]
	s_add_i32 s22, s23, -8
	s_add_u32 s4, s4, 8
	s_addc_u32 s5, s5, 0
.LBB4_1170:                             ;   in Loop: Header=BB4_1149 Depth=1
	s_cmp_gt_u32 s22, 7
	s_cbranch_scc1 .LBB4_1175
; %bb.1171:                             ;   in Loop: Header=BB4_1149 Depth=1
	v_mov_b32_e32 v17, 0
	v_mov_b32_e32 v18, 0
	s_cmp_eq_u32 s22, 0
	s_cbranch_scc1 .LBB4_1174
; %bb.1172:                             ;   in Loop: Header=BB4_1149 Depth=1
	s_mov_b64 s[18:19], 0
	s_mov_b64 s[20:21], 0
.LBB4_1173:                             ;   Parent Loop BB4_1149 Depth=1
                                        ; =>  This Inner Loop Header: Depth=2
	s_add_u32 s24, s4, s20
	s_addc_u32 s25, s5, s21
	s_add_u32 s20, s20, 1
	global_load_ubyte v4, v6, s[24:25]
	s_addc_u32 s21, s21, 0
	s_waitcnt vmcnt(0)
	v_and_b32_e32 v5, 0xffff, v4
	v_lshlrev_b64 v[4:5], s18, v[5:6]
	s_add_u32 s18, s18, 8
	s_addc_u32 s19, s19, 0
	s_cmp_lg_u32 s22, s20
	v_or_b32_e32 v17, v4, v17
	v_or_b32_e32 v18, v5, v18
	s_cbranch_scc1 .LBB4_1173
.LBB4_1174:                             ;   in Loop: Header=BB4_1149 Depth=1
	s_mov_b32 s23, 0
	s_cbranch_execz .LBB4_1176
	s_branch .LBB4_1177
.LBB4_1175:                             ;   in Loop: Header=BB4_1149 Depth=1
                                        ; implicit-def: $vgpr17_vgpr18
                                        ; implicit-def: $sgpr23
.LBB4_1176:                             ;   in Loop: Header=BB4_1149 Depth=1
	global_load_dwordx2 v[17:18], v6, s[4:5]
	s_add_i32 s23, s22, -8
	s_add_u32 s4, s4, 8
	s_addc_u32 s5, s5, 0
.LBB4_1177:                             ;   in Loop: Header=BB4_1149 Depth=1
	s_cmp_gt_u32 s23, 7
	s_cbranch_scc1 .LBB4_1182
; %bb.1178:                             ;   in Loop: Header=BB4_1149 Depth=1
	v_mov_b32_e32 v19, 0
	v_mov_b32_e32 v20, 0
	s_cmp_eq_u32 s23, 0
	s_cbranch_scc1 .LBB4_1181
; %bb.1179:                             ;   in Loop: Header=BB4_1149 Depth=1
	s_mov_b64 s[18:19], 0
	s_mov_b64 s[20:21], 0
.LBB4_1180:                             ;   Parent Loop BB4_1149 Depth=1
                                        ; =>  This Inner Loop Header: Depth=2
	s_add_u32 s24, s4, s20
	s_addc_u32 s25, s5, s21
	s_add_u32 s20, s20, 1
	global_load_ubyte v4, v6, s[24:25]
	s_addc_u32 s21, s21, 0
	s_waitcnt vmcnt(0)
	v_and_b32_e32 v5, 0xffff, v4
	v_lshlrev_b64 v[4:5], s18, v[5:6]
	s_add_u32 s18, s18, 8
	s_addc_u32 s19, s19, 0
	s_cmp_lg_u32 s23, s20
	v_or_b32_e32 v19, v4, v19
	v_or_b32_e32 v20, v5, v20
	s_cbranch_scc1 .LBB4_1180
.LBB4_1181:                             ;   in Loop: Header=BB4_1149 Depth=1
	s_mov_b32 s22, 0
	s_cbranch_execz .LBB4_1183
	s_branch .LBB4_1184
.LBB4_1182:                             ;   in Loop: Header=BB4_1149 Depth=1
                                        ; implicit-def: $sgpr22
.LBB4_1183:                             ;   in Loop: Header=BB4_1149 Depth=1
	global_load_dwordx2 v[19:20], v6, s[4:5]
	s_add_i32 s22, s23, -8
	s_add_u32 s4, s4, 8
	s_addc_u32 s5, s5, 0
.LBB4_1184:                             ;   in Loop: Header=BB4_1149 Depth=1
	s_cmp_gt_u32 s22, 7
	s_cbranch_scc1 .LBB4_1189
; %bb.1185:                             ;   in Loop: Header=BB4_1149 Depth=1
	v_mov_b32_e32 v21, 0
	v_mov_b32_e32 v22, 0
	s_cmp_eq_u32 s22, 0
	s_cbranch_scc1 .LBB4_1188
; %bb.1186:                             ;   in Loop: Header=BB4_1149 Depth=1
	s_mov_b64 s[18:19], 0
	s_mov_b64 s[20:21], 0
.LBB4_1187:                             ;   Parent Loop BB4_1149 Depth=1
                                        ; =>  This Inner Loop Header: Depth=2
	s_add_u32 s24, s4, s20
	s_addc_u32 s25, s5, s21
	s_add_u32 s20, s20, 1
	global_load_ubyte v4, v6, s[24:25]
	s_addc_u32 s21, s21, 0
	s_waitcnt vmcnt(0)
	v_and_b32_e32 v5, 0xffff, v4
	v_lshlrev_b64 v[4:5], s18, v[5:6]
	s_add_u32 s18, s18, 8
	s_addc_u32 s19, s19, 0
	s_cmp_lg_u32 s22, s20
	v_or_b32_e32 v21, v4, v21
	v_or_b32_e32 v22, v5, v22
	s_cbranch_scc1 .LBB4_1187
.LBB4_1188:                             ;   in Loop: Header=BB4_1149 Depth=1
	s_mov_b32 s23, 0
	s_cbranch_execz .LBB4_1190
	s_branch .LBB4_1191
.LBB4_1189:                             ;   in Loop: Header=BB4_1149 Depth=1
                                        ; implicit-def: $vgpr21_vgpr22
                                        ; implicit-def: $sgpr23
.LBB4_1190:                             ;   in Loop: Header=BB4_1149 Depth=1
	global_load_dwordx2 v[21:22], v6, s[4:5]
	s_add_i32 s23, s22, -8
	s_add_u32 s4, s4, 8
	s_addc_u32 s5, s5, 0
.LBB4_1191:                             ;   in Loop: Header=BB4_1149 Depth=1
	s_cmp_gt_u32 s23, 7
	s_cbranch_scc1 .LBB4_1196
; %bb.1192:                             ;   in Loop: Header=BB4_1149 Depth=1
	v_mov_b32_e32 v23, 0
	v_mov_b32_e32 v24, 0
	s_cmp_eq_u32 s23, 0
	s_cbranch_scc1 .LBB4_1195
; %bb.1193:                             ;   in Loop: Header=BB4_1149 Depth=1
	s_mov_b64 s[18:19], 0
	s_mov_b64 s[20:21], s[4:5]
.LBB4_1194:                             ;   Parent Loop BB4_1149 Depth=1
                                        ; =>  This Inner Loop Header: Depth=2
	global_load_ubyte v4, v6, s[20:21]
	s_add_i32 s23, s23, -1
	s_waitcnt vmcnt(0)
	v_and_b32_e32 v5, 0xffff, v4
	v_lshlrev_b64 v[4:5], s18, v[5:6]
	s_add_u32 s18, s18, 8
	s_addc_u32 s19, s19, 0
	s_add_u32 s20, s20, 1
	s_addc_u32 s21, s21, 0
	s_cmp_lg_u32 s23, 0
	v_or_b32_e32 v23, v4, v23
	v_or_b32_e32 v24, v5, v24
	s_cbranch_scc1 .LBB4_1194
.LBB4_1195:                             ;   in Loop: Header=BB4_1149 Depth=1
	s_cbranch_execz .LBB4_1197
	s_branch .LBB4_1198
.LBB4_1196:                             ;   in Loop: Header=BB4_1149 Depth=1
.LBB4_1197:                             ;   in Loop: Header=BB4_1149 Depth=1
	global_load_dwordx2 v[23:24], v6, s[4:5]
.LBB4_1198:                             ;   in Loop: Header=BB4_1149 Depth=1
	v_readfirstlane_b32 s4, v49
	s_waitcnt vmcnt(0)
	v_mov_b32_e32 v4, 0
	v_mov_b32_e32 v5, 0
	v_cmp_eq_u32_e64 s4, s4, v49
	s_and_saveexec_b32 s5, s4
	s_cbranch_execz .LBB4_1204
; %bb.1199:                             ;   in Loop: Header=BB4_1149 Depth=1
	global_load_dwordx2 v[27:28], v6, s[26:27] offset:24 glc dlc
	s_waitcnt vmcnt(0)
	buffer_gl1_inv
	buffer_gl0_inv
	s_clause 0x1
	global_load_dwordx2 v[4:5], v6, s[26:27] offset:40
	global_load_dwordx2 v[9:10], v6, s[26:27]
	s_mov_b32 s18, exec_lo
	s_waitcnt vmcnt(1)
	v_and_b32_e32 v5, v5, v28
	v_and_b32_e32 v4, v4, v27
	v_mul_lo_u32 v5, v5, 24
	v_mul_hi_u32 v25, v4, 24
	v_mul_lo_u32 v4, v4, 24
	v_add_nc_u32_e32 v5, v25, v5
	s_waitcnt vmcnt(0)
	v_add_co_u32 v4, vcc_lo, v9, v4
	v_add_co_ci_u32_e32 v5, vcc_lo, v10, v5, vcc_lo
	global_load_dwordx2 v[25:26], v[4:5], off glc dlc
	s_waitcnt vmcnt(0)
	global_atomic_cmpswap_x2 v[4:5], v6, v[25:28], s[26:27] offset:24 glc
	s_waitcnt vmcnt(0)
	buffer_gl1_inv
	buffer_gl0_inv
	v_cmpx_ne_u64_e64 v[4:5], v[27:28]
	s_cbranch_execz .LBB4_1203
; %bb.1200:                             ;   in Loop: Header=BB4_1149 Depth=1
	s_mov_b32 s19, 0
	.p2align	6
.LBB4_1201:                             ;   Parent Loop BB4_1149 Depth=1
                                        ; =>  This Inner Loop Header: Depth=2
	s_sleep 1
	s_clause 0x1
	global_load_dwordx2 v[9:10], v6, s[26:27] offset:40
	global_load_dwordx2 v[25:26], v6, s[26:27]
	v_mov_b32_e32 v28, v5
	v_mov_b32_e32 v27, v4
	s_waitcnt vmcnt(1)
	v_and_b32_e32 v4, v9, v27
	v_and_b32_e32 v9, v10, v28
	s_waitcnt vmcnt(0)
	v_mad_u64_u32 v[4:5], null, v4, 24, v[25:26]
	v_mad_u64_u32 v[9:10], null, v9, 24, v[5:6]
	v_mov_b32_e32 v5, v9
	global_load_dwordx2 v[25:26], v[4:5], off glc dlc
	s_waitcnt vmcnt(0)
	global_atomic_cmpswap_x2 v[4:5], v6, v[25:28], s[26:27] offset:24 glc
	s_waitcnt vmcnt(0)
	buffer_gl1_inv
	buffer_gl0_inv
	v_cmp_eq_u64_e32 vcc_lo, v[4:5], v[27:28]
	s_or_b32 s19, vcc_lo, s19
	s_andn2_b32 exec_lo, exec_lo, s19
	s_cbranch_execnz .LBB4_1201
; %bb.1202:                             ;   in Loop: Header=BB4_1149 Depth=1
	s_or_b32 exec_lo, exec_lo, s19
.LBB4_1203:                             ;   in Loop: Header=BB4_1149 Depth=1
	s_or_b32 exec_lo, exec_lo, s18
.LBB4_1204:                             ;   in Loop: Header=BB4_1149 Depth=1
	s_or_b32 exec_lo, exec_lo, s5
	s_clause 0x1
	global_load_dwordx2 v[9:10], v6, s[26:27] offset:40
	global_load_dwordx4 v[25:28], v6, s[26:27]
	v_readfirstlane_b32 s18, v4
	v_readfirstlane_b32 s19, v5
	s_mov_b32 s5, exec_lo
	s_waitcnt vmcnt(1)
	v_readfirstlane_b32 s20, v9
	v_readfirstlane_b32 s21, v10
	s_and_b64 s[20:21], s[18:19], s[20:21]
	s_mul_i32 s22, s21, 24
	s_mul_hi_u32 s23, s20, 24
	s_mul_i32 s24, s20, 24
	s_add_i32 s23, s23, s22
	s_waitcnt vmcnt(0)
	v_add_co_u32 v29, vcc_lo, v25, s24
	v_add_co_ci_u32_e32 v30, vcc_lo, s23, v26, vcc_lo
	s_and_saveexec_b32 s22, s4
	s_cbranch_execz .LBB4_1206
; %bb.1205:                             ;   in Loop: Header=BB4_1149 Depth=1
	v_mov_b32_e32 v5, s5
	global_store_dwordx4 v[29:30], v[5:8], off offset:8
.LBB4_1206:                             ;   in Loop: Header=BB4_1149 Depth=1
	s_or_b32 exec_lo, exec_lo, s22
	s_lshl_b64 s[20:21], s[20:21], 12
	v_cmp_gt_u64_e64 vcc_lo, s[10:11], 56
	v_or_b32_e32 v5, v2, v31
	v_add_co_u32 v27, s5, v27, s20
	v_add_co_ci_u32_e64 v28, s5, s21, v28, s5
	s_lshl_b32 s5, s16, 2
	v_or_b32_e32 v4, 0, v3
	v_cndmask_b32_e32 v2, v5, v2, vcc_lo
	s_add_i32 s5, s5, 28
	v_readfirstlane_b32 s20, v27
	s_and_b32 s5, s5, 0x1e0
	v_cndmask_b32_e32 v10, v4, v3, vcc_lo
	v_readfirstlane_b32 s21, v28
	v_and_or_b32 v9, 0xffffff1f, v2, s5
	global_store_dwordx4 v48, v[9:12], s[20:21]
	global_store_dwordx4 v48, v[13:16], s[20:21] offset:16
	global_store_dwordx4 v48, v[17:20], s[20:21] offset:32
	;; [unrolled: 1-line block ×3, first 2 shown]
	s_and_saveexec_b32 s5, s4
	s_cbranch_execz .LBB4_1214
; %bb.1207:                             ;   in Loop: Header=BB4_1149 Depth=1
	s_clause 0x1
	global_load_dwordx2 v[13:14], v6, s[26:27] offset:32 glc dlc
	global_load_dwordx2 v[2:3], v6, s[26:27] offset:40
	v_mov_b32_e32 v11, s18
	v_mov_b32_e32 v12, s19
	s_waitcnt vmcnt(0)
	v_readfirstlane_b32 s20, v2
	v_readfirstlane_b32 s21, v3
	s_and_b64 s[20:21], s[20:21], s[18:19]
	s_mul_i32 s21, s21, 24
	s_mul_hi_u32 s22, s20, 24
	s_mul_i32 s20, s20, 24
	s_add_i32 s22, s22, s21
	v_add_co_u32 v9, vcc_lo, v25, s20
	v_add_co_ci_u32_e32 v10, vcc_lo, s22, v26, vcc_lo
	s_mov_b32 s20, exec_lo
	global_store_dwordx2 v[9:10], v[13:14], off
	s_waitcnt_vscnt null, 0x0
	global_atomic_cmpswap_x2 v[4:5], v6, v[11:14], s[26:27] offset:32 glc
	s_waitcnt vmcnt(0)
	v_cmpx_ne_u64_e64 v[4:5], v[13:14]
	s_cbranch_execz .LBB4_1210
; %bb.1208:                             ;   in Loop: Header=BB4_1149 Depth=1
	s_mov_b32 s21, 0
.LBB4_1209:                             ;   Parent Loop BB4_1149 Depth=1
                                        ; =>  This Inner Loop Header: Depth=2
	v_mov_b32_e32 v2, s18
	v_mov_b32_e32 v3, s19
	s_sleep 1
	global_store_dwordx2 v[9:10], v[4:5], off
	s_waitcnt_vscnt null, 0x0
	global_atomic_cmpswap_x2 v[2:3], v6, v[2:5], s[26:27] offset:32 glc
	s_waitcnt vmcnt(0)
	v_cmp_eq_u64_e32 vcc_lo, v[2:3], v[4:5]
	v_mov_b32_e32 v5, v3
	v_mov_b32_e32 v4, v2
	s_or_b32 s21, vcc_lo, s21
	s_andn2_b32 exec_lo, exec_lo, s21
	s_cbranch_execnz .LBB4_1209
.LBB4_1210:                             ;   in Loop: Header=BB4_1149 Depth=1
	s_or_b32 exec_lo, exec_lo, s20
	global_load_dwordx2 v[2:3], v6, s[26:27] offset:16
	s_mov_b32 s21, exec_lo
	s_mov_b32 s20, exec_lo
	v_mbcnt_lo_u32_b32 v4, s21, 0
	v_cmpx_eq_u32_e32 0, v4
	s_cbranch_execz .LBB4_1212
; %bb.1211:                             ;   in Loop: Header=BB4_1149 Depth=1
	s_bcnt1_i32_b32 s21, s21
	v_mov_b32_e32 v5, s21
	s_waitcnt vmcnt(0)
	global_atomic_add_x2 v[2:3], v[5:6], off offset:8
.LBB4_1212:                             ;   in Loop: Header=BB4_1149 Depth=1
	s_or_b32 exec_lo, exec_lo, s20
	s_waitcnt vmcnt(0)
	global_load_dwordx2 v[9:10], v[2:3], off offset:16
	s_waitcnt vmcnt(0)
	v_cmp_eq_u64_e32 vcc_lo, 0, v[9:10]
	s_cbranch_vccnz .LBB4_1214
; %bb.1213:                             ;   in Loop: Header=BB4_1149 Depth=1
	global_load_dword v5, v[2:3], off offset:24
	s_waitcnt vmcnt(0)
	v_and_b32_e32 v2, 0x7fffff, v5
	s_waitcnt_vscnt null, 0x0
	global_store_dwordx2 v[9:10], v[5:6], off
	v_readfirstlane_b32 m0, v2
	s_sendmsg sendmsg(MSG_INTERRUPT)
.LBB4_1214:                             ;   in Loop: Header=BB4_1149 Depth=1
	s_or_b32 exec_lo, exec_lo, s5
	v_add_co_u32 v2, vcc_lo, v27, v48
	v_add_co_ci_u32_e32 v3, vcc_lo, 0, v28, vcc_lo
	s_branch .LBB4_1218
	.p2align	6
.LBB4_1215:                             ;   in Loop: Header=BB4_1218 Depth=2
	s_or_b32 exec_lo, exec_lo, s5
	v_readfirstlane_b32 s5, v4
	s_cmp_eq_u32 s5, 0
	s_cbranch_scc1 .LBB4_1217
; %bb.1216:                             ;   in Loop: Header=BB4_1218 Depth=2
	s_sleep 1
	s_cbranch_execnz .LBB4_1218
	s_branch .LBB4_1220
	.p2align	6
.LBB4_1217:                             ;   in Loop: Header=BB4_1149 Depth=1
	s_branch .LBB4_1220
.LBB4_1218:                             ;   Parent Loop BB4_1149 Depth=1
                                        ; =>  This Inner Loop Header: Depth=2
	v_mov_b32_e32 v4, 1
	s_and_saveexec_b32 s5, s4
	s_cbranch_execz .LBB4_1215
; %bb.1219:                             ;   in Loop: Header=BB4_1218 Depth=2
	global_load_dword v4, v[29:30], off offset:20 glc dlc
	s_waitcnt vmcnt(0)
	buffer_gl1_inv
	buffer_gl0_inv
	v_and_b32_e32 v4, 1, v4
	s_branch .LBB4_1215
.LBB4_1220:                             ;   in Loop: Header=BB4_1149 Depth=1
	global_load_dwordx4 v[2:5], v[2:3], off
	s_and_saveexec_b32 s5, s4
	s_cbranch_execz .LBB4_1148
; %bb.1221:                             ;   in Loop: Header=BB4_1149 Depth=1
	s_clause 0x2
	global_load_dwordx2 v[4:5], v6, s[26:27] offset:40
	global_load_dwordx2 v[13:14], v6, s[26:27] offset:24 glc dlc
	global_load_dwordx2 v[11:12], v6, s[26:27]
	s_waitcnt vmcnt(2)
	v_add_co_u32 v15, vcc_lo, v4, 1
	v_add_co_ci_u32_e32 v16, vcc_lo, 0, v5, vcc_lo
	v_add_co_u32 v9, vcc_lo, v15, s18
	v_add_co_ci_u32_e32 v10, vcc_lo, s19, v16, vcc_lo
	v_cmp_eq_u64_e32 vcc_lo, 0, v[9:10]
	v_cndmask_b32_e32 v10, v10, v16, vcc_lo
	v_cndmask_b32_e32 v9, v9, v15, vcc_lo
	v_and_b32_e32 v5, v10, v5
	v_and_b32_e32 v4, v9, v4
	v_mul_lo_u32 v5, v5, 24
	v_mul_hi_u32 v15, v4, 24
	v_mul_lo_u32 v4, v4, 24
	v_add_nc_u32_e32 v5, v15, v5
	s_waitcnt vmcnt(0)
	v_add_co_u32 v4, vcc_lo, v11, v4
	v_mov_b32_e32 v11, v13
	v_add_co_ci_u32_e32 v5, vcc_lo, v12, v5, vcc_lo
	v_mov_b32_e32 v12, v14
	global_store_dwordx2 v[4:5], v[13:14], off
	s_waitcnt_vscnt null, 0x0
	global_atomic_cmpswap_x2 v[11:12], v6, v[9:12], s[26:27] offset:24 glc
	s_waitcnt vmcnt(0)
	v_cmp_ne_u64_e32 vcc_lo, v[11:12], v[13:14]
	s_and_b32 exec_lo, exec_lo, vcc_lo
	s_cbranch_execz .LBB4_1148
; %bb.1222:                             ;   in Loop: Header=BB4_1149 Depth=1
	s_mov_b32 s4, 0
.LBB4_1223:                             ;   Parent Loop BB4_1149 Depth=1
                                        ; =>  This Inner Loop Header: Depth=2
	s_sleep 1
	global_store_dwordx2 v[4:5], v[11:12], off
	s_waitcnt_vscnt null, 0x0
	global_atomic_cmpswap_x2 v[13:14], v6, v[9:12], s[26:27] offset:24 glc
	s_waitcnt vmcnt(0)
	v_cmp_eq_u64_e32 vcc_lo, v[13:14], v[11:12]
	v_mov_b32_e32 v11, v13
	v_mov_b32_e32 v12, v14
	s_or_b32 s4, vcc_lo, s4
	s_andn2_b32 exec_lo, exec_lo, s4
	s_cbranch_execnz .LBB4_1223
	s_branch .LBB4_1148
.LBB4_1224:
	s_branch .LBB4_1253
.LBB4_1225:
                                        ; implicit-def: $vgpr2_vgpr3
	s_cbranch_execz .LBB4_1253
; %bb.1226:
	v_readfirstlane_b32 s4, v49
	v_mov_b32_e32 v8, 0
	v_mov_b32_e32 v9, 0
	v_cmp_eq_u32_e64 s4, s4, v49
	s_and_saveexec_b32 s5, s4
	s_cbranch_execz .LBB4_1232
; %bb.1227:
	s_waitcnt vmcnt(0)
	v_mov_b32_e32 v2, 0
	s_mov_b32 s6, exec_lo
	global_load_dwordx2 v[5:6], v2, s[26:27] offset:24 glc dlc
	s_waitcnt vmcnt(0)
	buffer_gl1_inv
	buffer_gl0_inv
	s_clause 0x1
	global_load_dwordx2 v[3:4], v2, s[26:27] offset:40
	global_load_dwordx2 v[7:8], v2, s[26:27]
	s_waitcnt vmcnt(1)
	v_and_b32_e32 v4, v4, v6
	v_and_b32_e32 v3, v3, v5
	v_mul_lo_u32 v4, v4, 24
	v_mul_hi_u32 v9, v3, 24
	v_mul_lo_u32 v3, v3, 24
	v_add_nc_u32_e32 v4, v9, v4
	s_waitcnt vmcnt(0)
	v_add_co_u32 v3, vcc_lo, v7, v3
	v_add_co_ci_u32_e32 v4, vcc_lo, v8, v4, vcc_lo
	global_load_dwordx2 v[3:4], v[3:4], off glc dlc
	s_waitcnt vmcnt(0)
	global_atomic_cmpswap_x2 v[8:9], v2, v[3:6], s[26:27] offset:24 glc
	s_waitcnt vmcnt(0)
	buffer_gl1_inv
	buffer_gl0_inv
	v_cmpx_ne_u64_e64 v[8:9], v[5:6]
	s_cbranch_execz .LBB4_1231
; %bb.1228:
	s_mov_b32 s7, 0
	.p2align	6
.LBB4_1229:                             ; =>This Inner Loop Header: Depth=1
	s_sleep 1
	s_clause 0x1
	global_load_dwordx2 v[3:4], v2, s[26:27] offset:40
	global_load_dwordx2 v[10:11], v2, s[26:27]
	v_mov_b32_e32 v5, v8
	v_mov_b32_e32 v6, v9
	s_waitcnt vmcnt(1)
	v_and_b32_e32 v3, v3, v5
	v_and_b32_e32 v4, v4, v6
	s_waitcnt vmcnt(0)
	v_mad_u64_u32 v[7:8], null, v3, 24, v[10:11]
	v_mov_b32_e32 v3, v8
	v_mad_u64_u32 v[3:4], null, v4, 24, v[3:4]
	v_mov_b32_e32 v8, v3
	global_load_dwordx2 v[3:4], v[7:8], off glc dlc
	s_waitcnt vmcnt(0)
	global_atomic_cmpswap_x2 v[8:9], v2, v[3:6], s[26:27] offset:24 glc
	s_waitcnt vmcnt(0)
	buffer_gl1_inv
	buffer_gl0_inv
	v_cmp_eq_u64_e32 vcc_lo, v[8:9], v[5:6]
	s_or_b32 s7, vcc_lo, s7
	s_andn2_b32 exec_lo, exec_lo, s7
	s_cbranch_execnz .LBB4_1229
; %bb.1230:
	s_or_b32 exec_lo, exec_lo, s7
.LBB4_1231:
	s_or_b32 exec_lo, exec_lo, s6
.LBB4_1232:
	s_or_b32 exec_lo, exec_lo, s5
	s_waitcnt vmcnt(0)
	v_mov_b32_e32 v2, 0
	v_readfirstlane_b32 s6, v8
	v_readfirstlane_b32 s7, v9
	s_mov_b32 s5, exec_lo
	s_clause 0x1
	global_load_dwordx2 v[10:11], v2, s[26:27] offset:40
	global_load_dwordx4 v[4:7], v2, s[26:27]
	s_waitcnt vmcnt(1)
	v_readfirstlane_b32 s10, v10
	v_readfirstlane_b32 s11, v11
	s_and_b64 s[10:11], s[6:7], s[10:11]
	s_mul_i32 s16, s11, 24
	s_mul_hi_u32 s17, s10, 24
	s_mul_i32 s18, s10, 24
	s_add_i32 s17, s17, s16
	s_waitcnt vmcnt(0)
	v_add_co_u32 v8, vcc_lo, v4, s18
	v_add_co_ci_u32_e32 v9, vcc_lo, s17, v5, vcc_lo
	s_and_saveexec_b32 s16, s4
	s_cbranch_execz .LBB4_1234
; %bb.1233:
	v_mov_b32_e32 v10, s5
	v_mov_b32_e32 v11, v2
	;; [unrolled: 1-line block ×4, first 2 shown]
	global_store_dwordx4 v[8:9], v[10:13], off offset:8
.LBB4_1234:
	s_or_b32 exec_lo, exec_lo, s16
	s_lshl_b64 s[10:11], s[10:11], 12
	s_mov_b32 s16, 0
	v_add_co_u32 v6, vcc_lo, v6, s10
	v_add_co_ci_u32_e32 v7, vcc_lo, s11, v7, vcc_lo
	s_mov_b32 s17, s16
	v_readfirstlane_b32 s10, v6
	v_add_co_u32 v6, vcc_lo, v6, v48
	s_mov_b32 s18, s16
	s_mov_b32 s19, s16
	v_and_or_b32 v0, 0xffffff1f, v0, 32
	v_mov_b32_e32 v3, v2
	v_readfirstlane_b32 s11, v7
	v_mov_b32_e32 v10, s16
	v_add_co_ci_u32_e32 v7, vcc_lo, 0, v7, vcc_lo
	v_mov_b32_e32 v11, s17
	v_mov_b32_e32 v12, s18
	;; [unrolled: 1-line block ×3, first 2 shown]
	global_store_dwordx4 v48, v[0:3], s[10:11]
	global_store_dwordx4 v48, v[10:13], s[10:11] offset:16
	global_store_dwordx4 v48, v[10:13], s[10:11] offset:32
	;; [unrolled: 1-line block ×3, first 2 shown]
	s_and_saveexec_b32 s5, s4
	s_cbranch_execz .LBB4_1242
; %bb.1235:
	v_mov_b32_e32 v10, 0
	v_mov_b32_e32 v11, s6
	;; [unrolled: 1-line block ×3, first 2 shown]
	s_clause 0x1
	global_load_dwordx2 v[13:14], v10, s[26:27] offset:32 glc dlc
	global_load_dwordx2 v[0:1], v10, s[26:27] offset:40
	s_waitcnt vmcnt(0)
	v_readfirstlane_b32 s10, v0
	v_readfirstlane_b32 s11, v1
	s_and_b64 s[10:11], s[10:11], s[6:7]
	s_mul_i32 s11, s11, 24
	s_mul_hi_u32 s16, s10, 24
	s_mul_i32 s10, s10, 24
	s_add_i32 s16, s16, s11
	v_add_co_u32 v4, vcc_lo, v4, s10
	v_add_co_ci_u32_e32 v5, vcc_lo, s16, v5, vcc_lo
	s_mov_b32 s10, exec_lo
	global_store_dwordx2 v[4:5], v[13:14], off
	s_waitcnt_vscnt null, 0x0
	global_atomic_cmpswap_x2 v[2:3], v10, v[11:14], s[26:27] offset:32 glc
	s_waitcnt vmcnt(0)
	v_cmpx_ne_u64_e64 v[2:3], v[13:14]
	s_cbranch_execz .LBB4_1238
; %bb.1236:
	s_mov_b32 s11, 0
.LBB4_1237:                             ; =>This Inner Loop Header: Depth=1
	v_mov_b32_e32 v0, s6
	v_mov_b32_e32 v1, s7
	s_sleep 1
	global_store_dwordx2 v[4:5], v[2:3], off
	s_waitcnt_vscnt null, 0x0
	global_atomic_cmpswap_x2 v[0:1], v10, v[0:3], s[26:27] offset:32 glc
	s_waitcnt vmcnt(0)
	v_cmp_eq_u64_e32 vcc_lo, v[0:1], v[2:3]
	v_mov_b32_e32 v3, v1
	v_mov_b32_e32 v2, v0
	s_or_b32 s11, vcc_lo, s11
	s_andn2_b32 exec_lo, exec_lo, s11
	s_cbranch_execnz .LBB4_1237
.LBB4_1238:
	s_or_b32 exec_lo, exec_lo, s10
	v_mov_b32_e32 v3, 0
	s_mov_b32 s11, exec_lo
	s_mov_b32 s10, exec_lo
	v_mbcnt_lo_u32_b32 v2, s11, 0
	global_load_dwordx2 v[0:1], v3, s[26:27] offset:16
	v_cmpx_eq_u32_e32 0, v2
	s_cbranch_execz .LBB4_1240
; %bb.1239:
	s_bcnt1_i32_b32 s11, s11
	v_mov_b32_e32 v2, s11
	s_waitcnt vmcnt(0)
	global_atomic_add_x2 v[0:1], v[2:3], off offset:8
.LBB4_1240:
	s_or_b32 exec_lo, exec_lo, s10
	s_waitcnt vmcnt(0)
	global_load_dwordx2 v[2:3], v[0:1], off offset:16
	s_waitcnt vmcnt(0)
	v_cmp_eq_u64_e32 vcc_lo, 0, v[2:3]
	s_cbranch_vccnz .LBB4_1242
; %bb.1241:
	global_load_dword v0, v[0:1], off offset:24
	v_mov_b32_e32 v1, 0
	s_waitcnt vmcnt(0)
	v_and_b32_e32 v4, 0x7fffff, v0
	s_waitcnt_vscnt null, 0x0
	global_store_dwordx2 v[2:3], v[0:1], off
	v_readfirstlane_b32 m0, v4
	s_sendmsg sendmsg(MSG_INTERRUPT)
.LBB4_1242:
	s_or_b32 exec_lo, exec_lo, s5
	s_branch .LBB4_1246
	.p2align	6
.LBB4_1243:                             ;   in Loop: Header=BB4_1246 Depth=1
	s_or_b32 exec_lo, exec_lo, s5
	v_readfirstlane_b32 s5, v0
	s_cmp_eq_u32 s5, 0
	s_cbranch_scc1 .LBB4_1245
; %bb.1244:                             ;   in Loop: Header=BB4_1246 Depth=1
	s_sleep 1
	s_cbranch_execnz .LBB4_1246
	s_branch .LBB4_1248
	.p2align	6
.LBB4_1245:
	s_branch .LBB4_1248
.LBB4_1246:                             ; =>This Inner Loop Header: Depth=1
	v_mov_b32_e32 v0, 1
	s_and_saveexec_b32 s5, s4
	s_cbranch_execz .LBB4_1243
; %bb.1247:                             ;   in Loop: Header=BB4_1246 Depth=1
	global_load_dword v0, v[8:9], off offset:20 glc dlc
	s_waitcnt vmcnt(0)
	buffer_gl1_inv
	buffer_gl0_inv
	v_and_b32_e32 v0, 1, v0
	s_branch .LBB4_1243
.LBB4_1248:
	global_load_dwordx2 v[2:3], v[6:7], off
	s_and_saveexec_b32 s5, s4
	s_cbranch_execz .LBB4_1252
; %bb.1249:
	v_mov_b32_e32 v8, 0
	s_clause 0x2
	global_load_dwordx2 v[0:1], v8, s[26:27] offset:40
	global_load_dwordx2 v[9:10], v8, s[26:27] offset:24 glc dlc
	global_load_dwordx2 v[6:7], v8, s[26:27]
	s_waitcnt vmcnt(2)
	v_add_co_u32 v11, vcc_lo, v0, 1
	v_add_co_ci_u32_e32 v12, vcc_lo, 0, v1, vcc_lo
	v_add_co_u32 v4, vcc_lo, v11, s6
	v_add_co_ci_u32_e32 v5, vcc_lo, s7, v12, vcc_lo
	v_cmp_eq_u64_e32 vcc_lo, 0, v[4:5]
	v_cndmask_b32_e32 v5, v5, v12, vcc_lo
	v_cndmask_b32_e32 v4, v4, v11, vcc_lo
	v_and_b32_e32 v1, v5, v1
	v_and_b32_e32 v0, v4, v0
	v_mul_lo_u32 v1, v1, 24
	v_mul_hi_u32 v11, v0, 24
	v_mul_lo_u32 v0, v0, 24
	v_add_nc_u32_e32 v1, v11, v1
	s_waitcnt vmcnt(0)
	v_add_co_u32 v0, vcc_lo, v6, v0
	v_mov_b32_e32 v6, v9
	v_add_co_ci_u32_e32 v1, vcc_lo, v7, v1, vcc_lo
	v_mov_b32_e32 v7, v10
	global_store_dwordx2 v[0:1], v[9:10], off
	s_waitcnt_vscnt null, 0x0
	global_atomic_cmpswap_x2 v[6:7], v8, v[4:7], s[26:27] offset:24 glc
	s_waitcnt vmcnt(0)
	v_cmp_ne_u64_e32 vcc_lo, v[6:7], v[9:10]
	s_and_b32 exec_lo, exec_lo, vcc_lo
	s_cbranch_execz .LBB4_1252
; %bb.1250:
	s_mov_b32 s4, 0
.LBB4_1251:                             ; =>This Inner Loop Header: Depth=1
	s_sleep 1
	global_store_dwordx2 v[0:1], v[6:7], off
	s_waitcnt_vscnt null, 0x0
	global_atomic_cmpswap_x2 v[9:10], v8, v[4:7], s[26:27] offset:24 glc
	s_waitcnt vmcnt(0)
	v_cmp_eq_u64_e32 vcc_lo, v[9:10], v[6:7]
	v_mov_b32_e32 v6, v9
	v_mov_b32_e32 v7, v10
	s_or_b32 s4, vcc_lo, s4
	s_andn2_b32 exec_lo, exec_lo, s4
	s_cbranch_execnz .LBB4_1251
.LBB4_1252:
	s_or_b32 exec_lo, exec_lo, s5
.LBB4_1253:
	v_readfirstlane_b32 s4, v49
	s_waitcnt vmcnt(0)
	v_mov_b32_e32 v0, 0
	v_mov_b32_e32 v1, 0
	v_cmp_eq_u32_e64 s4, s4, v49
	s_and_saveexec_b32 s5, s4
	s_cbranch_execz .LBB4_1259
; %bb.1254:
	v_mov_b32_e32 v4, 0
	s_mov_b32 s6, exec_lo
	global_load_dwordx2 v[7:8], v4, s[26:27] offset:24 glc dlc
	s_waitcnt vmcnt(0)
	buffer_gl1_inv
	buffer_gl0_inv
	s_clause 0x1
	global_load_dwordx2 v[0:1], v4, s[26:27] offset:40
	global_load_dwordx2 v[5:6], v4, s[26:27]
	s_waitcnt vmcnt(1)
	v_and_b32_e32 v1, v1, v8
	v_and_b32_e32 v0, v0, v7
	v_mul_lo_u32 v1, v1, 24
	v_mul_hi_u32 v9, v0, 24
	v_mul_lo_u32 v0, v0, 24
	v_add_nc_u32_e32 v1, v9, v1
	s_waitcnt vmcnt(0)
	v_add_co_u32 v0, vcc_lo, v5, v0
	v_add_co_ci_u32_e32 v1, vcc_lo, v6, v1, vcc_lo
	global_load_dwordx2 v[5:6], v[0:1], off glc dlc
	s_waitcnt vmcnt(0)
	global_atomic_cmpswap_x2 v[0:1], v4, v[5:8], s[26:27] offset:24 glc
	s_waitcnt vmcnt(0)
	buffer_gl1_inv
	buffer_gl0_inv
	v_cmpx_ne_u64_e64 v[0:1], v[7:8]
	s_cbranch_execz .LBB4_1258
; %bb.1255:
	s_mov_b32 s7, 0
	.p2align	6
.LBB4_1256:                             ; =>This Inner Loop Header: Depth=1
	s_sleep 1
	s_clause 0x1
	global_load_dwordx2 v[5:6], v4, s[26:27] offset:40
	global_load_dwordx2 v[9:10], v4, s[26:27]
	v_mov_b32_e32 v8, v1
	v_mov_b32_e32 v7, v0
	s_waitcnt vmcnt(1)
	v_and_b32_e32 v0, v5, v7
	v_and_b32_e32 v5, v6, v8
	s_waitcnt vmcnt(0)
	v_mad_u64_u32 v[0:1], null, v0, 24, v[9:10]
	v_mad_u64_u32 v[5:6], null, v5, 24, v[1:2]
	v_mov_b32_e32 v1, v5
	global_load_dwordx2 v[5:6], v[0:1], off glc dlc
	s_waitcnt vmcnt(0)
	global_atomic_cmpswap_x2 v[0:1], v4, v[5:8], s[26:27] offset:24 glc
	s_waitcnt vmcnt(0)
	buffer_gl1_inv
	buffer_gl0_inv
	v_cmp_eq_u64_e32 vcc_lo, v[0:1], v[7:8]
	s_or_b32 s7, vcc_lo, s7
	s_andn2_b32 exec_lo, exec_lo, s7
	s_cbranch_execnz .LBB4_1256
; %bb.1257:
	s_or_b32 exec_lo, exec_lo, s7
.LBB4_1258:
	s_or_b32 exec_lo, exec_lo, s6
.LBB4_1259:
	s_or_b32 exec_lo, exec_lo, s5
	v_mov_b32_e32 v5, 0
	v_readfirstlane_b32 s6, v0
	v_readfirstlane_b32 s7, v1
	s_mov_b32 s5, exec_lo
	s_clause 0x1
	global_load_dwordx2 v[10:11], v5, s[26:27] offset:40
	global_load_dwordx4 v[6:9], v5, s[26:27]
	s_waitcnt vmcnt(1)
	v_readfirstlane_b32 s10, v10
	v_readfirstlane_b32 s11, v11
	s_and_b64 s[10:11], s[6:7], s[10:11]
	s_mul_i32 s16, s11, 24
	s_mul_hi_u32 s17, s10, 24
	s_mul_i32 s18, s10, 24
	s_add_i32 s17, s17, s16
	s_waitcnt vmcnt(0)
	v_add_co_u32 v10, vcc_lo, v6, s18
	v_add_co_ci_u32_e32 v11, vcc_lo, s17, v7, vcc_lo
	s_and_saveexec_b32 s16, s4
	s_cbranch_execz .LBB4_1261
; %bb.1260:
	v_mov_b32_e32 v4, s5
	v_mov_b32_e32 v13, v5
	;; [unrolled: 1-line block ×5, first 2 shown]
	global_store_dwordx4 v[10:11], v[12:15], off offset:8
.LBB4_1261:
	s_or_b32 exec_lo, exec_lo, s16
	s_lshl_b64 s[10:11], s[10:11], 12
	s_mov_b32 s16, 0
	v_add_co_u32 v0, vcc_lo, v8, s10
	v_add_co_ci_u32_e32 v1, vcc_lo, s11, v9, vcc_lo
	s_mov_b32 s17, s16
	s_mov_b32 s18, s16
	s_mov_b32 s19, s16
	v_and_or_b32 v2, 0xffffff1d, v2, 34
	v_mov_b32_e32 v4, 10
	v_readfirstlane_b32 s10, v0
	v_readfirstlane_b32 s11, v1
	v_mov_b32_e32 v12, s16
	v_mov_b32_e32 v13, s17
	;; [unrolled: 1-line block ×4, first 2 shown]
	global_store_dwordx4 v48, v[2:5], s[10:11]
	global_store_dwordx4 v48, v[12:15], s[10:11] offset:16
	global_store_dwordx4 v48, v[12:15], s[10:11] offset:32
	;; [unrolled: 1-line block ×3, first 2 shown]
	s_and_saveexec_b32 s5, s4
	s_cbranch_execz .LBB4_1269
; %bb.1262:
	v_mov_b32_e32 v8, 0
	v_mov_b32_e32 v12, s6
	;; [unrolled: 1-line block ×3, first 2 shown]
	s_clause 0x1
	global_load_dwordx2 v[14:15], v8, s[26:27] offset:32 glc dlc
	global_load_dwordx2 v[0:1], v8, s[26:27] offset:40
	s_waitcnt vmcnt(0)
	v_readfirstlane_b32 s10, v0
	v_readfirstlane_b32 s11, v1
	s_and_b64 s[10:11], s[10:11], s[6:7]
	s_mul_i32 s11, s11, 24
	s_mul_hi_u32 s16, s10, 24
	s_mul_i32 s10, s10, 24
	s_add_i32 s16, s16, s11
	v_add_co_u32 v4, vcc_lo, v6, s10
	v_add_co_ci_u32_e32 v5, vcc_lo, s16, v7, vcc_lo
	s_mov_b32 s10, exec_lo
	global_store_dwordx2 v[4:5], v[14:15], off
	s_waitcnt_vscnt null, 0x0
	global_atomic_cmpswap_x2 v[2:3], v8, v[12:15], s[26:27] offset:32 glc
	s_waitcnt vmcnt(0)
	v_cmpx_ne_u64_e64 v[2:3], v[14:15]
	s_cbranch_execz .LBB4_1265
; %bb.1263:
	s_mov_b32 s11, 0
.LBB4_1264:                             ; =>This Inner Loop Header: Depth=1
	v_mov_b32_e32 v0, s6
	v_mov_b32_e32 v1, s7
	s_sleep 1
	global_store_dwordx2 v[4:5], v[2:3], off
	s_waitcnt_vscnt null, 0x0
	global_atomic_cmpswap_x2 v[0:1], v8, v[0:3], s[26:27] offset:32 glc
	s_waitcnt vmcnt(0)
	v_cmp_eq_u64_e32 vcc_lo, v[0:1], v[2:3]
	v_mov_b32_e32 v3, v1
	v_mov_b32_e32 v2, v0
	s_or_b32 s11, vcc_lo, s11
	s_andn2_b32 exec_lo, exec_lo, s11
	s_cbranch_execnz .LBB4_1264
.LBB4_1265:
	s_or_b32 exec_lo, exec_lo, s10
	v_mov_b32_e32 v3, 0
	s_mov_b32 s11, exec_lo
	s_mov_b32 s10, exec_lo
	v_mbcnt_lo_u32_b32 v2, s11, 0
	global_load_dwordx2 v[0:1], v3, s[26:27] offset:16
	v_cmpx_eq_u32_e32 0, v2
	s_cbranch_execz .LBB4_1267
; %bb.1266:
	s_bcnt1_i32_b32 s11, s11
	v_mov_b32_e32 v2, s11
	s_waitcnt vmcnt(0)
	global_atomic_add_x2 v[0:1], v[2:3], off offset:8
.LBB4_1267:
	s_or_b32 exec_lo, exec_lo, s10
	s_waitcnt vmcnt(0)
	global_load_dwordx2 v[2:3], v[0:1], off offset:16
	s_waitcnt vmcnt(0)
	v_cmp_eq_u64_e32 vcc_lo, 0, v[2:3]
	s_cbranch_vccnz .LBB4_1269
; %bb.1268:
	global_load_dword v0, v[0:1], off offset:24
	v_mov_b32_e32 v1, 0
	s_waitcnt vmcnt(0)
	v_and_b32_e32 v4, 0x7fffff, v0
	s_waitcnt_vscnt null, 0x0
	global_store_dwordx2 v[2:3], v[0:1], off
	v_readfirstlane_b32 m0, v4
	s_sendmsg sendmsg(MSG_INTERRUPT)
.LBB4_1269:
	s_or_b32 exec_lo, exec_lo, s5
	s_branch .LBB4_1273
	.p2align	6
.LBB4_1270:                             ;   in Loop: Header=BB4_1273 Depth=1
	s_or_b32 exec_lo, exec_lo, s5
	v_readfirstlane_b32 s5, v0
	s_cmp_eq_u32 s5, 0
	s_cbranch_scc1 .LBB4_1272
; %bb.1271:                             ;   in Loop: Header=BB4_1273 Depth=1
	s_sleep 1
	s_cbranch_execnz .LBB4_1273
	s_branch .LBB4_1275
	.p2align	6
.LBB4_1272:
	s_branch .LBB4_1275
.LBB4_1273:                             ; =>This Inner Loop Header: Depth=1
	v_mov_b32_e32 v0, 1
	s_and_saveexec_b32 s5, s4
	s_cbranch_execz .LBB4_1270
; %bb.1274:                             ;   in Loop: Header=BB4_1273 Depth=1
	global_load_dword v0, v[10:11], off offset:20 glc dlc
	s_waitcnt vmcnt(0)
	buffer_gl1_inv
	buffer_gl0_inv
	v_and_b32_e32 v0, 1, v0
	s_branch .LBB4_1270
.LBB4_1275:
	s_and_saveexec_b32 s5, s4
	s_cbranch_execz .LBB4_1279
; %bb.1276:
	v_mov_b32_e32 v6, 0
	s_clause 0x2
	global_load_dwordx2 v[2:3], v6, s[26:27] offset:40
	global_load_dwordx2 v[7:8], v6, s[26:27] offset:24 glc dlc
	global_load_dwordx2 v[4:5], v6, s[26:27]
	s_waitcnt vmcnt(2)
	v_add_co_u32 v9, vcc_lo, v2, 1
	v_add_co_ci_u32_e32 v10, vcc_lo, 0, v3, vcc_lo
	v_add_co_u32 v0, vcc_lo, v9, s6
	v_add_co_ci_u32_e32 v1, vcc_lo, s7, v10, vcc_lo
	v_cmp_eq_u64_e32 vcc_lo, 0, v[0:1]
	v_cndmask_b32_e32 v1, v1, v10, vcc_lo
	v_cndmask_b32_e32 v0, v0, v9, vcc_lo
	v_and_b32_e32 v3, v1, v3
	v_and_b32_e32 v2, v0, v2
	v_mul_lo_u32 v3, v3, 24
	v_mul_hi_u32 v9, v2, 24
	v_mul_lo_u32 v2, v2, 24
	v_add_nc_u32_e32 v3, v9, v3
	s_waitcnt vmcnt(0)
	v_add_co_u32 v4, vcc_lo, v4, v2
	v_mov_b32_e32 v2, v7
	v_add_co_ci_u32_e32 v5, vcc_lo, v5, v3, vcc_lo
	v_mov_b32_e32 v3, v8
	global_store_dwordx2 v[4:5], v[7:8], off
	s_waitcnt_vscnt null, 0x0
	global_atomic_cmpswap_x2 v[2:3], v6, v[0:3], s[26:27] offset:24 glc
	s_waitcnt vmcnt(0)
	v_cmp_ne_u64_e32 vcc_lo, v[2:3], v[7:8]
	s_and_b32 exec_lo, exec_lo, vcc_lo
	s_cbranch_execz .LBB4_1279
; %bb.1277:
	s_mov_b32 s4, 0
.LBB4_1278:                             ; =>This Inner Loop Header: Depth=1
	s_sleep 1
	global_store_dwordx2 v[4:5], v[2:3], off
	s_waitcnt_vscnt null, 0x0
	global_atomic_cmpswap_x2 v[7:8], v6, v[0:3], s[26:27] offset:24 glc
	s_waitcnt vmcnt(0)
	v_cmp_eq_u64_e32 vcc_lo, v[7:8], v[2:3]
	v_mov_b32_e32 v2, v7
	v_mov_b32_e32 v3, v8
	s_or_b32 s4, vcc_lo, s4
	s_andn2_b32 exec_lo, exec_lo, s4
	s_cbranch_execnz .LBB4_1278
.LBB4_1279:
	s_or_b32 exec_lo, exec_lo, s5
	v_readfirstlane_b32 s4, v49
	v_mov_b32_e32 v6, 0
	v_mov_b32_e32 v7, 0
	v_cmp_eq_u32_e64 s4, s4, v49
	s_and_saveexec_b32 s5, s4
	s_cbranch_execz .LBB4_1285
; %bb.1280:
	v_mov_b32_e32 v0, 0
	s_mov_b32 s6, exec_lo
	global_load_dwordx2 v[3:4], v0, s[26:27] offset:24 glc dlc
	s_waitcnt vmcnt(0)
	buffer_gl1_inv
	buffer_gl0_inv
	s_clause 0x1
	global_load_dwordx2 v[1:2], v0, s[26:27] offset:40
	global_load_dwordx2 v[5:6], v0, s[26:27]
	s_waitcnt vmcnt(1)
	v_and_b32_e32 v2, v2, v4
	v_and_b32_e32 v1, v1, v3
	v_mul_lo_u32 v2, v2, 24
	v_mul_hi_u32 v7, v1, 24
	v_mul_lo_u32 v1, v1, 24
	v_add_nc_u32_e32 v2, v7, v2
	s_waitcnt vmcnt(0)
	v_add_co_u32 v1, vcc_lo, v5, v1
	v_add_co_ci_u32_e32 v2, vcc_lo, v6, v2, vcc_lo
	global_load_dwordx2 v[1:2], v[1:2], off glc dlc
	s_waitcnt vmcnt(0)
	global_atomic_cmpswap_x2 v[6:7], v0, v[1:4], s[26:27] offset:24 glc
	s_waitcnt vmcnt(0)
	buffer_gl1_inv
	buffer_gl0_inv
	v_cmpx_ne_u64_e64 v[6:7], v[3:4]
	s_cbranch_execz .LBB4_1284
; %bb.1281:
	s_mov_b32 s7, 0
	.p2align	6
.LBB4_1282:                             ; =>This Inner Loop Header: Depth=1
	s_sleep 1
	s_clause 0x1
	global_load_dwordx2 v[1:2], v0, s[26:27] offset:40
	global_load_dwordx2 v[8:9], v0, s[26:27]
	v_mov_b32_e32 v3, v6
	v_mov_b32_e32 v4, v7
	s_waitcnt vmcnt(1)
	v_and_b32_e32 v1, v1, v3
	v_and_b32_e32 v2, v2, v4
	s_waitcnt vmcnt(0)
	v_mad_u64_u32 v[5:6], null, v1, 24, v[8:9]
	v_mov_b32_e32 v1, v6
	v_mad_u64_u32 v[1:2], null, v2, 24, v[1:2]
	v_mov_b32_e32 v6, v1
	global_load_dwordx2 v[1:2], v[5:6], off glc dlc
	s_waitcnt vmcnt(0)
	global_atomic_cmpswap_x2 v[6:7], v0, v[1:4], s[26:27] offset:24 glc
	s_waitcnt vmcnt(0)
	buffer_gl1_inv
	buffer_gl0_inv
	v_cmp_eq_u64_e32 vcc_lo, v[6:7], v[3:4]
	s_or_b32 s7, vcc_lo, s7
	s_andn2_b32 exec_lo, exec_lo, s7
	s_cbranch_execnz .LBB4_1282
; %bb.1283:
	s_or_b32 exec_lo, exec_lo, s7
.LBB4_1284:
	s_or_b32 exec_lo, exec_lo, s6
.LBB4_1285:
	s_or_b32 exec_lo, exec_lo, s5
	v_mov_b32_e32 v5, 0
	v_readfirstlane_b32 s6, v6
	v_readfirstlane_b32 s7, v7
	s_mov_b32 s5, exec_lo
	s_clause 0x1
	global_load_dwordx2 v[8:9], v5, s[26:27] offset:40
	global_load_dwordx4 v[0:3], v5, s[26:27]
	s_waitcnt vmcnt(1)
	v_readfirstlane_b32 s10, v8
	v_readfirstlane_b32 s11, v9
	s_and_b64 s[10:11], s[6:7], s[10:11]
	s_mul_i32 s16, s11, 24
	s_mul_hi_u32 s17, s10, 24
	s_mul_i32 s18, s10, 24
	s_add_i32 s17, s17, s16
	s_waitcnt vmcnt(0)
	v_add_co_u32 v8, vcc_lo, v0, s18
	v_add_co_ci_u32_e32 v9, vcc_lo, s17, v1, vcc_lo
	s_and_saveexec_b32 s16, s4
	s_cbranch_execz .LBB4_1287
; %bb.1286:
	v_mov_b32_e32 v4, s5
	v_mov_b32_e32 v6, 2
	;; [unrolled: 1-line block ×3, first 2 shown]
	global_store_dwordx4 v[8:9], v[4:7], off offset:8
.LBB4_1287:
	s_or_b32 exec_lo, exec_lo, s16
	s_lshl_b64 s[10:11], s[10:11], 12
	s_mov_b32 s16, 0
	v_add_co_u32 v2, vcc_lo, v2, s10
	v_add_co_ci_u32_e32 v3, vcc_lo, s11, v3, vcc_lo
	s_mov_b32 s17, s16
	v_add_co_u32 v10, vcc_lo, v2, v48
	s_mov_b32 s18, s16
	s_mov_b32 s19, s16
	v_mov_b32_e32 v4, 33
	v_mov_b32_e32 v6, v5
	;; [unrolled: 1-line block ×3, first 2 shown]
	v_readfirstlane_b32 s10, v2
	v_readfirstlane_b32 s11, v3
	v_mov_b32_e32 v12, s16
	v_add_co_ci_u32_e32 v11, vcc_lo, 0, v3, vcc_lo
	v_mov_b32_e32 v13, s17
	v_mov_b32_e32 v14, s18
	;; [unrolled: 1-line block ×3, first 2 shown]
	global_store_dwordx4 v48, v[4:7], s[10:11]
	global_store_dwordx4 v48, v[12:15], s[10:11] offset:16
	global_store_dwordx4 v48, v[12:15], s[10:11] offset:32
	;; [unrolled: 1-line block ×3, first 2 shown]
	s_and_saveexec_b32 s5, s4
	s_cbranch_execz .LBB4_1295
; %bb.1288:
	v_mov_b32_e32 v6, 0
	v_mov_b32_e32 v12, s6
	;; [unrolled: 1-line block ×3, first 2 shown]
	s_clause 0x1
	global_load_dwordx2 v[14:15], v6, s[26:27] offset:32 glc dlc
	global_load_dwordx2 v[2:3], v6, s[26:27] offset:40
	s_waitcnt vmcnt(0)
	v_readfirstlane_b32 s10, v2
	v_readfirstlane_b32 s11, v3
	s_and_b64 s[10:11], s[10:11], s[6:7]
	s_mul_i32 s11, s11, 24
	s_mul_hi_u32 s16, s10, 24
	s_mul_i32 s10, s10, 24
	s_add_i32 s16, s16, s11
	v_add_co_u32 v4, vcc_lo, v0, s10
	v_add_co_ci_u32_e32 v5, vcc_lo, s16, v1, vcc_lo
	s_mov_b32 s10, exec_lo
	global_store_dwordx2 v[4:5], v[14:15], off
	s_waitcnt_vscnt null, 0x0
	global_atomic_cmpswap_x2 v[2:3], v6, v[12:15], s[26:27] offset:32 glc
	s_waitcnt vmcnt(0)
	v_cmpx_ne_u64_e64 v[2:3], v[14:15]
	s_cbranch_execz .LBB4_1291
; %bb.1289:
	s_mov_b32 s11, 0
.LBB4_1290:                             ; =>This Inner Loop Header: Depth=1
	v_mov_b32_e32 v0, s6
	v_mov_b32_e32 v1, s7
	s_sleep 1
	global_store_dwordx2 v[4:5], v[2:3], off
	s_waitcnt_vscnt null, 0x0
	global_atomic_cmpswap_x2 v[0:1], v6, v[0:3], s[26:27] offset:32 glc
	s_waitcnt vmcnt(0)
	v_cmp_eq_u64_e32 vcc_lo, v[0:1], v[2:3]
	v_mov_b32_e32 v3, v1
	v_mov_b32_e32 v2, v0
	s_or_b32 s11, vcc_lo, s11
	s_andn2_b32 exec_lo, exec_lo, s11
	s_cbranch_execnz .LBB4_1290
.LBB4_1291:
	s_or_b32 exec_lo, exec_lo, s10
	v_mov_b32_e32 v3, 0
	s_mov_b32 s11, exec_lo
	s_mov_b32 s10, exec_lo
	v_mbcnt_lo_u32_b32 v2, s11, 0
	global_load_dwordx2 v[0:1], v3, s[26:27] offset:16
	v_cmpx_eq_u32_e32 0, v2
	s_cbranch_execz .LBB4_1293
; %bb.1292:
	s_bcnt1_i32_b32 s11, s11
	v_mov_b32_e32 v2, s11
	s_waitcnt vmcnt(0)
	global_atomic_add_x2 v[0:1], v[2:3], off offset:8
.LBB4_1293:
	s_or_b32 exec_lo, exec_lo, s10
	s_waitcnt vmcnt(0)
	global_load_dwordx2 v[2:3], v[0:1], off offset:16
	s_waitcnt vmcnt(0)
	v_cmp_eq_u64_e32 vcc_lo, 0, v[2:3]
	s_cbranch_vccnz .LBB4_1295
; %bb.1294:
	global_load_dword v0, v[0:1], off offset:24
	v_mov_b32_e32 v1, 0
	s_waitcnt vmcnt(0)
	v_and_b32_e32 v4, 0x7fffff, v0
	s_waitcnt_vscnt null, 0x0
	global_store_dwordx2 v[2:3], v[0:1], off
	v_readfirstlane_b32 m0, v4
	s_sendmsg sendmsg(MSG_INTERRUPT)
.LBB4_1295:
	s_or_b32 exec_lo, exec_lo, s5
	s_branch .LBB4_1299
	.p2align	6
.LBB4_1296:                             ;   in Loop: Header=BB4_1299 Depth=1
	s_or_b32 exec_lo, exec_lo, s5
	v_readfirstlane_b32 s5, v0
	s_cmp_eq_u32 s5, 0
	s_cbranch_scc1 .LBB4_1298
; %bb.1297:                             ;   in Loop: Header=BB4_1299 Depth=1
	s_sleep 1
	s_cbranch_execnz .LBB4_1299
	s_branch .LBB4_1301
	.p2align	6
.LBB4_1298:
	s_branch .LBB4_1301
.LBB4_1299:                             ; =>This Inner Loop Header: Depth=1
	v_mov_b32_e32 v0, 1
	s_and_saveexec_b32 s5, s4
	s_cbranch_execz .LBB4_1296
; %bb.1300:                             ;   in Loop: Header=BB4_1299 Depth=1
	global_load_dword v0, v[8:9], off offset:20 glc dlc
	s_waitcnt vmcnt(0)
	buffer_gl1_inv
	buffer_gl0_inv
	v_and_b32_e32 v0, 1, v0
	s_branch .LBB4_1296
.LBB4_1301:
	global_load_dwordx2 v[4:5], v[10:11], off
	s_and_saveexec_b32 s5, s4
	s_cbranch_execz .LBB4_1305
; %bb.1302:
	v_mov_b32_e32 v8, 0
	s_clause 0x2
	global_load_dwordx2 v[2:3], v8, s[26:27] offset:40
	global_load_dwordx2 v[9:10], v8, s[26:27] offset:24 glc dlc
	global_load_dwordx2 v[6:7], v8, s[26:27]
	s_waitcnt vmcnt(2)
	v_add_co_u32 v11, vcc_lo, v2, 1
	v_add_co_ci_u32_e32 v12, vcc_lo, 0, v3, vcc_lo
	v_add_co_u32 v0, vcc_lo, v11, s6
	v_add_co_ci_u32_e32 v1, vcc_lo, s7, v12, vcc_lo
	v_cmp_eq_u64_e32 vcc_lo, 0, v[0:1]
	v_cndmask_b32_e32 v1, v1, v12, vcc_lo
	v_cndmask_b32_e32 v0, v0, v11, vcc_lo
	v_and_b32_e32 v3, v1, v3
	v_and_b32_e32 v2, v0, v2
	v_mul_lo_u32 v3, v3, 24
	v_mul_hi_u32 v11, v2, 24
	v_mul_lo_u32 v2, v2, 24
	v_add_nc_u32_e32 v3, v11, v3
	s_waitcnt vmcnt(0)
	v_add_co_u32 v6, vcc_lo, v6, v2
	v_mov_b32_e32 v2, v9
	v_add_co_ci_u32_e32 v7, vcc_lo, v7, v3, vcc_lo
	v_mov_b32_e32 v3, v10
	global_store_dwordx2 v[6:7], v[9:10], off
	s_waitcnt_vscnt null, 0x0
	global_atomic_cmpswap_x2 v[2:3], v8, v[0:3], s[26:27] offset:24 glc
	s_waitcnt vmcnt(0)
	v_cmp_ne_u64_e32 vcc_lo, v[2:3], v[9:10]
	s_and_b32 exec_lo, exec_lo, vcc_lo
	s_cbranch_execz .LBB4_1305
; %bb.1303:
	s_mov_b32 s4, 0
.LBB4_1304:                             ; =>This Inner Loop Header: Depth=1
	s_sleep 1
	global_store_dwordx2 v[6:7], v[2:3], off
	s_waitcnt_vscnt null, 0x0
	global_atomic_cmpswap_x2 v[9:10], v8, v[0:3], s[26:27] offset:24 glc
	s_waitcnt vmcnt(0)
	v_cmp_eq_u64_e32 vcc_lo, v[9:10], v[2:3]
	v_mov_b32_e32 v2, v9
	v_mov_b32_e32 v3, v10
	s_or_b32 s4, vcc_lo, s4
	s_andn2_b32 exec_lo, exec_lo, s4
	s_cbranch_execnz .LBB4_1304
.LBB4_1305:
	s_or_b32 exec_lo, exec_lo, s5
	s_and_b32 vcc_lo, exec_lo, s15
	s_cbranch_vccz .LBB4_1384
; %bb.1306:
	s_waitcnt vmcnt(0)
	v_and_b32_e32 v28, 2, v4
	v_mov_b32_e32 v7, 0
	v_and_b32_e32 v0, -3, v4
	v_mov_b32_e32 v1, v5
	v_mov_b32_e32 v8, 2
	;; [unrolled: 1-line block ×3, first 2 shown]
	s_mov_b64 s[10:11], 3
	s_getpc_b64 s[6:7]
	s_add_u32 s6, s6, .str.5@rel32@lo+4
	s_addc_u32 s7, s7, .str.5@rel32@hi+12
	s_branch .LBB4_1308
.LBB4_1307:                             ;   in Loop: Header=BB4_1308 Depth=1
	s_or_b32 exec_lo, exec_lo, s5
	s_sub_u32 s10, s10, s16
	s_subb_u32 s11, s11, s17
	s_add_u32 s6, s6, s16
	s_addc_u32 s7, s7, s17
	s_cmp_lg_u64 s[10:11], 0
	s_cbranch_scc0 .LBB4_1383
.LBB4_1308:                             ; =>This Loop Header: Depth=1
                                        ;     Child Loop BB4_1317 Depth 2
                                        ;     Child Loop BB4_1313 Depth 2
	;; [unrolled: 1-line block ×11, first 2 shown]
	v_cmp_lt_u64_e64 s4, s[10:11], 56
	v_cmp_gt_u64_e64 s5, s[10:11], 7
                                        ; implicit-def: $vgpr2_vgpr3
                                        ; implicit-def: $sgpr15
	s_and_b32 s4, s4, exec_lo
	s_cselect_b32 s17, s11, 0
	s_cselect_b32 s16, s10, 56
	s_and_b32 vcc_lo, exec_lo, s5
	s_mov_b32 s4, -1
	s_cbranch_vccz .LBB4_1315
; %bb.1309:                             ;   in Loop: Header=BB4_1308 Depth=1
	s_andn2_b32 vcc_lo, exec_lo, s4
	s_mov_b64 s[4:5], s[6:7]
	s_cbranch_vccz .LBB4_1319
.LBB4_1310:                             ;   in Loop: Header=BB4_1308 Depth=1
	s_cmp_gt_u32 s15, 7
	s_cbranch_scc1 .LBB4_1320
.LBB4_1311:                             ;   in Loop: Header=BB4_1308 Depth=1
	v_mov_b32_e32 v10, 0
	v_mov_b32_e32 v11, 0
	s_cmp_eq_u32 s15, 0
	s_cbranch_scc1 .LBB4_1314
; %bb.1312:                             ;   in Loop: Header=BB4_1308 Depth=1
	s_mov_b64 s[18:19], 0
	s_mov_b64 s[20:21], 0
.LBB4_1313:                             ;   Parent Loop BB4_1308 Depth=1
                                        ; =>  This Inner Loop Header: Depth=2
	s_add_u32 s22, s4, s20
	s_addc_u32 s23, s5, s21
	s_add_u32 s20, s20, 1
	global_load_ubyte v6, v7, s[22:23]
	s_addc_u32 s21, s21, 0
	s_waitcnt vmcnt(0)
	v_and_b32_e32 v6, 0xffff, v6
	v_lshlrev_b64 v[12:13], s18, v[6:7]
	s_add_u32 s18, s18, 8
	s_addc_u32 s19, s19, 0
	s_cmp_lg_u32 s15, s20
	v_or_b32_e32 v10, v12, v10
	v_or_b32_e32 v11, v13, v11
	s_cbranch_scc1 .LBB4_1313
.LBB4_1314:                             ;   in Loop: Header=BB4_1308 Depth=1
	s_mov_b32 s22, 0
	s_cbranch_execz .LBB4_1321
	s_branch .LBB4_1322
.LBB4_1315:                             ;   in Loop: Header=BB4_1308 Depth=1
	s_waitcnt vmcnt(0)
	v_mov_b32_e32 v2, 0
	v_mov_b32_e32 v3, 0
	s_cmp_eq_u64 s[10:11], 0
	s_mov_b64 s[4:5], 0
	s_cbranch_scc1 .LBB4_1318
; %bb.1316:                             ;   in Loop: Header=BB4_1308 Depth=1
	v_mov_b32_e32 v2, 0
	v_mov_b32_e32 v3, 0
	s_lshl_b64 s[18:19], s[16:17], 3
	s_mov_b64 s[20:21], s[6:7]
.LBB4_1317:                             ;   Parent Loop BB4_1308 Depth=1
                                        ; =>  This Inner Loop Header: Depth=2
	global_load_ubyte v6, v7, s[20:21]
	s_waitcnt vmcnt(0)
	v_and_b32_e32 v6, 0xffff, v6
	v_lshlrev_b64 v[10:11], s4, v[6:7]
	s_add_u32 s4, s4, 8
	s_addc_u32 s5, s5, 0
	s_add_u32 s20, s20, 1
	s_addc_u32 s21, s21, 0
	s_cmp_lg_u32 s18, s4
	v_or_b32_e32 v2, v10, v2
	v_or_b32_e32 v3, v11, v3
	s_cbranch_scc1 .LBB4_1317
.LBB4_1318:                             ;   in Loop: Header=BB4_1308 Depth=1
	s_mov_b32 s15, 0
	s_mov_b64 s[4:5], s[6:7]
	s_cbranch_execnz .LBB4_1310
.LBB4_1319:                             ;   in Loop: Header=BB4_1308 Depth=1
	global_load_dwordx2 v[2:3], v7, s[6:7]
	s_add_i32 s15, s16, -8
	s_add_u32 s4, s6, 8
	s_addc_u32 s5, s7, 0
	s_cmp_gt_u32 s15, 7
	s_cbranch_scc0 .LBB4_1311
.LBB4_1320:                             ;   in Loop: Header=BB4_1308 Depth=1
                                        ; implicit-def: $vgpr10_vgpr11
                                        ; implicit-def: $sgpr22
.LBB4_1321:                             ;   in Loop: Header=BB4_1308 Depth=1
	global_load_dwordx2 v[10:11], v7, s[4:5]
	s_add_i32 s22, s15, -8
	s_add_u32 s4, s4, 8
	s_addc_u32 s5, s5, 0
.LBB4_1322:                             ;   in Loop: Header=BB4_1308 Depth=1
	s_cmp_gt_u32 s22, 7
	s_cbranch_scc1 .LBB4_1327
; %bb.1323:                             ;   in Loop: Header=BB4_1308 Depth=1
	v_mov_b32_e32 v12, 0
	v_mov_b32_e32 v13, 0
	s_cmp_eq_u32 s22, 0
	s_cbranch_scc1 .LBB4_1326
; %bb.1324:                             ;   in Loop: Header=BB4_1308 Depth=1
	s_mov_b64 s[18:19], 0
	s_mov_b64 s[20:21], 0
.LBB4_1325:                             ;   Parent Loop BB4_1308 Depth=1
                                        ; =>  This Inner Loop Header: Depth=2
	s_add_u32 s24, s4, s20
	s_addc_u32 s25, s5, s21
	s_add_u32 s20, s20, 1
	global_load_ubyte v6, v7, s[24:25]
	s_addc_u32 s21, s21, 0
	s_waitcnt vmcnt(0)
	v_and_b32_e32 v6, 0xffff, v6
	v_lshlrev_b64 v[14:15], s18, v[6:7]
	s_add_u32 s18, s18, 8
	s_addc_u32 s19, s19, 0
	s_cmp_lg_u32 s22, s20
	v_or_b32_e32 v12, v14, v12
	v_or_b32_e32 v13, v15, v13
	s_cbranch_scc1 .LBB4_1325
.LBB4_1326:                             ;   in Loop: Header=BB4_1308 Depth=1
	s_mov_b32 s15, 0
	s_cbranch_execz .LBB4_1328
	s_branch .LBB4_1329
.LBB4_1327:                             ;   in Loop: Header=BB4_1308 Depth=1
                                        ; implicit-def: $sgpr15
.LBB4_1328:                             ;   in Loop: Header=BB4_1308 Depth=1
	global_load_dwordx2 v[12:13], v7, s[4:5]
	s_add_i32 s15, s22, -8
	s_add_u32 s4, s4, 8
	s_addc_u32 s5, s5, 0
.LBB4_1329:                             ;   in Loop: Header=BB4_1308 Depth=1
	s_cmp_gt_u32 s15, 7
	s_cbranch_scc1 .LBB4_1334
; %bb.1330:                             ;   in Loop: Header=BB4_1308 Depth=1
	v_mov_b32_e32 v14, 0
	v_mov_b32_e32 v15, 0
	s_cmp_eq_u32 s15, 0
	s_cbranch_scc1 .LBB4_1333
; %bb.1331:                             ;   in Loop: Header=BB4_1308 Depth=1
	s_mov_b64 s[18:19], 0
	s_mov_b64 s[20:21], 0
.LBB4_1332:                             ;   Parent Loop BB4_1308 Depth=1
                                        ; =>  This Inner Loop Header: Depth=2
	s_add_u32 s22, s4, s20
	s_addc_u32 s23, s5, s21
	s_add_u32 s20, s20, 1
	global_load_ubyte v6, v7, s[22:23]
	s_addc_u32 s21, s21, 0
	s_waitcnt vmcnt(0)
	v_and_b32_e32 v6, 0xffff, v6
	v_lshlrev_b64 v[16:17], s18, v[6:7]
	s_add_u32 s18, s18, 8
	s_addc_u32 s19, s19, 0
	s_cmp_lg_u32 s15, s20
	v_or_b32_e32 v14, v16, v14
	v_or_b32_e32 v15, v17, v15
	s_cbranch_scc1 .LBB4_1332
.LBB4_1333:                             ;   in Loop: Header=BB4_1308 Depth=1
	s_mov_b32 s22, 0
	s_cbranch_execz .LBB4_1335
	s_branch .LBB4_1336
.LBB4_1334:                             ;   in Loop: Header=BB4_1308 Depth=1
                                        ; implicit-def: $vgpr14_vgpr15
                                        ; implicit-def: $sgpr22
.LBB4_1335:                             ;   in Loop: Header=BB4_1308 Depth=1
	global_load_dwordx2 v[14:15], v7, s[4:5]
	s_add_i32 s22, s15, -8
	s_add_u32 s4, s4, 8
	s_addc_u32 s5, s5, 0
.LBB4_1336:                             ;   in Loop: Header=BB4_1308 Depth=1
	s_cmp_gt_u32 s22, 7
	s_cbranch_scc1 .LBB4_1341
; %bb.1337:                             ;   in Loop: Header=BB4_1308 Depth=1
	v_mov_b32_e32 v16, 0
	v_mov_b32_e32 v17, 0
	s_cmp_eq_u32 s22, 0
	s_cbranch_scc1 .LBB4_1340
; %bb.1338:                             ;   in Loop: Header=BB4_1308 Depth=1
	s_mov_b64 s[18:19], 0
	s_mov_b64 s[20:21], 0
.LBB4_1339:                             ;   Parent Loop BB4_1308 Depth=1
                                        ; =>  This Inner Loop Header: Depth=2
	s_add_u32 s24, s4, s20
	s_addc_u32 s25, s5, s21
	s_add_u32 s20, s20, 1
	global_load_ubyte v6, v7, s[24:25]
	s_addc_u32 s21, s21, 0
	s_waitcnt vmcnt(0)
	v_and_b32_e32 v6, 0xffff, v6
	v_lshlrev_b64 v[18:19], s18, v[6:7]
	s_add_u32 s18, s18, 8
	s_addc_u32 s19, s19, 0
	s_cmp_lg_u32 s22, s20
	v_or_b32_e32 v16, v18, v16
	v_or_b32_e32 v17, v19, v17
	s_cbranch_scc1 .LBB4_1339
.LBB4_1340:                             ;   in Loop: Header=BB4_1308 Depth=1
	s_mov_b32 s15, 0
	s_cbranch_execz .LBB4_1342
	s_branch .LBB4_1343
.LBB4_1341:                             ;   in Loop: Header=BB4_1308 Depth=1
                                        ; implicit-def: $sgpr15
.LBB4_1342:                             ;   in Loop: Header=BB4_1308 Depth=1
	global_load_dwordx2 v[16:17], v7, s[4:5]
	s_add_i32 s15, s22, -8
	s_add_u32 s4, s4, 8
	s_addc_u32 s5, s5, 0
.LBB4_1343:                             ;   in Loop: Header=BB4_1308 Depth=1
	s_cmp_gt_u32 s15, 7
	s_cbranch_scc1 .LBB4_1348
; %bb.1344:                             ;   in Loop: Header=BB4_1308 Depth=1
	v_mov_b32_e32 v18, 0
	v_mov_b32_e32 v19, 0
	s_cmp_eq_u32 s15, 0
	s_cbranch_scc1 .LBB4_1347
; %bb.1345:                             ;   in Loop: Header=BB4_1308 Depth=1
	s_mov_b64 s[18:19], 0
	s_mov_b64 s[20:21], 0
.LBB4_1346:                             ;   Parent Loop BB4_1308 Depth=1
                                        ; =>  This Inner Loop Header: Depth=2
	s_add_u32 s22, s4, s20
	s_addc_u32 s23, s5, s21
	s_add_u32 s20, s20, 1
	global_load_ubyte v6, v7, s[22:23]
	s_addc_u32 s21, s21, 0
	s_waitcnt vmcnt(0)
	v_and_b32_e32 v6, 0xffff, v6
	v_lshlrev_b64 v[20:21], s18, v[6:7]
	s_add_u32 s18, s18, 8
	s_addc_u32 s19, s19, 0
	s_cmp_lg_u32 s15, s20
	v_or_b32_e32 v18, v20, v18
	v_or_b32_e32 v19, v21, v19
	s_cbranch_scc1 .LBB4_1346
.LBB4_1347:                             ;   in Loop: Header=BB4_1308 Depth=1
	s_mov_b32 s22, 0
	s_cbranch_execz .LBB4_1349
	s_branch .LBB4_1350
.LBB4_1348:                             ;   in Loop: Header=BB4_1308 Depth=1
                                        ; implicit-def: $vgpr18_vgpr19
                                        ; implicit-def: $sgpr22
.LBB4_1349:                             ;   in Loop: Header=BB4_1308 Depth=1
	global_load_dwordx2 v[18:19], v7, s[4:5]
	s_add_i32 s22, s15, -8
	s_add_u32 s4, s4, 8
	s_addc_u32 s5, s5, 0
.LBB4_1350:                             ;   in Loop: Header=BB4_1308 Depth=1
	s_cmp_gt_u32 s22, 7
	s_cbranch_scc1 .LBB4_1355
; %bb.1351:                             ;   in Loop: Header=BB4_1308 Depth=1
	v_mov_b32_e32 v20, 0
	v_mov_b32_e32 v21, 0
	s_cmp_eq_u32 s22, 0
	s_cbranch_scc1 .LBB4_1354
; %bb.1352:                             ;   in Loop: Header=BB4_1308 Depth=1
	s_mov_b64 s[18:19], 0
	s_mov_b64 s[20:21], s[4:5]
.LBB4_1353:                             ;   Parent Loop BB4_1308 Depth=1
                                        ; =>  This Inner Loop Header: Depth=2
	global_load_ubyte v6, v7, s[20:21]
	s_add_i32 s22, s22, -1
	s_waitcnt vmcnt(0)
	v_and_b32_e32 v6, 0xffff, v6
	v_lshlrev_b64 v[22:23], s18, v[6:7]
	s_add_u32 s18, s18, 8
	s_addc_u32 s19, s19, 0
	s_add_u32 s20, s20, 1
	s_addc_u32 s21, s21, 0
	s_cmp_lg_u32 s22, 0
	v_or_b32_e32 v20, v22, v20
	v_or_b32_e32 v21, v23, v21
	s_cbranch_scc1 .LBB4_1353
.LBB4_1354:                             ;   in Loop: Header=BB4_1308 Depth=1
	s_cbranch_execz .LBB4_1356
	s_branch .LBB4_1357
.LBB4_1355:                             ;   in Loop: Header=BB4_1308 Depth=1
.LBB4_1356:                             ;   in Loop: Header=BB4_1308 Depth=1
	global_load_dwordx2 v[20:21], v7, s[4:5]
.LBB4_1357:                             ;   in Loop: Header=BB4_1308 Depth=1
	v_readfirstlane_b32 s4, v49
	v_mov_b32_e32 v26, 0
	v_mov_b32_e32 v27, 0
	v_cmp_eq_u32_e64 s4, s4, v49
	s_and_saveexec_b32 s5, s4
	s_cbranch_execz .LBB4_1363
; %bb.1358:                             ;   in Loop: Header=BB4_1308 Depth=1
	global_load_dwordx2 v[24:25], v7, s[26:27] offset:24 glc dlc
	s_waitcnt vmcnt(0)
	buffer_gl1_inv
	buffer_gl0_inv
	s_clause 0x1
	global_load_dwordx2 v[22:23], v7, s[26:27] offset:40
	global_load_dwordx2 v[26:27], v7, s[26:27]
	s_mov_b32 s15, exec_lo
	s_waitcnt vmcnt(1)
	v_and_b32_e32 v6, v23, v25
	v_and_b32_e32 v22, v22, v24
	v_mul_lo_u32 v6, v6, 24
	v_mul_hi_u32 v23, v22, 24
	v_mul_lo_u32 v22, v22, 24
	v_add_nc_u32_e32 v6, v23, v6
	s_waitcnt vmcnt(0)
	v_add_co_u32 v22, vcc_lo, v26, v22
	v_add_co_ci_u32_e32 v23, vcc_lo, v27, v6, vcc_lo
	global_load_dwordx2 v[22:23], v[22:23], off glc dlc
	s_waitcnt vmcnt(0)
	global_atomic_cmpswap_x2 v[26:27], v7, v[22:25], s[26:27] offset:24 glc
	s_waitcnt vmcnt(0)
	buffer_gl1_inv
	buffer_gl0_inv
	v_cmpx_ne_u64_e64 v[26:27], v[24:25]
	s_cbranch_execz .LBB4_1362
; %bb.1359:                             ;   in Loop: Header=BB4_1308 Depth=1
	s_mov_b32 s18, 0
	.p2align	6
.LBB4_1360:                             ;   Parent Loop BB4_1308 Depth=1
                                        ; =>  This Inner Loop Header: Depth=2
	s_sleep 1
	s_clause 0x1
	global_load_dwordx2 v[22:23], v7, s[26:27] offset:40
	global_load_dwordx2 v[29:30], v7, s[26:27]
	v_mov_b32_e32 v24, v26
	v_mov_b32_e32 v25, v27
	s_waitcnt vmcnt(1)
	v_and_b32_e32 v6, v22, v24
	v_and_b32_e32 v22, v23, v25
	s_waitcnt vmcnt(0)
	v_mad_u64_u32 v[26:27], null, v6, 24, v[29:30]
	v_mov_b32_e32 v6, v27
	v_mad_u64_u32 v[22:23], null, v22, 24, v[6:7]
	v_mov_b32_e32 v27, v22
	global_load_dwordx2 v[22:23], v[26:27], off glc dlc
	s_waitcnt vmcnt(0)
	global_atomic_cmpswap_x2 v[26:27], v7, v[22:25], s[26:27] offset:24 glc
	s_waitcnt vmcnt(0)
	buffer_gl1_inv
	buffer_gl0_inv
	v_cmp_eq_u64_e32 vcc_lo, v[26:27], v[24:25]
	s_or_b32 s18, vcc_lo, s18
	s_andn2_b32 exec_lo, exec_lo, s18
	s_cbranch_execnz .LBB4_1360
; %bb.1361:                             ;   in Loop: Header=BB4_1308 Depth=1
	s_or_b32 exec_lo, exec_lo, s18
.LBB4_1362:                             ;   in Loop: Header=BB4_1308 Depth=1
	s_or_b32 exec_lo, exec_lo, s15
.LBB4_1363:                             ;   in Loop: Header=BB4_1308 Depth=1
	s_or_b32 exec_lo, exec_lo, s5
	s_clause 0x1
	global_load_dwordx2 v[29:30], v7, s[26:27] offset:40
	global_load_dwordx4 v[22:25], v7, s[26:27]
	v_readfirstlane_b32 s18, v26
	v_readfirstlane_b32 s19, v27
	s_mov_b32 s5, exec_lo
	s_waitcnt vmcnt(1)
	v_readfirstlane_b32 s20, v29
	v_readfirstlane_b32 s21, v30
	s_and_b64 s[20:21], s[18:19], s[20:21]
	s_mul_i32 s15, s21, 24
	s_mul_hi_u32 s22, s20, 24
	s_mul_i32 s23, s20, 24
	s_add_i32 s22, s22, s15
	s_waitcnt vmcnt(0)
	v_add_co_u32 v26, vcc_lo, v22, s23
	v_add_co_ci_u32_e32 v27, vcc_lo, s22, v23, vcc_lo
	s_and_saveexec_b32 s15, s4
	s_cbranch_execz .LBB4_1365
; %bb.1364:                             ;   in Loop: Header=BB4_1308 Depth=1
	v_mov_b32_e32 v6, s5
	global_store_dwordx4 v[26:27], v[6:9], off offset:8
.LBB4_1365:                             ;   in Loop: Header=BB4_1308 Depth=1
	s_or_b32 exec_lo, exec_lo, s15
	s_lshl_b64 s[20:21], s[20:21], 12
	v_cmp_gt_u64_e64 vcc_lo, s[10:11], 56
	v_or_b32_e32 v29, v0, v28
	v_add_co_u32 v24, s5, v24, s20
	v_add_co_ci_u32_e64 v25, s5, s21, v25, s5
	s_lshl_b32 s5, s16, 2
	v_or_b32_e32 v6, 0, v1
	v_cndmask_b32_e32 v0, v29, v0, vcc_lo
	s_add_i32 s5, s5, 28
	v_readfirstlane_b32 s20, v24
	s_and_b32 s5, s5, 0x1e0
	v_cndmask_b32_e32 v1, v6, v1, vcc_lo
	v_readfirstlane_b32 s21, v25
	v_and_or_b32 v0, 0xffffff1f, v0, s5
	global_store_dwordx4 v48, v[0:3], s[20:21]
	global_store_dwordx4 v48, v[10:13], s[20:21] offset:16
	global_store_dwordx4 v48, v[14:17], s[20:21] offset:32
	;; [unrolled: 1-line block ×3, first 2 shown]
	s_and_saveexec_b32 s5, s4
	s_cbranch_execz .LBB4_1373
; %bb.1366:                             ;   in Loop: Header=BB4_1308 Depth=1
	s_clause 0x1
	global_load_dwordx2 v[14:15], v7, s[26:27] offset:32 glc dlc
	global_load_dwordx2 v[0:1], v7, s[26:27] offset:40
	v_mov_b32_e32 v12, s18
	v_mov_b32_e32 v13, s19
	s_waitcnt vmcnt(0)
	v_readfirstlane_b32 s20, v0
	v_readfirstlane_b32 s21, v1
	s_and_b64 s[20:21], s[20:21], s[18:19]
	s_mul_i32 s15, s21, 24
	s_mul_hi_u32 s21, s20, 24
	s_mul_i32 s20, s20, 24
	s_add_i32 s21, s21, s15
	v_add_co_u32 v10, vcc_lo, v22, s20
	v_add_co_ci_u32_e32 v11, vcc_lo, s21, v23, vcc_lo
	s_mov_b32 s15, exec_lo
	global_store_dwordx2 v[10:11], v[14:15], off
	s_waitcnt_vscnt null, 0x0
	global_atomic_cmpswap_x2 v[2:3], v7, v[12:15], s[26:27] offset:32 glc
	s_waitcnt vmcnt(0)
	v_cmpx_ne_u64_e64 v[2:3], v[14:15]
	s_cbranch_execz .LBB4_1369
; %bb.1367:                             ;   in Loop: Header=BB4_1308 Depth=1
	s_mov_b32 s20, 0
.LBB4_1368:                             ;   Parent Loop BB4_1308 Depth=1
                                        ; =>  This Inner Loop Header: Depth=2
	v_mov_b32_e32 v0, s18
	v_mov_b32_e32 v1, s19
	s_sleep 1
	global_store_dwordx2 v[10:11], v[2:3], off
	s_waitcnt_vscnt null, 0x0
	global_atomic_cmpswap_x2 v[0:1], v7, v[0:3], s[26:27] offset:32 glc
	s_waitcnt vmcnt(0)
	v_cmp_eq_u64_e32 vcc_lo, v[0:1], v[2:3]
	v_mov_b32_e32 v3, v1
	v_mov_b32_e32 v2, v0
	s_or_b32 s20, vcc_lo, s20
	s_andn2_b32 exec_lo, exec_lo, s20
	s_cbranch_execnz .LBB4_1368
.LBB4_1369:                             ;   in Loop: Header=BB4_1308 Depth=1
	s_or_b32 exec_lo, exec_lo, s15
	global_load_dwordx2 v[0:1], v7, s[26:27] offset:16
	s_mov_b32 s20, exec_lo
	s_mov_b32 s15, exec_lo
	v_mbcnt_lo_u32_b32 v2, s20, 0
	v_cmpx_eq_u32_e32 0, v2
	s_cbranch_execz .LBB4_1371
; %bb.1370:                             ;   in Loop: Header=BB4_1308 Depth=1
	s_bcnt1_i32_b32 s20, s20
	v_mov_b32_e32 v6, s20
	s_waitcnt vmcnt(0)
	global_atomic_add_x2 v[0:1], v[6:7], off offset:8
.LBB4_1371:                             ;   in Loop: Header=BB4_1308 Depth=1
	s_or_b32 exec_lo, exec_lo, s15
	s_waitcnt vmcnt(0)
	global_load_dwordx2 v[2:3], v[0:1], off offset:16
	s_waitcnt vmcnt(0)
	v_cmp_eq_u64_e32 vcc_lo, 0, v[2:3]
	s_cbranch_vccnz .LBB4_1373
; %bb.1372:                             ;   in Loop: Header=BB4_1308 Depth=1
	global_load_dword v6, v[0:1], off offset:24
	s_waitcnt vmcnt(0)
	v_and_b32_e32 v0, 0x7fffff, v6
	s_waitcnt_vscnt null, 0x0
	global_store_dwordx2 v[2:3], v[6:7], off
	v_readfirstlane_b32 m0, v0
	s_sendmsg sendmsg(MSG_INTERRUPT)
.LBB4_1373:                             ;   in Loop: Header=BB4_1308 Depth=1
	s_or_b32 exec_lo, exec_lo, s5
	v_add_co_u32 v0, vcc_lo, v24, v48
	v_add_co_ci_u32_e32 v1, vcc_lo, 0, v25, vcc_lo
	s_branch .LBB4_1377
	.p2align	6
.LBB4_1374:                             ;   in Loop: Header=BB4_1377 Depth=2
	s_or_b32 exec_lo, exec_lo, s5
	v_readfirstlane_b32 s5, v2
	s_cmp_eq_u32 s5, 0
	s_cbranch_scc1 .LBB4_1376
; %bb.1375:                             ;   in Loop: Header=BB4_1377 Depth=2
	s_sleep 1
	s_cbranch_execnz .LBB4_1377
	s_branch .LBB4_1379
	.p2align	6
.LBB4_1376:                             ;   in Loop: Header=BB4_1308 Depth=1
	s_branch .LBB4_1379
.LBB4_1377:                             ;   Parent Loop BB4_1308 Depth=1
                                        ; =>  This Inner Loop Header: Depth=2
	v_mov_b32_e32 v2, 1
	s_and_saveexec_b32 s5, s4
	s_cbranch_execz .LBB4_1374
; %bb.1378:                             ;   in Loop: Header=BB4_1377 Depth=2
	global_load_dword v2, v[26:27], off offset:20 glc dlc
	s_waitcnt vmcnt(0)
	buffer_gl1_inv
	buffer_gl0_inv
	v_and_b32_e32 v2, 1, v2
	s_branch .LBB4_1374
.LBB4_1379:                             ;   in Loop: Header=BB4_1308 Depth=1
	global_load_dwordx4 v[0:3], v[0:1], off
	s_and_saveexec_b32 s5, s4
	s_cbranch_execz .LBB4_1307
; %bb.1380:                             ;   in Loop: Header=BB4_1308 Depth=1
	s_clause 0x2
	global_load_dwordx2 v[2:3], v7, s[26:27] offset:40
	global_load_dwordx2 v[14:15], v7, s[26:27] offset:24 glc dlc
	global_load_dwordx2 v[12:13], v7, s[26:27]
	s_waitcnt vmcnt(2)
	v_add_co_u32 v6, vcc_lo, v2, 1
	v_add_co_ci_u32_e32 v16, vcc_lo, 0, v3, vcc_lo
	v_add_co_u32 v10, vcc_lo, v6, s18
	v_add_co_ci_u32_e32 v11, vcc_lo, s19, v16, vcc_lo
	v_cmp_eq_u64_e32 vcc_lo, 0, v[10:11]
	v_cndmask_b32_e32 v11, v11, v16, vcc_lo
	v_cndmask_b32_e32 v10, v10, v6, vcc_lo
	v_and_b32_e32 v3, v11, v3
	v_and_b32_e32 v2, v10, v2
	v_mul_lo_u32 v3, v3, 24
	v_mul_hi_u32 v6, v2, 24
	v_mul_lo_u32 v2, v2, 24
	v_add_nc_u32_e32 v3, v6, v3
	s_waitcnt vmcnt(0)
	v_add_co_u32 v2, vcc_lo, v12, v2
	v_mov_b32_e32 v12, v14
	v_add_co_ci_u32_e32 v3, vcc_lo, v13, v3, vcc_lo
	v_mov_b32_e32 v13, v15
	global_store_dwordx2 v[2:3], v[14:15], off
	s_waitcnt_vscnt null, 0x0
	global_atomic_cmpswap_x2 v[12:13], v7, v[10:13], s[26:27] offset:24 glc
	s_waitcnt vmcnt(0)
	v_cmp_ne_u64_e32 vcc_lo, v[12:13], v[14:15]
	s_and_b32 exec_lo, exec_lo, vcc_lo
	s_cbranch_execz .LBB4_1307
; %bb.1381:                             ;   in Loop: Header=BB4_1308 Depth=1
	s_mov_b32 s4, 0
.LBB4_1382:                             ;   Parent Loop BB4_1308 Depth=1
                                        ; =>  This Inner Loop Header: Depth=2
	s_sleep 1
	global_store_dwordx2 v[2:3], v[12:13], off
	s_waitcnt_vscnt null, 0x0
	global_atomic_cmpswap_x2 v[14:15], v7, v[10:13], s[26:27] offset:24 glc
	s_waitcnt vmcnt(0)
	v_cmp_eq_u64_e32 vcc_lo, v[14:15], v[12:13]
	v_mov_b32_e32 v12, v14
	v_mov_b32_e32 v13, v15
	s_or_b32 s4, vcc_lo, s4
	s_andn2_b32 exec_lo, exec_lo, s4
	s_cbranch_execnz .LBB4_1382
	s_branch .LBB4_1307
.LBB4_1383:
	s_branch .LBB4_1412
.LBB4_1384:
                                        ; implicit-def: $vgpr0_vgpr1
	s_cbranch_execz .LBB4_1412
; %bb.1385:
	v_readfirstlane_b32 s4, v49
	v_mov_b32_e32 v7, 0
	v_mov_b32_e32 v8, 0
	v_cmp_eq_u32_e64 s4, s4, v49
	s_and_saveexec_b32 s5, s4
	s_cbranch_execz .LBB4_1391
; %bb.1386:
	s_waitcnt vmcnt(0)
	v_mov_b32_e32 v0, 0
	s_mov_b32 s6, exec_lo
	global_load_dwordx2 v[9:10], v0, s[26:27] offset:24 glc dlc
	s_waitcnt vmcnt(0)
	buffer_gl1_inv
	buffer_gl0_inv
	s_clause 0x1
	global_load_dwordx2 v[1:2], v0, s[26:27] offset:40
	global_load_dwordx2 v[6:7], v0, s[26:27]
	s_waitcnt vmcnt(1)
	v_and_b32_e32 v2, v2, v10
	v_and_b32_e32 v1, v1, v9
	v_mul_lo_u32 v2, v2, 24
	v_mul_hi_u32 v3, v1, 24
	v_mul_lo_u32 v1, v1, 24
	v_add_nc_u32_e32 v2, v3, v2
	s_waitcnt vmcnt(0)
	v_add_co_u32 v1, vcc_lo, v6, v1
	v_add_co_ci_u32_e32 v2, vcc_lo, v7, v2, vcc_lo
	global_load_dwordx2 v[7:8], v[1:2], off glc dlc
	s_waitcnt vmcnt(0)
	global_atomic_cmpswap_x2 v[7:8], v0, v[7:10], s[26:27] offset:24 glc
	s_waitcnt vmcnt(0)
	buffer_gl1_inv
	buffer_gl0_inv
	v_cmpx_ne_u64_e64 v[7:8], v[9:10]
	s_cbranch_execz .LBB4_1390
; %bb.1387:
	s_mov_b32 s7, 0
	.p2align	6
.LBB4_1388:                             ; =>This Inner Loop Header: Depth=1
	s_sleep 1
	s_clause 0x1
	global_load_dwordx2 v[1:2], v0, s[26:27] offset:40
	global_load_dwordx2 v[11:12], v0, s[26:27]
	v_mov_b32_e32 v10, v8
	v_mov_b32_e32 v9, v7
	s_waitcnt vmcnt(1)
	v_and_b32_e32 v1, v1, v9
	v_and_b32_e32 v2, v2, v10
	s_waitcnt vmcnt(0)
	v_mad_u64_u32 v[6:7], null, v1, 24, v[11:12]
	v_mov_b32_e32 v1, v7
	v_mad_u64_u32 v[1:2], null, v2, 24, v[1:2]
	v_mov_b32_e32 v7, v1
	global_load_dwordx2 v[7:8], v[6:7], off glc dlc
	s_waitcnt vmcnt(0)
	global_atomic_cmpswap_x2 v[7:8], v0, v[7:10], s[26:27] offset:24 glc
	s_waitcnt vmcnt(0)
	buffer_gl1_inv
	buffer_gl0_inv
	v_cmp_eq_u64_e32 vcc_lo, v[7:8], v[9:10]
	s_or_b32 s7, vcc_lo, s7
	s_andn2_b32 exec_lo, exec_lo, s7
	s_cbranch_execnz .LBB4_1388
; %bb.1389:
	s_or_b32 exec_lo, exec_lo, s7
.LBB4_1390:
	s_or_b32 exec_lo, exec_lo, s6
.LBB4_1391:
	s_or_b32 exec_lo, exec_lo, s5
	v_mov_b32_e32 v6, 0
	v_readfirstlane_b32 s6, v7
	v_readfirstlane_b32 s7, v8
	s_mov_b32 s5, exec_lo
	s_clause 0x1
	global_load_dwordx2 v[9:10], v6, s[26:27] offset:40
	global_load_dwordx4 v[0:3], v6, s[26:27]
	s_waitcnt vmcnt(1)
	v_readfirstlane_b32 s10, v9
	v_readfirstlane_b32 s11, v10
	s_and_b64 s[10:11], s[6:7], s[10:11]
	s_mul_i32 s15, s11, 24
	s_mul_hi_u32 s16, s10, 24
	s_mul_i32 s17, s10, 24
	s_add_i32 s16, s16, s15
	s_waitcnt vmcnt(0)
	v_add_co_u32 v8, vcc_lo, v0, s17
	v_add_co_ci_u32_e32 v9, vcc_lo, s16, v1, vcc_lo
	s_and_saveexec_b32 s15, s4
	s_cbranch_execz .LBB4_1393
; %bb.1392:
	v_mov_b32_e32 v10, s5
	v_mov_b32_e32 v11, v6
	;; [unrolled: 1-line block ×4, first 2 shown]
	global_store_dwordx4 v[8:9], v[10:13], off offset:8
.LBB4_1393:
	s_or_b32 exec_lo, exec_lo, s15
	s_lshl_b64 s[10:11], s[10:11], 12
	s_mov_b32 s16, 0
	v_add_co_u32 v2, vcc_lo, v2, s10
	v_add_co_ci_u32_e32 v3, vcc_lo, s11, v3, vcc_lo
	s_mov_b32 s17, s16
	v_add_co_u32 v10, vcc_lo, v2, v48
	s_mov_b32 s18, s16
	s_mov_b32 s19, s16
	v_and_or_b32 v4, 0xffffff1f, v4, 32
	v_mov_b32_e32 v7, v6
	v_readfirstlane_b32 s10, v2
	v_readfirstlane_b32 s11, v3
	v_mov_b32_e32 v12, s16
	v_add_co_ci_u32_e32 v11, vcc_lo, 0, v3, vcc_lo
	v_mov_b32_e32 v13, s17
	v_mov_b32_e32 v14, s18
	;; [unrolled: 1-line block ×3, first 2 shown]
	global_store_dwordx4 v48, v[4:7], s[10:11]
	global_store_dwordx4 v48, v[12:15], s[10:11] offset:16
	global_store_dwordx4 v48, v[12:15], s[10:11] offset:32
	global_store_dwordx4 v48, v[12:15], s[10:11] offset:48
	s_and_saveexec_b32 s5, s4
	s_cbranch_execz .LBB4_1401
; %bb.1394:
	v_mov_b32_e32 v6, 0
	v_mov_b32_e32 v12, s6
	;; [unrolled: 1-line block ×3, first 2 shown]
	s_clause 0x1
	global_load_dwordx2 v[14:15], v6, s[26:27] offset:32 glc dlc
	global_load_dwordx2 v[2:3], v6, s[26:27] offset:40
	s_waitcnt vmcnt(0)
	v_readfirstlane_b32 s10, v2
	v_readfirstlane_b32 s11, v3
	s_and_b64 s[10:11], s[10:11], s[6:7]
	s_mul_i32 s11, s11, 24
	s_mul_hi_u32 s15, s10, 24
	s_mul_i32 s10, s10, 24
	s_add_i32 s15, s15, s11
	v_add_co_u32 v4, vcc_lo, v0, s10
	v_add_co_ci_u32_e32 v5, vcc_lo, s15, v1, vcc_lo
	s_mov_b32 s10, exec_lo
	global_store_dwordx2 v[4:5], v[14:15], off
	s_waitcnt_vscnt null, 0x0
	global_atomic_cmpswap_x2 v[2:3], v6, v[12:15], s[26:27] offset:32 glc
	s_waitcnt vmcnt(0)
	v_cmpx_ne_u64_e64 v[2:3], v[14:15]
	s_cbranch_execz .LBB4_1397
; %bb.1395:
	s_mov_b32 s11, 0
.LBB4_1396:                             ; =>This Inner Loop Header: Depth=1
	v_mov_b32_e32 v0, s6
	v_mov_b32_e32 v1, s7
	s_sleep 1
	global_store_dwordx2 v[4:5], v[2:3], off
	s_waitcnt_vscnt null, 0x0
	global_atomic_cmpswap_x2 v[0:1], v6, v[0:3], s[26:27] offset:32 glc
	s_waitcnt vmcnt(0)
	v_cmp_eq_u64_e32 vcc_lo, v[0:1], v[2:3]
	v_mov_b32_e32 v3, v1
	v_mov_b32_e32 v2, v0
	s_or_b32 s11, vcc_lo, s11
	s_andn2_b32 exec_lo, exec_lo, s11
	s_cbranch_execnz .LBB4_1396
.LBB4_1397:
	s_or_b32 exec_lo, exec_lo, s10
	v_mov_b32_e32 v3, 0
	s_mov_b32 s11, exec_lo
	s_mov_b32 s10, exec_lo
	v_mbcnt_lo_u32_b32 v2, s11, 0
	global_load_dwordx2 v[0:1], v3, s[26:27] offset:16
	v_cmpx_eq_u32_e32 0, v2
	s_cbranch_execz .LBB4_1399
; %bb.1398:
	s_bcnt1_i32_b32 s11, s11
	v_mov_b32_e32 v2, s11
	s_waitcnt vmcnt(0)
	global_atomic_add_x2 v[0:1], v[2:3], off offset:8
.LBB4_1399:
	s_or_b32 exec_lo, exec_lo, s10
	s_waitcnt vmcnt(0)
	global_load_dwordx2 v[2:3], v[0:1], off offset:16
	s_waitcnt vmcnt(0)
	v_cmp_eq_u64_e32 vcc_lo, 0, v[2:3]
	s_cbranch_vccnz .LBB4_1401
; %bb.1400:
	global_load_dword v0, v[0:1], off offset:24
	v_mov_b32_e32 v1, 0
	s_waitcnt vmcnt(0)
	v_and_b32_e32 v4, 0x7fffff, v0
	s_waitcnt_vscnt null, 0x0
	global_store_dwordx2 v[2:3], v[0:1], off
	v_readfirstlane_b32 m0, v4
	s_sendmsg sendmsg(MSG_INTERRUPT)
.LBB4_1401:
	s_or_b32 exec_lo, exec_lo, s5
	s_branch .LBB4_1405
	.p2align	6
.LBB4_1402:                             ;   in Loop: Header=BB4_1405 Depth=1
	s_or_b32 exec_lo, exec_lo, s5
	v_readfirstlane_b32 s5, v0
	s_cmp_eq_u32 s5, 0
	s_cbranch_scc1 .LBB4_1404
; %bb.1403:                             ;   in Loop: Header=BB4_1405 Depth=1
	s_sleep 1
	s_cbranch_execnz .LBB4_1405
	s_branch .LBB4_1407
	.p2align	6
.LBB4_1404:
	s_branch .LBB4_1407
.LBB4_1405:                             ; =>This Inner Loop Header: Depth=1
	v_mov_b32_e32 v0, 1
	s_and_saveexec_b32 s5, s4
	s_cbranch_execz .LBB4_1402
; %bb.1406:                             ;   in Loop: Header=BB4_1405 Depth=1
	global_load_dword v0, v[8:9], off offset:20 glc dlc
	s_waitcnt vmcnt(0)
	buffer_gl1_inv
	buffer_gl0_inv
	v_and_b32_e32 v0, 1, v0
	s_branch .LBB4_1402
.LBB4_1407:
	global_load_dwordx2 v[0:1], v[10:11], off
	s_and_saveexec_b32 s5, s4
	s_cbranch_execz .LBB4_1411
; %bb.1408:
	v_mov_b32_e32 v8, 0
	s_clause 0x2
	global_load_dwordx2 v[4:5], v8, s[26:27] offset:40
	global_load_dwordx2 v[9:10], v8, s[26:27] offset:24 glc dlc
	global_load_dwordx2 v[6:7], v8, s[26:27]
	s_waitcnt vmcnt(2)
	v_add_co_u32 v11, vcc_lo, v4, 1
	v_add_co_ci_u32_e32 v12, vcc_lo, 0, v5, vcc_lo
	v_add_co_u32 v2, vcc_lo, v11, s6
	v_add_co_ci_u32_e32 v3, vcc_lo, s7, v12, vcc_lo
	v_cmp_eq_u64_e32 vcc_lo, 0, v[2:3]
	v_cndmask_b32_e32 v3, v3, v12, vcc_lo
	v_cndmask_b32_e32 v2, v2, v11, vcc_lo
	v_and_b32_e32 v5, v3, v5
	v_and_b32_e32 v4, v2, v4
	v_mul_lo_u32 v5, v5, 24
	v_mul_hi_u32 v11, v4, 24
	v_mul_lo_u32 v4, v4, 24
	v_add_nc_u32_e32 v5, v11, v5
	s_waitcnt vmcnt(0)
	v_add_co_u32 v6, vcc_lo, v6, v4
	v_mov_b32_e32 v4, v9
	v_add_co_ci_u32_e32 v7, vcc_lo, v7, v5, vcc_lo
	v_mov_b32_e32 v5, v10
	global_store_dwordx2 v[6:7], v[9:10], off
	s_waitcnt_vscnt null, 0x0
	global_atomic_cmpswap_x2 v[4:5], v8, v[2:5], s[26:27] offset:24 glc
	s_waitcnt vmcnt(0)
	v_cmp_ne_u64_e32 vcc_lo, v[4:5], v[9:10]
	s_and_b32 exec_lo, exec_lo, vcc_lo
	s_cbranch_execz .LBB4_1411
; %bb.1409:
	s_mov_b32 s4, 0
.LBB4_1410:                             ; =>This Inner Loop Header: Depth=1
	s_sleep 1
	global_store_dwordx2 v[6:7], v[4:5], off
	s_waitcnt_vscnt null, 0x0
	global_atomic_cmpswap_x2 v[9:10], v8, v[2:5], s[26:27] offset:24 glc
	s_waitcnt vmcnt(0)
	v_cmp_eq_u64_e32 vcc_lo, v[9:10], v[4:5]
	v_mov_b32_e32 v4, v9
	v_mov_b32_e32 v5, v10
	s_or_b32 s4, vcc_lo, s4
	s_andn2_b32 exec_lo, exec_lo, s4
	s_cbranch_execnz .LBB4_1410
.LBB4_1411:
	s_or_b32 exec_lo, exec_lo, s5
.LBB4_1412:
	s_getpc_b64 s[6:7]
	s_add_u32 s6, s6, .str.2@rel32@lo+4
	s_addc_u32 s7, s7, .str.2@rel32@hi+12
	s_cmp_lg_u64 s[6:7], 0
	s_cbranch_scc0 .LBB4_1491
; %bb.1413:
	s_waitcnt vmcnt(0)
	v_and_b32_e32 v6, -3, v0
	v_mov_b32_e32 v7, v1
	v_mov_b32_e32 v3, 0
	;; [unrolled: 1-line block ×4, first 2 shown]
	s_mov_b64 s[10:11], 13
	s_branch .LBB4_1415
.LBB4_1414:                             ;   in Loop: Header=BB4_1415 Depth=1
	s_or_b32 exec_lo, exec_lo, s5
	s_sub_u32 s10, s10, s16
	s_subb_u32 s11, s11, s17
	s_add_u32 s6, s6, s16
	s_addc_u32 s7, s7, s17
	s_cmp_lg_u64 s[10:11], 0
	s_cbranch_scc0 .LBB4_1490
.LBB4_1415:                             ; =>This Loop Header: Depth=1
                                        ;     Child Loop BB4_1424 Depth 2
                                        ;     Child Loop BB4_1420 Depth 2
	;; [unrolled: 1-line block ×11, first 2 shown]
	v_cmp_lt_u64_e64 s4, s[10:11], 56
	v_cmp_gt_u64_e64 s5, s[10:11], 7
                                        ; implicit-def: $sgpr15
	s_and_b32 s4, s4, exec_lo
	s_cselect_b32 s17, s11, 0
	s_cselect_b32 s16, s10, 56
	s_and_b32 vcc_lo, exec_lo, s5
	s_mov_b32 s4, -1
	s_cbranch_vccz .LBB4_1422
; %bb.1416:                             ;   in Loop: Header=BB4_1415 Depth=1
	s_andn2_b32 vcc_lo, exec_lo, s4
	s_mov_b64 s[4:5], s[6:7]
	s_cbranch_vccz .LBB4_1426
.LBB4_1417:                             ;   in Loop: Header=BB4_1415 Depth=1
	s_cmp_gt_u32 s15, 7
	s_cbranch_scc1 .LBB4_1427
.LBB4_1418:                             ;   in Loop: Header=BB4_1415 Depth=1
	v_mov_b32_e32 v10, 0
	v_mov_b32_e32 v11, 0
	s_cmp_eq_u32 s15, 0
	s_cbranch_scc1 .LBB4_1421
; %bb.1419:                             ;   in Loop: Header=BB4_1415 Depth=1
	s_mov_b64 s[18:19], 0
	s_mov_b64 s[20:21], 0
.LBB4_1420:                             ;   Parent Loop BB4_1415 Depth=1
                                        ; =>  This Inner Loop Header: Depth=2
	s_add_u32 s22, s4, s20
	s_addc_u32 s23, s5, s21
	s_add_u32 s20, s20, 1
	global_load_ubyte v2, v3, s[22:23]
	s_addc_u32 s21, s21, 0
	s_waitcnt vmcnt(0)
	v_and_b32_e32 v2, 0xffff, v2
	v_lshlrev_b64 v[12:13], s18, v[2:3]
	s_add_u32 s18, s18, 8
	s_addc_u32 s19, s19, 0
	s_cmp_lg_u32 s15, s20
	v_or_b32_e32 v10, v12, v10
	v_or_b32_e32 v11, v13, v11
	s_cbranch_scc1 .LBB4_1420
.LBB4_1421:                             ;   in Loop: Header=BB4_1415 Depth=1
	s_mov_b32 s22, 0
	s_cbranch_execz .LBB4_1428
	s_branch .LBB4_1429
.LBB4_1422:                             ;   in Loop: Header=BB4_1415 Depth=1
	s_waitcnt vmcnt(0)
	v_mov_b32_e32 v8, 0
	v_mov_b32_e32 v9, 0
	s_cmp_eq_u64 s[10:11], 0
	s_mov_b64 s[4:5], 0
	s_cbranch_scc1 .LBB4_1425
; %bb.1423:                             ;   in Loop: Header=BB4_1415 Depth=1
	v_mov_b32_e32 v8, 0
	v_mov_b32_e32 v9, 0
	s_lshl_b64 s[18:19], s[16:17], 3
	s_mov_b64 s[20:21], s[6:7]
.LBB4_1424:                             ;   Parent Loop BB4_1415 Depth=1
                                        ; =>  This Inner Loop Header: Depth=2
	global_load_ubyte v2, v3, s[20:21]
	s_waitcnt vmcnt(0)
	v_and_b32_e32 v2, 0xffff, v2
	v_lshlrev_b64 v[10:11], s4, v[2:3]
	s_add_u32 s4, s4, 8
	s_addc_u32 s5, s5, 0
	s_add_u32 s20, s20, 1
	s_addc_u32 s21, s21, 0
	s_cmp_lg_u32 s18, s4
	v_or_b32_e32 v8, v10, v8
	v_or_b32_e32 v9, v11, v9
	s_cbranch_scc1 .LBB4_1424
.LBB4_1425:                             ;   in Loop: Header=BB4_1415 Depth=1
	s_mov_b32 s15, 0
	s_mov_b64 s[4:5], s[6:7]
	s_cbranch_execnz .LBB4_1417
.LBB4_1426:                             ;   in Loop: Header=BB4_1415 Depth=1
	global_load_dwordx2 v[8:9], v3, s[6:7]
	s_add_i32 s15, s16, -8
	s_add_u32 s4, s6, 8
	s_addc_u32 s5, s7, 0
	s_cmp_gt_u32 s15, 7
	s_cbranch_scc0 .LBB4_1418
.LBB4_1427:                             ;   in Loop: Header=BB4_1415 Depth=1
                                        ; implicit-def: $vgpr10_vgpr11
                                        ; implicit-def: $sgpr22
.LBB4_1428:                             ;   in Loop: Header=BB4_1415 Depth=1
	global_load_dwordx2 v[10:11], v3, s[4:5]
	s_add_i32 s22, s15, -8
	s_add_u32 s4, s4, 8
	s_addc_u32 s5, s5, 0
.LBB4_1429:                             ;   in Loop: Header=BB4_1415 Depth=1
	s_cmp_gt_u32 s22, 7
	s_cbranch_scc1 .LBB4_1434
; %bb.1430:                             ;   in Loop: Header=BB4_1415 Depth=1
	v_mov_b32_e32 v12, 0
	v_mov_b32_e32 v13, 0
	s_cmp_eq_u32 s22, 0
	s_cbranch_scc1 .LBB4_1433
; %bb.1431:                             ;   in Loop: Header=BB4_1415 Depth=1
	s_mov_b64 s[18:19], 0
	s_mov_b64 s[20:21], 0
.LBB4_1432:                             ;   Parent Loop BB4_1415 Depth=1
                                        ; =>  This Inner Loop Header: Depth=2
	s_add_u32 s24, s4, s20
	s_addc_u32 s25, s5, s21
	s_add_u32 s20, s20, 1
	global_load_ubyte v2, v3, s[24:25]
	s_addc_u32 s21, s21, 0
	s_waitcnt vmcnt(0)
	v_and_b32_e32 v2, 0xffff, v2
	v_lshlrev_b64 v[14:15], s18, v[2:3]
	s_add_u32 s18, s18, 8
	s_addc_u32 s19, s19, 0
	s_cmp_lg_u32 s22, s20
	v_or_b32_e32 v12, v14, v12
	v_or_b32_e32 v13, v15, v13
	s_cbranch_scc1 .LBB4_1432
.LBB4_1433:                             ;   in Loop: Header=BB4_1415 Depth=1
	s_mov_b32 s15, 0
	s_cbranch_execz .LBB4_1435
	s_branch .LBB4_1436
.LBB4_1434:                             ;   in Loop: Header=BB4_1415 Depth=1
                                        ; implicit-def: $sgpr15
.LBB4_1435:                             ;   in Loop: Header=BB4_1415 Depth=1
	global_load_dwordx2 v[12:13], v3, s[4:5]
	s_add_i32 s15, s22, -8
	s_add_u32 s4, s4, 8
	s_addc_u32 s5, s5, 0
.LBB4_1436:                             ;   in Loop: Header=BB4_1415 Depth=1
	s_cmp_gt_u32 s15, 7
	s_cbranch_scc1 .LBB4_1441
; %bb.1437:                             ;   in Loop: Header=BB4_1415 Depth=1
	v_mov_b32_e32 v14, 0
	v_mov_b32_e32 v15, 0
	s_cmp_eq_u32 s15, 0
	s_cbranch_scc1 .LBB4_1440
; %bb.1438:                             ;   in Loop: Header=BB4_1415 Depth=1
	s_mov_b64 s[18:19], 0
	s_mov_b64 s[20:21], 0
.LBB4_1439:                             ;   Parent Loop BB4_1415 Depth=1
                                        ; =>  This Inner Loop Header: Depth=2
	s_add_u32 s22, s4, s20
	s_addc_u32 s23, s5, s21
	s_add_u32 s20, s20, 1
	global_load_ubyte v2, v3, s[22:23]
	s_addc_u32 s21, s21, 0
	s_waitcnt vmcnt(0)
	v_and_b32_e32 v2, 0xffff, v2
	v_lshlrev_b64 v[16:17], s18, v[2:3]
	s_add_u32 s18, s18, 8
	s_addc_u32 s19, s19, 0
	s_cmp_lg_u32 s15, s20
	v_or_b32_e32 v14, v16, v14
	v_or_b32_e32 v15, v17, v15
	s_cbranch_scc1 .LBB4_1439
.LBB4_1440:                             ;   in Loop: Header=BB4_1415 Depth=1
	s_mov_b32 s22, 0
	s_cbranch_execz .LBB4_1442
	s_branch .LBB4_1443
.LBB4_1441:                             ;   in Loop: Header=BB4_1415 Depth=1
                                        ; implicit-def: $vgpr14_vgpr15
                                        ; implicit-def: $sgpr22
.LBB4_1442:                             ;   in Loop: Header=BB4_1415 Depth=1
	global_load_dwordx2 v[14:15], v3, s[4:5]
	s_add_i32 s22, s15, -8
	s_add_u32 s4, s4, 8
	s_addc_u32 s5, s5, 0
.LBB4_1443:                             ;   in Loop: Header=BB4_1415 Depth=1
	s_cmp_gt_u32 s22, 7
	s_cbranch_scc1 .LBB4_1448
; %bb.1444:                             ;   in Loop: Header=BB4_1415 Depth=1
	v_mov_b32_e32 v16, 0
	v_mov_b32_e32 v17, 0
	s_cmp_eq_u32 s22, 0
	s_cbranch_scc1 .LBB4_1447
; %bb.1445:                             ;   in Loop: Header=BB4_1415 Depth=1
	s_mov_b64 s[18:19], 0
	s_mov_b64 s[20:21], 0
.LBB4_1446:                             ;   Parent Loop BB4_1415 Depth=1
                                        ; =>  This Inner Loop Header: Depth=2
	s_add_u32 s24, s4, s20
	s_addc_u32 s25, s5, s21
	s_add_u32 s20, s20, 1
	global_load_ubyte v2, v3, s[24:25]
	s_addc_u32 s21, s21, 0
	s_waitcnt vmcnt(0)
	v_and_b32_e32 v2, 0xffff, v2
	v_lshlrev_b64 v[18:19], s18, v[2:3]
	s_add_u32 s18, s18, 8
	s_addc_u32 s19, s19, 0
	s_cmp_lg_u32 s22, s20
	v_or_b32_e32 v16, v18, v16
	v_or_b32_e32 v17, v19, v17
	s_cbranch_scc1 .LBB4_1446
.LBB4_1447:                             ;   in Loop: Header=BB4_1415 Depth=1
	s_mov_b32 s15, 0
	s_cbranch_execz .LBB4_1449
	s_branch .LBB4_1450
.LBB4_1448:                             ;   in Loop: Header=BB4_1415 Depth=1
                                        ; implicit-def: $sgpr15
.LBB4_1449:                             ;   in Loop: Header=BB4_1415 Depth=1
	global_load_dwordx2 v[16:17], v3, s[4:5]
	s_add_i32 s15, s22, -8
	s_add_u32 s4, s4, 8
	s_addc_u32 s5, s5, 0
.LBB4_1450:                             ;   in Loop: Header=BB4_1415 Depth=1
	s_cmp_gt_u32 s15, 7
	s_cbranch_scc1 .LBB4_1455
; %bb.1451:                             ;   in Loop: Header=BB4_1415 Depth=1
	v_mov_b32_e32 v18, 0
	v_mov_b32_e32 v19, 0
	s_cmp_eq_u32 s15, 0
	s_cbranch_scc1 .LBB4_1454
; %bb.1452:                             ;   in Loop: Header=BB4_1415 Depth=1
	s_mov_b64 s[18:19], 0
	s_mov_b64 s[20:21], 0
.LBB4_1453:                             ;   Parent Loop BB4_1415 Depth=1
                                        ; =>  This Inner Loop Header: Depth=2
	s_add_u32 s22, s4, s20
	s_addc_u32 s23, s5, s21
	s_add_u32 s20, s20, 1
	global_load_ubyte v2, v3, s[22:23]
	s_addc_u32 s21, s21, 0
	s_waitcnt vmcnt(0)
	v_and_b32_e32 v2, 0xffff, v2
	v_lshlrev_b64 v[20:21], s18, v[2:3]
	s_add_u32 s18, s18, 8
	s_addc_u32 s19, s19, 0
	s_cmp_lg_u32 s15, s20
	v_or_b32_e32 v18, v20, v18
	v_or_b32_e32 v19, v21, v19
	s_cbranch_scc1 .LBB4_1453
.LBB4_1454:                             ;   in Loop: Header=BB4_1415 Depth=1
	s_mov_b32 s22, 0
	s_cbranch_execz .LBB4_1456
	s_branch .LBB4_1457
.LBB4_1455:                             ;   in Loop: Header=BB4_1415 Depth=1
                                        ; implicit-def: $vgpr18_vgpr19
                                        ; implicit-def: $sgpr22
.LBB4_1456:                             ;   in Loop: Header=BB4_1415 Depth=1
	global_load_dwordx2 v[18:19], v3, s[4:5]
	s_add_i32 s22, s15, -8
	s_add_u32 s4, s4, 8
	s_addc_u32 s5, s5, 0
.LBB4_1457:                             ;   in Loop: Header=BB4_1415 Depth=1
	s_cmp_gt_u32 s22, 7
	s_cbranch_scc1 .LBB4_1462
; %bb.1458:                             ;   in Loop: Header=BB4_1415 Depth=1
	v_mov_b32_e32 v20, 0
	v_mov_b32_e32 v21, 0
	s_cmp_eq_u32 s22, 0
	s_cbranch_scc1 .LBB4_1461
; %bb.1459:                             ;   in Loop: Header=BB4_1415 Depth=1
	s_mov_b64 s[18:19], 0
	s_mov_b64 s[20:21], s[4:5]
.LBB4_1460:                             ;   Parent Loop BB4_1415 Depth=1
                                        ; =>  This Inner Loop Header: Depth=2
	global_load_ubyte v2, v3, s[20:21]
	s_add_i32 s22, s22, -1
	s_waitcnt vmcnt(0)
	v_and_b32_e32 v2, 0xffff, v2
	v_lshlrev_b64 v[22:23], s18, v[2:3]
	s_add_u32 s18, s18, 8
	s_addc_u32 s19, s19, 0
	s_add_u32 s20, s20, 1
	s_addc_u32 s21, s21, 0
	s_cmp_lg_u32 s22, 0
	v_or_b32_e32 v20, v22, v20
	v_or_b32_e32 v21, v23, v21
	s_cbranch_scc1 .LBB4_1460
.LBB4_1461:                             ;   in Loop: Header=BB4_1415 Depth=1
	s_cbranch_execz .LBB4_1463
	s_branch .LBB4_1464
.LBB4_1462:                             ;   in Loop: Header=BB4_1415 Depth=1
.LBB4_1463:                             ;   in Loop: Header=BB4_1415 Depth=1
	global_load_dwordx2 v[20:21], v3, s[4:5]
.LBB4_1464:                             ;   in Loop: Header=BB4_1415 Depth=1
	v_readfirstlane_b32 s4, v49
	v_mov_b32_e32 v26, 0
	v_mov_b32_e32 v27, 0
	v_cmp_eq_u32_e64 s4, s4, v49
	s_and_saveexec_b32 s5, s4
	s_cbranch_execz .LBB4_1470
; %bb.1465:                             ;   in Loop: Header=BB4_1415 Depth=1
	global_load_dwordx2 v[24:25], v3, s[26:27] offset:24 glc dlc
	s_waitcnt vmcnt(0)
	buffer_gl1_inv
	buffer_gl0_inv
	s_clause 0x1
	global_load_dwordx2 v[22:23], v3, s[26:27] offset:40
	global_load_dwordx2 v[26:27], v3, s[26:27]
	s_mov_b32 s15, exec_lo
	s_waitcnt vmcnt(1)
	v_and_b32_e32 v2, v23, v25
	v_and_b32_e32 v22, v22, v24
	v_mul_lo_u32 v2, v2, 24
	v_mul_hi_u32 v23, v22, 24
	v_mul_lo_u32 v22, v22, 24
	v_add_nc_u32_e32 v2, v23, v2
	s_waitcnt vmcnt(0)
	v_add_co_u32 v22, vcc_lo, v26, v22
	v_add_co_ci_u32_e32 v23, vcc_lo, v27, v2, vcc_lo
	global_load_dwordx2 v[22:23], v[22:23], off glc dlc
	s_waitcnt vmcnt(0)
	global_atomic_cmpswap_x2 v[26:27], v3, v[22:25], s[26:27] offset:24 glc
	s_waitcnt vmcnt(0)
	buffer_gl1_inv
	buffer_gl0_inv
	v_cmpx_ne_u64_e64 v[26:27], v[24:25]
	s_cbranch_execz .LBB4_1469
; %bb.1466:                             ;   in Loop: Header=BB4_1415 Depth=1
	s_mov_b32 s18, 0
	.p2align	6
.LBB4_1467:                             ;   Parent Loop BB4_1415 Depth=1
                                        ; =>  This Inner Loop Header: Depth=2
	s_sleep 1
	s_clause 0x1
	global_load_dwordx2 v[22:23], v3, s[26:27] offset:40
	global_load_dwordx2 v[28:29], v3, s[26:27]
	v_mov_b32_e32 v24, v26
	v_mov_b32_e32 v25, v27
	s_waitcnt vmcnt(1)
	v_and_b32_e32 v2, v22, v24
	v_and_b32_e32 v22, v23, v25
	s_waitcnt vmcnt(0)
	v_mad_u64_u32 v[26:27], null, v2, 24, v[28:29]
	v_mov_b32_e32 v2, v27
	v_mad_u64_u32 v[22:23], null, v22, 24, v[2:3]
	v_mov_b32_e32 v27, v22
	global_load_dwordx2 v[22:23], v[26:27], off glc dlc
	s_waitcnt vmcnt(0)
	global_atomic_cmpswap_x2 v[26:27], v3, v[22:25], s[26:27] offset:24 glc
	s_waitcnt vmcnt(0)
	buffer_gl1_inv
	buffer_gl0_inv
	v_cmp_eq_u64_e32 vcc_lo, v[26:27], v[24:25]
	s_or_b32 s18, vcc_lo, s18
	s_andn2_b32 exec_lo, exec_lo, s18
	s_cbranch_execnz .LBB4_1467
; %bb.1468:                             ;   in Loop: Header=BB4_1415 Depth=1
	s_or_b32 exec_lo, exec_lo, s18
.LBB4_1469:                             ;   in Loop: Header=BB4_1415 Depth=1
	s_or_b32 exec_lo, exec_lo, s15
.LBB4_1470:                             ;   in Loop: Header=BB4_1415 Depth=1
	s_or_b32 exec_lo, exec_lo, s5
	s_clause 0x1
	global_load_dwordx2 v[28:29], v3, s[26:27] offset:40
	global_load_dwordx4 v[22:25], v3, s[26:27]
	v_readfirstlane_b32 s18, v26
	v_readfirstlane_b32 s19, v27
	s_mov_b32 s5, exec_lo
	s_waitcnt vmcnt(1)
	v_readfirstlane_b32 s20, v28
	v_readfirstlane_b32 s21, v29
	s_and_b64 s[20:21], s[18:19], s[20:21]
	s_mul_i32 s15, s21, 24
	s_mul_hi_u32 s22, s20, 24
	s_mul_i32 s23, s20, 24
	s_add_i32 s22, s22, s15
	s_waitcnt vmcnt(0)
	v_add_co_u32 v26, vcc_lo, v22, s23
	v_add_co_ci_u32_e32 v27, vcc_lo, s22, v23, vcc_lo
	s_and_saveexec_b32 s15, s4
	s_cbranch_execz .LBB4_1472
; %bb.1471:                             ;   in Loop: Header=BB4_1415 Depth=1
	v_mov_b32_e32 v2, s5
	global_store_dwordx4 v[26:27], v[2:5], off offset:8
.LBB4_1472:                             ;   in Loop: Header=BB4_1415 Depth=1
	s_or_b32 exec_lo, exec_lo, s15
	s_lshl_b64 s[20:21], s[20:21], 12
	v_or_b32_e32 v2, 2, v6
	v_add_co_u32 v24, vcc_lo, v24, s20
	v_add_co_ci_u32_e32 v25, vcc_lo, s21, v25, vcc_lo
	v_cmp_gt_u64_e64 vcc_lo, s[10:11], 56
	s_lshl_b32 s5, s16, 2
	v_readfirstlane_b32 s20, v24
	s_add_i32 s5, s5, 28
	v_readfirstlane_b32 s21, v25
	s_and_b32 s5, s5, 0x1e0
	v_cndmask_b32_e32 v2, v2, v6, vcc_lo
	v_and_or_b32 v6, 0xffffff1f, v2, s5
	global_store_dwordx4 v48, v[10:13], s[20:21] offset:16
	global_store_dwordx4 v48, v[6:9], s[20:21]
	global_store_dwordx4 v48, v[14:17], s[20:21] offset:32
	global_store_dwordx4 v48, v[18:21], s[20:21] offset:48
	s_and_saveexec_b32 s5, s4
	s_cbranch_execz .LBB4_1480
; %bb.1473:                             ;   in Loop: Header=BB4_1415 Depth=1
	s_clause 0x1
	global_load_dwordx2 v[14:15], v3, s[26:27] offset:32 glc dlc
	global_load_dwordx2 v[6:7], v3, s[26:27] offset:40
	v_mov_b32_e32 v12, s18
	v_mov_b32_e32 v13, s19
	s_waitcnt vmcnt(0)
	v_readfirstlane_b32 s20, v6
	v_readfirstlane_b32 s21, v7
	s_and_b64 s[20:21], s[20:21], s[18:19]
	s_mul_i32 s15, s21, 24
	s_mul_hi_u32 s21, s20, 24
	s_mul_i32 s20, s20, 24
	s_add_i32 s21, s21, s15
	v_add_co_u32 v10, vcc_lo, v22, s20
	v_add_co_ci_u32_e32 v11, vcc_lo, s21, v23, vcc_lo
	s_mov_b32 s15, exec_lo
	global_store_dwordx2 v[10:11], v[14:15], off
	s_waitcnt_vscnt null, 0x0
	global_atomic_cmpswap_x2 v[8:9], v3, v[12:15], s[26:27] offset:32 glc
	s_waitcnt vmcnt(0)
	v_cmpx_ne_u64_e64 v[8:9], v[14:15]
	s_cbranch_execz .LBB4_1476
; %bb.1474:                             ;   in Loop: Header=BB4_1415 Depth=1
	s_mov_b32 s20, 0
.LBB4_1475:                             ;   Parent Loop BB4_1415 Depth=1
                                        ; =>  This Inner Loop Header: Depth=2
	v_mov_b32_e32 v6, s18
	v_mov_b32_e32 v7, s19
	s_sleep 1
	global_store_dwordx2 v[10:11], v[8:9], off
	s_waitcnt_vscnt null, 0x0
	global_atomic_cmpswap_x2 v[6:7], v3, v[6:9], s[26:27] offset:32 glc
	s_waitcnt vmcnt(0)
	v_cmp_eq_u64_e32 vcc_lo, v[6:7], v[8:9]
	v_mov_b32_e32 v9, v7
	v_mov_b32_e32 v8, v6
	s_or_b32 s20, vcc_lo, s20
	s_andn2_b32 exec_lo, exec_lo, s20
	s_cbranch_execnz .LBB4_1475
.LBB4_1476:                             ;   in Loop: Header=BB4_1415 Depth=1
	s_or_b32 exec_lo, exec_lo, s15
	global_load_dwordx2 v[6:7], v3, s[26:27] offset:16
	s_mov_b32 s20, exec_lo
	s_mov_b32 s15, exec_lo
	v_mbcnt_lo_u32_b32 v2, s20, 0
	v_cmpx_eq_u32_e32 0, v2
	s_cbranch_execz .LBB4_1478
; %bb.1477:                             ;   in Loop: Header=BB4_1415 Depth=1
	s_bcnt1_i32_b32 s20, s20
	v_mov_b32_e32 v2, s20
	s_waitcnt vmcnt(0)
	global_atomic_add_x2 v[6:7], v[2:3], off offset:8
.LBB4_1478:                             ;   in Loop: Header=BB4_1415 Depth=1
	s_or_b32 exec_lo, exec_lo, s15
	s_waitcnt vmcnt(0)
	global_load_dwordx2 v[8:9], v[6:7], off offset:16
	s_waitcnt vmcnt(0)
	v_cmp_eq_u64_e32 vcc_lo, 0, v[8:9]
	s_cbranch_vccnz .LBB4_1480
; %bb.1479:                             ;   in Loop: Header=BB4_1415 Depth=1
	global_load_dword v2, v[6:7], off offset:24
	s_waitcnt vmcnt(0)
	v_and_b32_e32 v6, 0x7fffff, v2
	s_waitcnt_vscnt null, 0x0
	global_store_dwordx2 v[8:9], v[2:3], off
	v_readfirstlane_b32 m0, v6
	s_sendmsg sendmsg(MSG_INTERRUPT)
.LBB4_1480:                             ;   in Loop: Header=BB4_1415 Depth=1
	s_or_b32 exec_lo, exec_lo, s5
	v_add_co_u32 v6, vcc_lo, v24, v48
	v_add_co_ci_u32_e32 v7, vcc_lo, 0, v25, vcc_lo
	s_branch .LBB4_1484
	.p2align	6
.LBB4_1481:                             ;   in Loop: Header=BB4_1484 Depth=2
	s_or_b32 exec_lo, exec_lo, s5
	v_readfirstlane_b32 s5, v2
	s_cmp_eq_u32 s5, 0
	s_cbranch_scc1 .LBB4_1483
; %bb.1482:                             ;   in Loop: Header=BB4_1484 Depth=2
	s_sleep 1
	s_cbranch_execnz .LBB4_1484
	s_branch .LBB4_1486
	.p2align	6
.LBB4_1483:                             ;   in Loop: Header=BB4_1415 Depth=1
	s_branch .LBB4_1486
.LBB4_1484:                             ;   Parent Loop BB4_1415 Depth=1
                                        ; =>  This Inner Loop Header: Depth=2
	v_mov_b32_e32 v2, 1
	s_and_saveexec_b32 s5, s4
	s_cbranch_execz .LBB4_1481
; %bb.1485:                             ;   in Loop: Header=BB4_1484 Depth=2
	global_load_dword v2, v[26:27], off offset:20 glc dlc
	s_waitcnt vmcnt(0)
	buffer_gl1_inv
	buffer_gl0_inv
	v_and_b32_e32 v2, 1, v2
	s_branch .LBB4_1481
.LBB4_1486:                             ;   in Loop: Header=BB4_1415 Depth=1
	global_load_dwordx4 v[6:9], v[6:7], off
	s_and_saveexec_b32 s5, s4
	s_cbranch_execz .LBB4_1414
; %bb.1487:                             ;   in Loop: Header=BB4_1415 Depth=1
	s_clause 0x2
	global_load_dwordx2 v[10:11], v3, s[26:27] offset:40
	global_load_dwordx2 v[14:15], v3, s[26:27] offset:24 glc dlc
	global_load_dwordx2 v[12:13], v3, s[26:27]
	s_waitcnt vmcnt(2)
	v_add_co_u32 v2, vcc_lo, v10, 1
	v_add_co_ci_u32_e32 v16, vcc_lo, 0, v11, vcc_lo
	v_add_co_u32 v8, vcc_lo, v2, s18
	v_add_co_ci_u32_e32 v9, vcc_lo, s19, v16, vcc_lo
	v_cmp_eq_u64_e32 vcc_lo, 0, v[8:9]
	v_cndmask_b32_e32 v9, v9, v16, vcc_lo
	v_cndmask_b32_e32 v8, v8, v2, vcc_lo
	v_and_b32_e32 v2, v9, v11
	v_and_b32_e32 v10, v8, v10
	v_mul_lo_u32 v2, v2, 24
	v_mul_hi_u32 v11, v10, 24
	v_mul_lo_u32 v10, v10, 24
	v_add_nc_u32_e32 v2, v11, v2
	s_waitcnt vmcnt(0)
	v_add_co_u32 v12, vcc_lo, v12, v10
	v_mov_b32_e32 v10, v14
	v_mov_b32_e32 v11, v15
	v_add_co_ci_u32_e32 v13, vcc_lo, v13, v2, vcc_lo
	global_store_dwordx2 v[12:13], v[14:15], off
	s_waitcnt_vscnt null, 0x0
	global_atomic_cmpswap_x2 v[10:11], v3, v[8:11], s[26:27] offset:24 glc
	s_waitcnt vmcnt(0)
	v_cmp_ne_u64_e32 vcc_lo, v[10:11], v[14:15]
	s_and_b32 exec_lo, exec_lo, vcc_lo
	s_cbranch_execz .LBB4_1414
; %bb.1488:                             ;   in Loop: Header=BB4_1415 Depth=1
	s_mov_b32 s4, 0
.LBB4_1489:                             ;   Parent Loop BB4_1415 Depth=1
                                        ; =>  This Inner Loop Header: Depth=2
	s_sleep 1
	global_store_dwordx2 v[12:13], v[10:11], off
	s_waitcnt_vscnt null, 0x0
	global_atomic_cmpswap_x2 v[14:15], v3, v[8:11], s[26:27] offset:24 glc
	s_waitcnt vmcnt(0)
	v_cmp_eq_u64_e32 vcc_lo, v[14:15], v[10:11]
	v_mov_b32_e32 v10, v14
	v_mov_b32_e32 v11, v15
	s_or_b32 s4, vcc_lo, s4
	s_andn2_b32 exec_lo, exec_lo, s4
	s_cbranch_execnz .LBB4_1489
	s_branch .LBB4_1414
.LBB4_1490:
	s_mov_b32 s4, 0
	s_branch .LBB4_1492
.LBB4_1491:
	s_mov_b32 s4, -1
.LBB4_1492:
	s_mov_b32 s35, s12
	s_mov_b32 s36, s13
	;; [unrolled: 1-line block ×3, first 2 shown]
	s_and_b32 vcc_lo, exec_lo, s4
	s_cbranch_vccz .LBB4_1520
; %bb.1493:
	v_readfirstlane_b32 s4, v49
	s_waitcnt vmcnt(0)
	v_mov_b32_e32 v8, 0
	v_mov_b32_e32 v9, 0
	v_cmp_eq_u32_e64 s4, s4, v49
	s_and_saveexec_b32 s5, s4
	s_cbranch_execz .LBB4_1499
; %bb.1494:
	v_mov_b32_e32 v2, 0
	s_mov_b32 s6, exec_lo
	global_load_dwordx2 v[5:6], v2, s[26:27] offset:24 glc dlc
	s_waitcnt vmcnt(0)
	buffer_gl1_inv
	buffer_gl0_inv
	s_clause 0x1
	global_load_dwordx2 v[3:4], v2, s[26:27] offset:40
	global_load_dwordx2 v[7:8], v2, s[26:27]
	s_waitcnt vmcnt(1)
	v_and_b32_e32 v4, v4, v6
	v_and_b32_e32 v3, v3, v5
	v_mul_lo_u32 v4, v4, 24
	v_mul_hi_u32 v9, v3, 24
	v_mul_lo_u32 v3, v3, 24
	v_add_nc_u32_e32 v4, v9, v4
	s_waitcnt vmcnt(0)
	v_add_co_u32 v3, vcc_lo, v7, v3
	v_add_co_ci_u32_e32 v4, vcc_lo, v8, v4, vcc_lo
	global_load_dwordx2 v[3:4], v[3:4], off glc dlc
	s_waitcnt vmcnt(0)
	global_atomic_cmpswap_x2 v[8:9], v2, v[3:6], s[26:27] offset:24 glc
	s_waitcnt vmcnt(0)
	buffer_gl1_inv
	buffer_gl0_inv
	v_cmpx_ne_u64_e64 v[8:9], v[5:6]
	s_cbranch_execz .LBB4_1498
; %bb.1495:
	s_mov_b32 s7, 0
	.p2align	6
.LBB4_1496:                             ; =>This Inner Loop Header: Depth=1
	s_sleep 1
	s_clause 0x1
	global_load_dwordx2 v[3:4], v2, s[26:27] offset:40
	global_load_dwordx2 v[10:11], v2, s[26:27]
	v_mov_b32_e32 v5, v8
	v_mov_b32_e32 v6, v9
	s_waitcnt vmcnt(1)
	v_and_b32_e32 v3, v3, v5
	v_and_b32_e32 v4, v4, v6
	s_waitcnt vmcnt(0)
	v_mad_u64_u32 v[7:8], null, v3, 24, v[10:11]
	v_mov_b32_e32 v3, v8
	v_mad_u64_u32 v[3:4], null, v4, 24, v[3:4]
	v_mov_b32_e32 v8, v3
	global_load_dwordx2 v[3:4], v[7:8], off glc dlc
	s_waitcnt vmcnt(0)
	global_atomic_cmpswap_x2 v[8:9], v2, v[3:6], s[26:27] offset:24 glc
	s_waitcnt vmcnt(0)
	buffer_gl1_inv
	buffer_gl0_inv
	v_cmp_eq_u64_e32 vcc_lo, v[8:9], v[5:6]
	s_or_b32 s7, vcc_lo, s7
	s_andn2_b32 exec_lo, exec_lo, s7
	s_cbranch_execnz .LBB4_1496
; %bb.1497:
	s_or_b32 exec_lo, exec_lo, s7
.LBB4_1498:
	s_or_b32 exec_lo, exec_lo, s6
.LBB4_1499:
	s_or_b32 exec_lo, exec_lo, s5
	v_mov_b32_e32 v2, 0
	v_readfirstlane_b32 s6, v8
	v_readfirstlane_b32 s7, v9
	s_mov_b32 s5, exec_lo
	s_clause 0x1
	global_load_dwordx2 v[10:11], v2, s[26:27] offset:40
	global_load_dwordx4 v[4:7], v2, s[26:27]
	s_waitcnt vmcnt(1)
	v_readfirstlane_b32 s10, v10
	v_readfirstlane_b32 s11, v11
	s_and_b64 s[10:11], s[6:7], s[10:11]
	s_mul_i32 s12, s11, 24
	s_mul_hi_u32 s13, s10, 24
	s_mul_i32 s14, s10, 24
	s_add_i32 s13, s13, s12
	s_waitcnt vmcnt(0)
	v_add_co_u32 v8, vcc_lo, v4, s14
	v_add_co_ci_u32_e32 v9, vcc_lo, s13, v5, vcc_lo
	s_and_saveexec_b32 s12, s4
	s_cbranch_execz .LBB4_1501
; %bb.1500:
	v_mov_b32_e32 v10, s5
	v_mov_b32_e32 v11, v2
	;; [unrolled: 1-line block ×4, first 2 shown]
	global_store_dwordx4 v[8:9], v[10:13], off offset:8
.LBB4_1501:
	s_or_b32 exec_lo, exec_lo, s12
	s_lshl_b64 s[10:11], s[10:11], 12
	s_mov_b32 s12, 0
	v_add_co_u32 v6, vcc_lo, v6, s10
	v_add_co_ci_u32_e32 v7, vcc_lo, s11, v7, vcc_lo
	s_mov_b32 s13, s12
	s_mov_b32 s14, s12
	;; [unrolled: 1-line block ×3, first 2 shown]
	v_and_or_b32 v0, 0xffffff1d, v0, 34
	v_mov_b32_e32 v3, v2
	v_readfirstlane_b32 s10, v6
	v_readfirstlane_b32 s11, v7
	v_mov_b32_e32 v10, s12
	v_mov_b32_e32 v11, s13
	;; [unrolled: 1-line block ×4, first 2 shown]
	global_store_dwordx4 v48, v[0:3], s[10:11]
	global_store_dwordx4 v48, v[10:13], s[10:11] offset:16
	global_store_dwordx4 v48, v[10:13], s[10:11] offset:32
	;; [unrolled: 1-line block ×3, first 2 shown]
	s_and_saveexec_b32 s5, s4
	s_cbranch_execz .LBB4_1509
; %bb.1502:
	v_mov_b32_e32 v6, 0
	v_mov_b32_e32 v10, s6
	;; [unrolled: 1-line block ×3, first 2 shown]
	s_clause 0x1
	global_load_dwordx2 v[12:13], v6, s[26:27] offset:32 glc dlc
	global_load_dwordx2 v[0:1], v6, s[26:27] offset:40
	s_waitcnt vmcnt(0)
	v_readfirstlane_b32 s10, v0
	v_readfirstlane_b32 s11, v1
	s_and_b64 s[10:11], s[10:11], s[6:7]
	s_mul_i32 s11, s11, 24
	s_mul_hi_u32 s12, s10, 24
	s_mul_i32 s10, s10, 24
	s_add_i32 s12, s12, s11
	v_add_co_u32 v4, vcc_lo, v4, s10
	v_add_co_ci_u32_e32 v5, vcc_lo, s12, v5, vcc_lo
	s_mov_b32 s10, exec_lo
	global_store_dwordx2 v[4:5], v[12:13], off
	s_waitcnt_vscnt null, 0x0
	global_atomic_cmpswap_x2 v[2:3], v6, v[10:13], s[26:27] offset:32 glc
	s_waitcnt vmcnt(0)
	v_cmpx_ne_u64_e64 v[2:3], v[12:13]
	s_cbranch_execz .LBB4_1505
; %bb.1503:
	s_mov_b32 s11, 0
.LBB4_1504:                             ; =>This Inner Loop Header: Depth=1
	v_mov_b32_e32 v0, s6
	v_mov_b32_e32 v1, s7
	s_sleep 1
	global_store_dwordx2 v[4:5], v[2:3], off
	s_waitcnt_vscnt null, 0x0
	global_atomic_cmpswap_x2 v[0:1], v6, v[0:3], s[26:27] offset:32 glc
	s_waitcnt vmcnt(0)
	v_cmp_eq_u64_e32 vcc_lo, v[0:1], v[2:3]
	v_mov_b32_e32 v3, v1
	v_mov_b32_e32 v2, v0
	s_or_b32 s11, vcc_lo, s11
	s_andn2_b32 exec_lo, exec_lo, s11
	s_cbranch_execnz .LBB4_1504
.LBB4_1505:
	s_or_b32 exec_lo, exec_lo, s10
	v_mov_b32_e32 v3, 0
	s_mov_b32 s11, exec_lo
	s_mov_b32 s10, exec_lo
	v_mbcnt_lo_u32_b32 v2, s11, 0
	global_load_dwordx2 v[0:1], v3, s[26:27] offset:16
	v_cmpx_eq_u32_e32 0, v2
	s_cbranch_execz .LBB4_1507
; %bb.1506:
	s_bcnt1_i32_b32 s11, s11
	v_mov_b32_e32 v2, s11
	s_waitcnt vmcnt(0)
	global_atomic_add_x2 v[0:1], v[2:3], off offset:8
.LBB4_1507:
	s_or_b32 exec_lo, exec_lo, s10
	s_waitcnt vmcnt(0)
	global_load_dwordx2 v[2:3], v[0:1], off offset:16
	s_waitcnt vmcnt(0)
	v_cmp_eq_u64_e32 vcc_lo, 0, v[2:3]
	s_cbranch_vccnz .LBB4_1509
; %bb.1508:
	global_load_dword v0, v[0:1], off offset:24
	v_mov_b32_e32 v1, 0
	s_waitcnt vmcnt(0)
	v_and_b32_e32 v4, 0x7fffff, v0
	s_waitcnt_vscnt null, 0x0
	global_store_dwordx2 v[2:3], v[0:1], off
	v_readfirstlane_b32 m0, v4
	s_sendmsg sendmsg(MSG_INTERRUPT)
.LBB4_1509:
	s_or_b32 exec_lo, exec_lo, s5
	s_branch .LBB4_1513
	.p2align	6
.LBB4_1510:                             ;   in Loop: Header=BB4_1513 Depth=1
	s_or_b32 exec_lo, exec_lo, s5
	v_readfirstlane_b32 s5, v0
	s_cmp_eq_u32 s5, 0
	s_cbranch_scc1 .LBB4_1512
; %bb.1511:                             ;   in Loop: Header=BB4_1513 Depth=1
	s_sleep 1
	s_cbranch_execnz .LBB4_1513
	s_branch .LBB4_1515
	.p2align	6
.LBB4_1512:
	s_branch .LBB4_1515
.LBB4_1513:                             ; =>This Inner Loop Header: Depth=1
	v_mov_b32_e32 v0, 1
	s_and_saveexec_b32 s5, s4
	s_cbranch_execz .LBB4_1510
; %bb.1514:                             ;   in Loop: Header=BB4_1513 Depth=1
	global_load_dword v0, v[8:9], off offset:20 glc dlc
	s_waitcnt vmcnt(0)
	buffer_gl1_inv
	buffer_gl0_inv
	v_and_b32_e32 v0, 1, v0
	s_branch .LBB4_1510
.LBB4_1515:
	s_and_saveexec_b32 s5, s4
	s_cbranch_execz .LBB4_1519
; %bb.1516:
	v_mov_b32_e32 v6, 0
	s_clause 0x2
	global_load_dwordx2 v[2:3], v6, s[26:27] offset:40
	global_load_dwordx2 v[7:8], v6, s[26:27] offset:24 glc dlc
	global_load_dwordx2 v[4:5], v6, s[26:27]
	s_waitcnt vmcnt(2)
	v_add_co_u32 v9, vcc_lo, v2, 1
	v_add_co_ci_u32_e32 v10, vcc_lo, 0, v3, vcc_lo
	v_add_co_u32 v0, vcc_lo, v9, s6
	v_add_co_ci_u32_e32 v1, vcc_lo, s7, v10, vcc_lo
	v_cmp_eq_u64_e32 vcc_lo, 0, v[0:1]
	v_cndmask_b32_e32 v1, v1, v10, vcc_lo
	v_cndmask_b32_e32 v0, v0, v9, vcc_lo
	v_and_b32_e32 v3, v1, v3
	v_and_b32_e32 v2, v0, v2
	v_mul_lo_u32 v3, v3, 24
	v_mul_hi_u32 v9, v2, 24
	v_mul_lo_u32 v2, v2, 24
	v_add_nc_u32_e32 v3, v9, v3
	s_waitcnt vmcnt(0)
	v_add_co_u32 v4, vcc_lo, v4, v2
	v_mov_b32_e32 v2, v7
	v_add_co_ci_u32_e32 v5, vcc_lo, v5, v3, vcc_lo
	v_mov_b32_e32 v3, v8
	global_store_dwordx2 v[4:5], v[7:8], off
	s_waitcnt_vscnt null, 0x0
	global_atomic_cmpswap_x2 v[2:3], v6, v[0:3], s[26:27] offset:24 glc
	s_waitcnt vmcnt(0)
	v_cmp_ne_u64_e32 vcc_lo, v[2:3], v[7:8]
	s_and_b32 exec_lo, exec_lo, vcc_lo
	s_cbranch_execz .LBB4_1519
; %bb.1517:
	s_mov_b32 s4, 0
.LBB4_1518:                             ; =>This Inner Loop Header: Depth=1
	s_sleep 1
	global_store_dwordx2 v[4:5], v[2:3], off
	s_waitcnt_vscnt null, 0x0
	global_atomic_cmpswap_x2 v[7:8], v6, v[0:3], s[26:27] offset:24 glc
	s_waitcnt vmcnt(0)
	v_cmp_eq_u64_e32 vcc_lo, v[7:8], v[2:3]
	v_mov_b32_e32 v2, v7
	v_mov_b32_e32 v3, v8
	s_or_b32 s4, vcc_lo, s4
	s_andn2_b32 exec_lo, exec_lo, s4
	s_cbranch_execnz .LBB4_1518
.LBB4_1519:
	s_or_b32 exec_lo, exec_lo, s5
.LBB4_1520:
	s_getpc_b64 s[4:5]
	s_add_u32 s4, s4, .str.14@rel32@lo+4
	s_addc_u32 s5, s5, .str.14@rel32@hi+12
	s_waitcnt vmcnt(0)
	v_mov_b32_e32 v0, s4
	v_mov_b32_e32 v1, s5
	s_mov_b64 s[38:39], src_private_base
	s_getpc_b64 s[40:41]
	s_add_u32 s40, s40, _ZNK8migraphx13basic_printerIZNS_4coutEvEUlT_E_ElsEPKc@rel32@lo+4
	s_addc_u32 s41, s41, _ZNK8migraphx13basic_printerIZNS_4coutEvEUlT_E_ElsEPKc@rel32@hi+12
	s_mov_b64 s[24:25], s[8:9]
	s_swappc_b64 s[30:31], s[40:41]
	s_getpc_b64 s[4:5]
	s_add_u32 s4, s4, .str.3@rel32@lo+4
	s_addc_u32 s5, s5, .str.3@rel32@hi+12
	v_mov_b32_e32 v0, s4
	v_mov_b32_e32 v1, s5
	s_mov_b64 s[8:9], s[24:25]
	s_swappc_b64 s[30:31], s[40:41]
	v_mov_b32_e32 v0, v39
	v_mov_b32_e32 v1, s39
	s_mov_b64 s[8:9], s[24:25]
	s_getpc_b64 s[42:43]
	s_add_u32 s42, s42, _ZN8migraphx4test12print_streamIKNS_13basic_printerIZNS_4coutEvEUlT_E_EEPiEEvRS3_RKT0_@rel32@lo+4
	s_addc_u32 s43, s43, _ZN8migraphx4test12print_streamIKNS_13basic_printerIZNS_4coutEvEUlT_E_EEPiEEvRS3_RKT0_@rel32@hi+12
	s_swappc_b64 s[30:31], s[42:43]
	s_getpc_b64 s[22:23]
	s_add_u32 s22, s22, .str.8@rel32@lo+4
	s_addc_u32 s23, s23, .str.8@rel32@hi+12
	v_mov_b32_e32 v0, s22
	v_mov_b32_e32 v1, s23
	s_mov_b64 s[8:9], s[24:25]
	s_swappc_b64 s[30:31], s[40:41]
	s_getpc_b64 s[4:5]
	s_add_u32 s4, s4, .str.10@rel32@lo+4
	s_addc_u32 s5, s5, .str.10@rel32@hi+12
	v_mov_b32_e32 v0, s4
	v_mov_b32_e32 v1, s5
	s_mov_b64 s[8:9], s[24:25]
	s_swappc_b64 s[30:31], s[40:41]
	v_mov_b32_e32 v0, s22
	v_mov_b32_e32 v1, s23
	s_mov_b64 s[8:9], s[24:25]
	s_swappc_b64 s[30:31], s[40:41]
	;; [unrolled: 4-line block ×3, first 2 shown]
	s_getpc_b64 s[4:5]
	s_add_u32 s4, s4, .str.4@rel32@lo+4
	s_addc_u32 s5, s5, .str.4@rel32@hi+12
	v_mov_b32_e32 v0, s4
	v_mov_b32_e32 v1, s5
	s_mov_b64 s[8:9], s[24:25]
	s_mov_b64 s[22:23], s[24:25]
	s_swappc_b64 s[30:31], s[40:41]
	v_readfirstlane_b32 s4, v49
	v_mov_b32_e32 v6, 0
	v_mov_b32_e32 v7, 0
	v_cmp_eq_u32_e64 s4, s4, v49
	s_and_saveexec_b32 s5, s4
	s_mov_b32 s14, s37
	s_mov_b32 s13, s36
	;; [unrolled: 1-line block ×3, first 2 shown]
	s_cbranch_execz .LBB4_1526
; %bb.1521:
	v_mov_b32_e32 v0, 0
	s_mov_b32 s6, exec_lo
	global_load_dwordx2 v[3:4], v0, s[26:27] offset:24 glc dlc
	s_waitcnt vmcnt(0)
	buffer_gl1_inv
	buffer_gl0_inv
	s_clause 0x1
	global_load_dwordx2 v[1:2], v0, s[26:27] offset:40
	global_load_dwordx2 v[5:6], v0, s[26:27]
	s_waitcnt vmcnt(1)
	v_and_b32_e32 v2, v2, v4
	v_and_b32_e32 v1, v1, v3
	v_mul_lo_u32 v2, v2, 24
	v_mul_hi_u32 v7, v1, 24
	v_mul_lo_u32 v1, v1, 24
	v_add_nc_u32_e32 v2, v7, v2
	s_waitcnt vmcnt(0)
	v_add_co_u32 v1, vcc_lo, v5, v1
	v_add_co_ci_u32_e32 v2, vcc_lo, v6, v2, vcc_lo
	global_load_dwordx2 v[1:2], v[1:2], off glc dlc
	s_waitcnt vmcnt(0)
	global_atomic_cmpswap_x2 v[6:7], v0, v[1:4], s[26:27] offset:24 glc
	s_waitcnt vmcnt(0)
	buffer_gl1_inv
	buffer_gl0_inv
	v_cmpx_ne_u64_e64 v[6:7], v[3:4]
	s_cbranch_execz .LBB4_1525
; %bb.1522:
	s_mov_b32 s7, 0
	.p2align	6
.LBB4_1523:                             ; =>This Inner Loop Header: Depth=1
	s_sleep 1
	s_clause 0x1
	global_load_dwordx2 v[1:2], v0, s[26:27] offset:40
	global_load_dwordx2 v[8:9], v0, s[26:27]
	v_mov_b32_e32 v3, v6
	v_mov_b32_e32 v4, v7
	s_waitcnt vmcnt(1)
	v_and_b32_e32 v1, v1, v3
	v_and_b32_e32 v2, v2, v4
	s_waitcnt vmcnt(0)
	v_mad_u64_u32 v[5:6], null, v1, 24, v[8:9]
	v_mov_b32_e32 v1, v6
	v_mad_u64_u32 v[1:2], null, v2, 24, v[1:2]
	v_mov_b32_e32 v6, v1
	global_load_dwordx2 v[1:2], v[5:6], off glc dlc
	s_waitcnt vmcnt(0)
	global_atomic_cmpswap_x2 v[6:7], v0, v[1:4], s[26:27] offset:24 glc
	s_waitcnt vmcnt(0)
	buffer_gl1_inv
	buffer_gl0_inv
	v_cmp_eq_u64_e32 vcc_lo, v[6:7], v[3:4]
	s_or_b32 s7, vcc_lo, s7
	s_andn2_b32 exec_lo, exec_lo, s7
	s_cbranch_execnz .LBB4_1523
; %bb.1524:
	s_or_b32 exec_lo, exec_lo, s7
.LBB4_1525:
	s_or_b32 exec_lo, exec_lo, s6
.LBB4_1526:
	s_or_b32 exec_lo, exec_lo, s5
	v_mov_b32_e32 v5, 0
	v_readfirstlane_b32 s6, v6
	v_readfirstlane_b32 s7, v7
	s_mov_b32 s5, exec_lo
	s_clause 0x1
	global_load_dwordx2 v[8:9], v5, s[26:27] offset:40
	global_load_dwordx4 v[0:3], v5, s[26:27]
	s_waitcnt vmcnt(1)
	v_readfirstlane_b32 s8, v8
	v_readfirstlane_b32 s9, v9
	s_and_b64 s[8:9], s[6:7], s[8:9]
	s_mul_i32 s10, s9, 24
	s_mul_hi_u32 s11, s8, 24
	s_mul_i32 s15, s8, 24
	s_add_i32 s11, s11, s10
	s_waitcnt vmcnt(0)
	v_add_co_u32 v8, vcc_lo, v0, s15
	v_add_co_ci_u32_e32 v9, vcc_lo, s11, v1, vcc_lo
	s_and_saveexec_b32 s10, s4
	s_cbranch_execz .LBB4_1528
; %bb.1527:
	v_mov_b32_e32 v4, s5
	v_mov_b32_e32 v6, 2
	;; [unrolled: 1-line block ×3, first 2 shown]
	global_store_dwordx4 v[8:9], v[4:7], off offset:8
.LBB4_1528:
	s_or_b32 exec_lo, exec_lo, s10
	s_lshl_b64 s[8:9], s[8:9], 12
	v_mov_b32_e32 v4, 33
	v_add_co_u32 v2, vcc_lo, v2, s8
	v_add_co_ci_u32_e32 v3, vcc_lo, s9, v3, vcc_lo
	s_mov_b32 s8, 0
	v_add_co_u32 v10, vcc_lo, v2, v48
	s_mov_b32 s11, s8
	s_mov_b32 s9, s8
	;; [unrolled: 1-line block ×3, first 2 shown]
	v_mov_b32_e32 v6, v5
	v_mov_b32_e32 v7, v5
	v_readfirstlane_b32 s16, v2
	v_readfirstlane_b32 s17, v3
	v_mov_b32_e32 v15, s11
	v_add_co_ci_u32_e32 v11, vcc_lo, 0, v3, vcc_lo
	v_mov_b32_e32 v14, s10
	v_mov_b32_e32 v13, s9
	;; [unrolled: 1-line block ×3, first 2 shown]
	global_store_dwordx4 v48, v[4:7], s[16:17]
	global_store_dwordx4 v48, v[12:15], s[16:17] offset:16
	global_store_dwordx4 v48, v[12:15], s[16:17] offset:32
	;; [unrolled: 1-line block ×3, first 2 shown]
	s_and_saveexec_b32 s5, s4
	s_mov_b64 s[8:9], s[22:23]
	s_cbranch_execz .LBB4_1536
; %bb.1529:
	v_mov_b32_e32 v6, 0
	v_mov_b32_e32 v12, s6
	v_mov_b32_e32 v13, s7
	s_clause 0x1
	global_load_dwordx2 v[14:15], v6, s[26:27] offset:32 glc dlc
	global_load_dwordx2 v[2:3], v6, s[26:27] offset:40
	s_waitcnt vmcnt(0)
	v_readfirstlane_b32 s10, v2
	v_readfirstlane_b32 s11, v3
	s_and_b64 s[10:11], s[10:11], s[6:7]
	s_mul_i32 s11, s11, 24
	s_mul_hi_u32 s15, s10, 24
	s_mul_i32 s10, s10, 24
	s_add_i32 s15, s15, s11
	v_add_co_u32 v4, vcc_lo, v0, s10
	v_add_co_ci_u32_e32 v5, vcc_lo, s15, v1, vcc_lo
	s_mov_b32 s10, exec_lo
	global_store_dwordx2 v[4:5], v[14:15], off
	s_waitcnt_vscnt null, 0x0
	global_atomic_cmpswap_x2 v[2:3], v6, v[12:15], s[26:27] offset:32 glc
	s_waitcnt vmcnt(0)
	v_cmpx_ne_u64_e64 v[2:3], v[14:15]
	s_cbranch_execz .LBB4_1532
; %bb.1530:
	s_mov_b32 s11, 0
.LBB4_1531:                             ; =>This Inner Loop Header: Depth=1
	v_mov_b32_e32 v0, s6
	v_mov_b32_e32 v1, s7
	s_sleep 1
	global_store_dwordx2 v[4:5], v[2:3], off
	s_waitcnt_vscnt null, 0x0
	global_atomic_cmpswap_x2 v[0:1], v6, v[0:3], s[26:27] offset:32 glc
	s_waitcnt vmcnt(0)
	v_cmp_eq_u64_e32 vcc_lo, v[0:1], v[2:3]
	v_mov_b32_e32 v3, v1
	v_mov_b32_e32 v2, v0
	s_or_b32 s11, vcc_lo, s11
	s_andn2_b32 exec_lo, exec_lo, s11
	s_cbranch_execnz .LBB4_1531
.LBB4_1532:
	s_or_b32 exec_lo, exec_lo, s10
	v_mov_b32_e32 v3, 0
	s_mov_b32 s11, exec_lo
	s_mov_b32 s10, exec_lo
	v_mbcnt_lo_u32_b32 v2, s11, 0
	global_load_dwordx2 v[0:1], v3, s[26:27] offset:16
	v_cmpx_eq_u32_e32 0, v2
	s_cbranch_execz .LBB4_1534
; %bb.1533:
	s_bcnt1_i32_b32 s11, s11
	v_mov_b32_e32 v2, s11
	s_waitcnt vmcnt(0)
	global_atomic_add_x2 v[0:1], v[2:3], off offset:8
.LBB4_1534:
	s_or_b32 exec_lo, exec_lo, s10
	s_waitcnt vmcnt(0)
	global_load_dwordx2 v[2:3], v[0:1], off offset:16
	s_waitcnt vmcnt(0)
	v_cmp_eq_u64_e32 vcc_lo, 0, v[2:3]
	s_cbranch_vccnz .LBB4_1536
; %bb.1535:
	global_load_dword v0, v[0:1], off offset:24
	v_mov_b32_e32 v1, 0
	s_waitcnt vmcnt(0)
	v_and_b32_e32 v4, 0x7fffff, v0
	s_waitcnt_vscnt null, 0x0
	global_store_dwordx2 v[2:3], v[0:1], off
	v_readfirstlane_b32 m0, v4
	s_sendmsg sendmsg(MSG_INTERRUPT)
.LBB4_1536:
	s_or_b32 exec_lo, exec_lo, s5
	s_branch .LBB4_1540
	.p2align	6
.LBB4_1537:                             ;   in Loop: Header=BB4_1540 Depth=1
	s_or_b32 exec_lo, exec_lo, s5
	v_readfirstlane_b32 s5, v0
	s_cmp_eq_u32 s5, 0
	s_cbranch_scc1 .LBB4_1539
; %bb.1538:                             ;   in Loop: Header=BB4_1540 Depth=1
	s_sleep 1
	s_cbranch_execnz .LBB4_1540
	s_branch .LBB4_1542
	.p2align	6
.LBB4_1539:
	s_branch .LBB4_1542
.LBB4_1540:                             ; =>This Inner Loop Header: Depth=1
	v_mov_b32_e32 v0, 1
	s_and_saveexec_b32 s5, s4
	s_cbranch_execz .LBB4_1537
; %bb.1541:                             ;   in Loop: Header=BB4_1540 Depth=1
	global_load_dword v0, v[8:9], off offset:20 glc dlc
	s_waitcnt vmcnt(0)
	buffer_gl1_inv
	buffer_gl0_inv
	v_and_b32_e32 v0, 1, v0
	s_branch .LBB4_1537
.LBB4_1542:
	global_load_dwordx2 v[0:1], v[10:11], off
	s_and_saveexec_b32 s5, s4
	s_cbranch_execz .LBB4_1546
; %bb.1543:
	v_mov_b32_e32 v8, 0
	s_clause 0x2
	global_load_dwordx2 v[4:5], v8, s[26:27] offset:40
	global_load_dwordx2 v[9:10], v8, s[26:27] offset:24 glc dlc
	global_load_dwordx2 v[6:7], v8, s[26:27]
	s_waitcnt vmcnt(2)
	v_add_co_u32 v11, vcc_lo, v4, 1
	v_add_co_ci_u32_e32 v12, vcc_lo, 0, v5, vcc_lo
	v_add_co_u32 v2, vcc_lo, v11, s6
	v_add_co_ci_u32_e32 v3, vcc_lo, s7, v12, vcc_lo
	v_cmp_eq_u64_e32 vcc_lo, 0, v[2:3]
	v_cndmask_b32_e32 v3, v3, v12, vcc_lo
	v_cndmask_b32_e32 v2, v2, v11, vcc_lo
	v_and_b32_e32 v5, v3, v5
	v_and_b32_e32 v4, v2, v4
	v_mul_lo_u32 v5, v5, 24
	v_mul_hi_u32 v11, v4, 24
	v_mul_lo_u32 v4, v4, 24
	v_add_nc_u32_e32 v5, v11, v5
	s_waitcnt vmcnt(0)
	v_add_co_u32 v6, vcc_lo, v6, v4
	v_mov_b32_e32 v4, v9
	v_add_co_ci_u32_e32 v7, vcc_lo, v7, v5, vcc_lo
	v_mov_b32_e32 v5, v10
	global_store_dwordx2 v[6:7], v[9:10], off
	s_waitcnt_vscnt null, 0x0
	global_atomic_cmpswap_x2 v[4:5], v8, v[2:5], s[26:27] offset:24 glc
	s_waitcnt vmcnt(0)
	v_cmp_ne_u64_e32 vcc_lo, v[4:5], v[9:10]
	s_and_b32 exec_lo, exec_lo, vcc_lo
	s_cbranch_execz .LBB4_1546
; %bb.1544:
	s_mov_b32 s4, 0
.LBB4_1545:                             ; =>This Inner Loop Header: Depth=1
	s_sleep 1
	global_store_dwordx2 v[6:7], v[4:5], off
	s_waitcnt_vscnt null, 0x0
	global_atomic_cmpswap_x2 v[9:10], v8, v[2:5], s[26:27] offset:24 glc
	s_waitcnt vmcnt(0)
	v_cmp_eq_u64_e32 vcc_lo, v[9:10], v[4:5]
	v_mov_b32_e32 v4, v9
	v_mov_b32_e32 v5, v10
	s_or_b32 s4, vcc_lo, s4
	s_andn2_b32 exec_lo, exec_lo, s4
	s_cbranch_execnz .LBB4_1545
.LBB4_1546:
	s_or_b32 exec_lo, exec_lo, s5
	s_and_b32 vcc_lo, exec_lo, s34
	s_cbranch_vccz .LBB4_1625
; %bb.1547:
	s_waitcnt vmcnt(0)
	v_and_b32_e32 v31, 2, v0
	v_mov_b32_e32 v6, 0
	v_and_b32_e32 v2, -3, v0
	v_mov_b32_e32 v3, v1
	v_mov_b32_e32 v7, 2
	;; [unrolled: 1-line block ×3, first 2 shown]
	s_mov_b64 s[10:11], 3
	s_getpc_b64 s[6:7]
	s_add_u32 s6, s6, .str.6@rel32@lo+4
	s_addc_u32 s7, s7, .str.6@rel32@hi+12
	s_branch .LBB4_1549
.LBB4_1548:                             ;   in Loop: Header=BB4_1549 Depth=1
	s_or_b32 exec_lo, exec_lo, s5
	s_sub_u32 s10, s10, s16
	s_subb_u32 s11, s11, s17
	s_add_u32 s6, s6, s16
	s_addc_u32 s7, s7, s17
	s_cmp_lg_u64 s[10:11], 0
	s_cbranch_scc0 .LBB4_1624
.LBB4_1549:                             ; =>This Loop Header: Depth=1
                                        ;     Child Loop BB4_1558 Depth 2
                                        ;     Child Loop BB4_1554 Depth 2
	;; [unrolled: 1-line block ×11, first 2 shown]
	v_cmp_lt_u64_e64 s4, s[10:11], 56
	v_cmp_gt_u64_e64 s5, s[10:11], 7
                                        ; implicit-def: $vgpr11_vgpr12
                                        ; implicit-def: $sgpr15
	s_and_b32 s4, s4, exec_lo
	s_cselect_b32 s17, s11, 0
	s_cselect_b32 s16, s10, 56
	s_and_b32 vcc_lo, exec_lo, s5
	s_mov_b32 s4, -1
	s_cbranch_vccz .LBB4_1556
; %bb.1550:                             ;   in Loop: Header=BB4_1549 Depth=1
	s_andn2_b32 vcc_lo, exec_lo, s4
	s_mov_b64 s[4:5], s[6:7]
	s_cbranch_vccz .LBB4_1560
.LBB4_1551:                             ;   in Loop: Header=BB4_1549 Depth=1
	s_cmp_gt_u32 s15, 7
	s_cbranch_scc1 .LBB4_1561
.LBB4_1552:                             ;   in Loop: Header=BB4_1549 Depth=1
	v_mov_b32_e32 v13, 0
	v_mov_b32_e32 v14, 0
	s_cmp_eq_u32 s15, 0
	s_cbranch_scc1 .LBB4_1555
; %bb.1553:                             ;   in Loop: Header=BB4_1549 Depth=1
	s_mov_b64 s[18:19], 0
	s_mov_b64 s[20:21], 0
.LBB4_1554:                             ;   Parent Loop BB4_1549 Depth=1
                                        ; =>  This Inner Loop Header: Depth=2
	s_add_u32 s22, s4, s20
	s_addc_u32 s23, s5, s21
	s_add_u32 s20, s20, 1
	global_load_ubyte v4, v6, s[22:23]
	s_addc_u32 s21, s21, 0
	s_waitcnt vmcnt(0)
	v_and_b32_e32 v5, 0xffff, v4
	v_lshlrev_b64 v[4:5], s18, v[5:6]
	s_add_u32 s18, s18, 8
	s_addc_u32 s19, s19, 0
	s_cmp_lg_u32 s15, s20
	v_or_b32_e32 v13, v4, v13
	v_or_b32_e32 v14, v5, v14
	s_cbranch_scc1 .LBB4_1554
.LBB4_1555:                             ;   in Loop: Header=BB4_1549 Depth=1
	s_mov_b32 s22, 0
	s_cbranch_execz .LBB4_1562
	s_branch .LBB4_1563
.LBB4_1556:                             ;   in Loop: Header=BB4_1549 Depth=1
	v_mov_b32_e32 v11, 0
	v_mov_b32_e32 v12, 0
	s_cmp_eq_u64 s[10:11], 0
	s_mov_b64 s[4:5], 0
	s_cbranch_scc1 .LBB4_1559
; %bb.1557:                             ;   in Loop: Header=BB4_1549 Depth=1
	v_mov_b32_e32 v11, 0
	v_mov_b32_e32 v12, 0
	s_lshl_b64 s[18:19], s[16:17], 3
	s_mov_b64 s[20:21], s[6:7]
.LBB4_1558:                             ;   Parent Loop BB4_1549 Depth=1
                                        ; =>  This Inner Loop Header: Depth=2
	global_load_ubyte v4, v6, s[20:21]
	s_waitcnt vmcnt(0)
	v_and_b32_e32 v5, 0xffff, v4
	v_lshlrev_b64 v[4:5], s4, v[5:6]
	s_add_u32 s4, s4, 8
	s_addc_u32 s5, s5, 0
	s_add_u32 s20, s20, 1
	s_addc_u32 s21, s21, 0
	s_cmp_lg_u32 s18, s4
	v_or_b32_e32 v11, v4, v11
	v_or_b32_e32 v12, v5, v12
	s_cbranch_scc1 .LBB4_1558
.LBB4_1559:                             ;   in Loop: Header=BB4_1549 Depth=1
	s_mov_b32 s15, 0
	s_mov_b64 s[4:5], s[6:7]
	s_cbranch_execnz .LBB4_1551
.LBB4_1560:                             ;   in Loop: Header=BB4_1549 Depth=1
	global_load_dwordx2 v[11:12], v6, s[6:7]
	s_add_i32 s15, s16, -8
	s_add_u32 s4, s6, 8
	s_addc_u32 s5, s7, 0
	s_cmp_gt_u32 s15, 7
	s_cbranch_scc0 .LBB4_1552
.LBB4_1561:                             ;   in Loop: Header=BB4_1549 Depth=1
                                        ; implicit-def: $vgpr13_vgpr14
                                        ; implicit-def: $sgpr22
.LBB4_1562:                             ;   in Loop: Header=BB4_1549 Depth=1
	global_load_dwordx2 v[13:14], v6, s[4:5]
	s_add_i32 s22, s15, -8
	s_add_u32 s4, s4, 8
	s_addc_u32 s5, s5, 0
.LBB4_1563:                             ;   in Loop: Header=BB4_1549 Depth=1
	s_cmp_gt_u32 s22, 7
	s_cbranch_scc1 .LBB4_1568
; %bb.1564:                             ;   in Loop: Header=BB4_1549 Depth=1
	v_mov_b32_e32 v15, 0
	v_mov_b32_e32 v16, 0
	s_cmp_eq_u32 s22, 0
	s_cbranch_scc1 .LBB4_1567
; %bb.1565:                             ;   in Loop: Header=BB4_1549 Depth=1
	s_mov_b64 s[18:19], 0
	s_mov_b64 s[20:21], 0
.LBB4_1566:                             ;   Parent Loop BB4_1549 Depth=1
                                        ; =>  This Inner Loop Header: Depth=2
	s_add_u32 s24, s4, s20
	s_addc_u32 s25, s5, s21
	s_add_u32 s20, s20, 1
	global_load_ubyte v4, v6, s[24:25]
	s_addc_u32 s21, s21, 0
	s_waitcnt vmcnt(0)
	v_and_b32_e32 v5, 0xffff, v4
	v_lshlrev_b64 v[4:5], s18, v[5:6]
	s_add_u32 s18, s18, 8
	s_addc_u32 s19, s19, 0
	s_cmp_lg_u32 s22, s20
	v_or_b32_e32 v15, v4, v15
	v_or_b32_e32 v16, v5, v16
	s_cbranch_scc1 .LBB4_1566
.LBB4_1567:                             ;   in Loop: Header=BB4_1549 Depth=1
	s_mov_b32 s15, 0
	s_cbranch_execz .LBB4_1569
	s_branch .LBB4_1570
.LBB4_1568:                             ;   in Loop: Header=BB4_1549 Depth=1
                                        ; implicit-def: $sgpr15
.LBB4_1569:                             ;   in Loop: Header=BB4_1549 Depth=1
	global_load_dwordx2 v[15:16], v6, s[4:5]
	s_add_i32 s15, s22, -8
	s_add_u32 s4, s4, 8
	s_addc_u32 s5, s5, 0
.LBB4_1570:                             ;   in Loop: Header=BB4_1549 Depth=1
	s_cmp_gt_u32 s15, 7
	s_cbranch_scc1 .LBB4_1575
; %bb.1571:                             ;   in Loop: Header=BB4_1549 Depth=1
	v_mov_b32_e32 v17, 0
	v_mov_b32_e32 v18, 0
	s_cmp_eq_u32 s15, 0
	s_cbranch_scc1 .LBB4_1574
; %bb.1572:                             ;   in Loop: Header=BB4_1549 Depth=1
	s_mov_b64 s[18:19], 0
	s_mov_b64 s[20:21], 0
.LBB4_1573:                             ;   Parent Loop BB4_1549 Depth=1
                                        ; =>  This Inner Loop Header: Depth=2
	s_add_u32 s22, s4, s20
	s_addc_u32 s23, s5, s21
	s_add_u32 s20, s20, 1
	global_load_ubyte v4, v6, s[22:23]
	s_addc_u32 s21, s21, 0
	s_waitcnt vmcnt(0)
	v_and_b32_e32 v5, 0xffff, v4
	v_lshlrev_b64 v[4:5], s18, v[5:6]
	s_add_u32 s18, s18, 8
	s_addc_u32 s19, s19, 0
	s_cmp_lg_u32 s15, s20
	v_or_b32_e32 v17, v4, v17
	v_or_b32_e32 v18, v5, v18
	s_cbranch_scc1 .LBB4_1573
.LBB4_1574:                             ;   in Loop: Header=BB4_1549 Depth=1
	s_mov_b32 s22, 0
	s_cbranch_execz .LBB4_1576
	s_branch .LBB4_1577
.LBB4_1575:                             ;   in Loop: Header=BB4_1549 Depth=1
                                        ; implicit-def: $vgpr17_vgpr18
                                        ; implicit-def: $sgpr22
.LBB4_1576:                             ;   in Loop: Header=BB4_1549 Depth=1
	global_load_dwordx2 v[17:18], v6, s[4:5]
	s_add_i32 s22, s15, -8
	s_add_u32 s4, s4, 8
	s_addc_u32 s5, s5, 0
.LBB4_1577:                             ;   in Loop: Header=BB4_1549 Depth=1
	s_cmp_gt_u32 s22, 7
	s_cbranch_scc1 .LBB4_1582
; %bb.1578:                             ;   in Loop: Header=BB4_1549 Depth=1
	v_mov_b32_e32 v19, 0
	v_mov_b32_e32 v20, 0
	s_cmp_eq_u32 s22, 0
	s_cbranch_scc1 .LBB4_1581
; %bb.1579:                             ;   in Loop: Header=BB4_1549 Depth=1
	s_mov_b64 s[18:19], 0
	s_mov_b64 s[20:21], 0
.LBB4_1580:                             ;   Parent Loop BB4_1549 Depth=1
                                        ; =>  This Inner Loop Header: Depth=2
	s_add_u32 s24, s4, s20
	s_addc_u32 s25, s5, s21
	s_add_u32 s20, s20, 1
	global_load_ubyte v4, v6, s[24:25]
	s_addc_u32 s21, s21, 0
	s_waitcnt vmcnt(0)
	v_and_b32_e32 v5, 0xffff, v4
	v_lshlrev_b64 v[4:5], s18, v[5:6]
	s_add_u32 s18, s18, 8
	s_addc_u32 s19, s19, 0
	s_cmp_lg_u32 s22, s20
	v_or_b32_e32 v19, v4, v19
	v_or_b32_e32 v20, v5, v20
	s_cbranch_scc1 .LBB4_1580
.LBB4_1581:                             ;   in Loop: Header=BB4_1549 Depth=1
	s_mov_b32 s15, 0
	s_cbranch_execz .LBB4_1583
	s_branch .LBB4_1584
.LBB4_1582:                             ;   in Loop: Header=BB4_1549 Depth=1
                                        ; implicit-def: $sgpr15
.LBB4_1583:                             ;   in Loop: Header=BB4_1549 Depth=1
	global_load_dwordx2 v[19:20], v6, s[4:5]
	s_add_i32 s15, s22, -8
	s_add_u32 s4, s4, 8
	s_addc_u32 s5, s5, 0
.LBB4_1584:                             ;   in Loop: Header=BB4_1549 Depth=1
	s_cmp_gt_u32 s15, 7
	s_cbranch_scc1 .LBB4_1589
; %bb.1585:                             ;   in Loop: Header=BB4_1549 Depth=1
	v_mov_b32_e32 v21, 0
	v_mov_b32_e32 v22, 0
	s_cmp_eq_u32 s15, 0
	s_cbranch_scc1 .LBB4_1588
; %bb.1586:                             ;   in Loop: Header=BB4_1549 Depth=1
	s_mov_b64 s[18:19], 0
	s_mov_b64 s[20:21], 0
.LBB4_1587:                             ;   Parent Loop BB4_1549 Depth=1
                                        ; =>  This Inner Loop Header: Depth=2
	s_add_u32 s22, s4, s20
	s_addc_u32 s23, s5, s21
	s_add_u32 s20, s20, 1
	global_load_ubyte v4, v6, s[22:23]
	s_addc_u32 s21, s21, 0
	s_waitcnt vmcnt(0)
	v_and_b32_e32 v5, 0xffff, v4
	v_lshlrev_b64 v[4:5], s18, v[5:6]
	s_add_u32 s18, s18, 8
	s_addc_u32 s19, s19, 0
	s_cmp_lg_u32 s15, s20
	v_or_b32_e32 v21, v4, v21
	v_or_b32_e32 v22, v5, v22
	s_cbranch_scc1 .LBB4_1587
.LBB4_1588:                             ;   in Loop: Header=BB4_1549 Depth=1
	s_mov_b32 s22, 0
	s_cbranch_execz .LBB4_1590
	s_branch .LBB4_1591
.LBB4_1589:                             ;   in Loop: Header=BB4_1549 Depth=1
                                        ; implicit-def: $vgpr21_vgpr22
                                        ; implicit-def: $sgpr22
.LBB4_1590:                             ;   in Loop: Header=BB4_1549 Depth=1
	global_load_dwordx2 v[21:22], v6, s[4:5]
	s_add_i32 s22, s15, -8
	s_add_u32 s4, s4, 8
	s_addc_u32 s5, s5, 0
.LBB4_1591:                             ;   in Loop: Header=BB4_1549 Depth=1
	s_cmp_gt_u32 s22, 7
	s_cbranch_scc1 .LBB4_1596
; %bb.1592:                             ;   in Loop: Header=BB4_1549 Depth=1
	v_mov_b32_e32 v23, 0
	v_mov_b32_e32 v24, 0
	s_cmp_eq_u32 s22, 0
	s_cbranch_scc1 .LBB4_1595
; %bb.1593:                             ;   in Loop: Header=BB4_1549 Depth=1
	s_mov_b64 s[18:19], 0
	s_mov_b64 s[20:21], s[4:5]
.LBB4_1594:                             ;   Parent Loop BB4_1549 Depth=1
                                        ; =>  This Inner Loop Header: Depth=2
	global_load_ubyte v4, v6, s[20:21]
	s_add_i32 s22, s22, -1
	s_waitcnt vmcnt(0)
	v_and_b32_e32 v5, 0xffff, v4
	v_lshlrev_b64 v[4:5], s18, v[5:6]
	s_add_u32 s18, s18, 8
	s_addc_u32 s19, s19, 0
	s_add_u32 s20, s20, 1
	s_addc_u32 s21, s21, 0
	s_cmp_lg_u32 s22, 0
	v_or_b32_e32 v23, v4, v23
	v_or_b32_e32 v24, v5, v24
	s_cbranch_scc1 .LBB4_1594
.LBB4_1595:                             ;   in Loop: Header=BB4_1549 Depth=1
	s_cbranch_execz .LBB4_1597
	s_branch .LBB4_1598
.LBB4_1596:                             ;   in Loop: Header=BB4_1549 Depth=1
.LBB4_1597:                             ;   in Loop: Header=BB4_1549 Depth=1
	global_load_dwordx2 v[23:24], v6, s[4:5]
.LBB4_1598:                             ;   in Loop: Header=BB4_1549 Depth=1
	v_readfirstlane_b32 s4, v49
	s_waitcnt vmcnt(0)
	v_mov_b32_e32 v4, 0
	v_mov_b32_e32 v5, 0
	v_cmp_eq_u32_e64 s4, s4, v49
	s_and_saveexec_b32 s5, s4
	s_cbranch_execz .LBB4_1604
; %bb.1599:                             ;   in Loop: Header=BB4_1549 Depth=1
	global_load_dwordx2 v[27:28], v6, s[26:27] offset:24 glc dlc
	s_waitcnt vmcnt(0)
	buffer_gl1_inv
	buffer_gl0_inv
	s_clause 0x1
	global_load_dwordx2 v[4:5], v6, s[26:27] offset:40
	global_load_dwordx2 v[9:10], v6, s[26:27]
	s_mov_b32 s15, exec_lo
	s_waitcnt vmcnt(1)
	v_and_b32_e32 v5, v5, v28
	v_and_b32_e32 v4, v4, v27
	v_mul_lo_u32 v5, v5, 24
	v_mul_hi_u32 v25, v4, 24
	v_mul_lo_u32 v4, v4, 24
	v_add_nc_u32_e32 v5, v25, v5
	s_waitcnt vmcnt(0)
	v_add_co_u32 v4, vcc_lo, v9, v4
	v_add_co_ci_u32_e32 v5, vcc_lo, v10, v5, vcc_lo
	global_load_dwordx2 v[25:26], v[4:5], off glc dlc
	s_waitcnt vmcnt(0)
	global_atomic_cmpswap_x2 v[4:5], v6, v[25:28], s[26:27] offset:24 glc
	s_waitcnt vmcnt(0)
	buffer_gl1_inv
	buffer_gl0_inv
	v_cmpx_ne_u64_e64 v[4:5], v[27:28]
	s_cbranch_execz .LBB4_1603
; %bb.1600:                             ;   in Loop: Header=BB4_1549 Depth=1
	s_mov_b32 s18, 0
	.p2align	6
.LBB4_1601:                             ;   Parent Loop BB4_1549 Depth=1
                                        ; =>  This Inner Loop Header: Depth=2
	s_sleep 1
	s_clause 0x1
	global_load_dwordx2 v[9:10], v6, s[26:27] offset:40
	global_load_dwordx2 v[25:26], v6, s[26:27]
	v_mov_b32_e32 v28, v5
	v_mov_b32_e32 v27, v4
	s_waitcnt vmcnt(1)
	v_and_b32_e32 v4, v9, v27
	v_and_b32_e32 v9, v10, v28
	s_waitcnt vmcnt(0)
	v_mad_u64_u32 v[4:5], null, v4, 24, v[25:26]
	v_mad_u64_u32 v[9:10], null, v9, 24, v[5:6]
	v_mov_b32_e32 v5, v9
	global_load_dwordx2 v[25:26], v[4:5], off glc dlc
	s_waitcnt vmcnt(0)
	global_atomic_cmpswap_x2 v[4:5], v6, v[25:28], s[26:27] offset:24 glc
	s_waitcnt vmcnt(0)
	buffer_gl1_inv
	buffer_gl0_inv
	v_cmp_eq_u64_e32 vcc_lo, v[4:5], v[27:28]
	s_or_b32 s18, vcc_lo, s18
	s_andn2_b32 exec_lo, exec_lo, s18
	s_cbranch_execnz .LBB4_1601
; %bb.1602:                             ;   in Loop: Header=BB4_1549 Depth=1
	s_or_b32 exec_lo, exec_lo, s18
.LBB4_1603:                             ;   in Loop: Header=BB4_1549 Depth=1
	s_or_b32 exec_lo, exec_lo, s15
.LBB4_1604:                             ;   in Loop: Header=BB4_1549 Depth=1
	s_or_b32 exec_lo, exec_lo, s5
	s_clause 0x1
	global_load_dwordx2 v[9:10], v6, s[26:27] offset:40
	global_load_dwordx4 v[25:28], v6, s[26:27]
	v_readfirstlane_b32 s18, v4
	v_readfirstlane_b32 s19, v5
	s_mov_b32 s5, exec_lo
	s_waitcnt vmcnt(1)
	v_readfirstlane_b32 s20, v9
	v_readfirstlane_b32 s21, v10
	s_and_b64 s[20:21], s[18:19], s[20:21]
	s_mul_i32 s15, s21, 24
	s_mul_hi_u32 s22, s20, 24
	s_mul_i32 s23, s20, 24
	s_add_i32 s22, s22, s15
	s_waitcnt vmcnt(0)
	v_add_co_u32 v29, vcc_lo, v25, s23
	v_add_co_ci_u32_e32 v30, vcc_lo, s22, v26, vcc_lo
	s_and_saveexec_b32 s15, s4
	s_cbranch_execz .LBB4_1606
; %bb.1605:                             ;   in Loop: Header=BB4_1549 Depth=1
	v_mov_b32_e32 v5, s5
	global_store_dwordx4 v[29:30], v[5:8], off offset:8
.LBB4_1606:                             ;   in Loop: Header=BB4_1549 Depth=1
	s_or_b32 exec_lo, exec_lo, s15
	s_lshl_b64 s[20:21], s[20:21], 12
	v_cmp_gt_u64_e64 vcc_lo, s[10:11], 56
	v_or_b32_e32 v5, v2, v31
	v_add_co_u32 v27, s5, v27, s20
	v_add_co_ci_u32_e64 v28, s5, s21, v28, s5
	s_lshl_b32 s5, s16, 2
	v_or_b32_e32 v4, 0, v3
	v_cndmask_b32_e32 v2, v5, v2, vcc_lo
	s_add_i32 s5, s5, 28
	v_readfirstlane_b32 s20, v27
	s_and_b32 s5, s5, 0x1e0
	v_cndmask_b32_e32 v10, v4, v3, vcc_lo
	v_readfirstlane_b32 s21, v28
	v_and_or_b32 v9, 0xffffff1f, v2, s5
	global_store_dwordx4 v48, v[9:12], s[20:21]
	global_store_dwordx4 v48, v[13:16], s[20:21] offset:16
	global_store_dwordx4 v48, v[17:20], s[20:21] offset:32
	;; [unrolled: 1-line block ×3, first 2 shown]
	s_and_saveexec_b32 s5, s4
	s_cbranch_execz .LBB4_1614
; %bb.1607:                             ;   in Loop: Header=BB4_1549 Depth=1
	s_clause 0x1
	global_load_dwordx2 v[13:14], v6, s[26:27] offset:32 glc dlc
	global_load_dwordx2 v[2:3], v6, s[26:27] offset:40
	v_mov_b32_e32 v11, s18
	v_mov_b32_e32 v12, s19
	s_waitcnt vmcnt(0)
	v_readfirstlane_b32 s20, v2
	v_readfirstlane_b32 s21, v3
	s_and_b64 s[20:21], s[20:21], s[18:19]
	s_mul_i32 s15, s21, 24
	s_mul_hi_u32 s21, s20, 24
	s_mul_i32 s20, s20, 24
	s_add_i32 s21, s21, s15
	v_add_co_u32 v9, vcc_lo, v25, s20
	v_add_co_ci_u32_e32 v10, vcc_lo, s21, v26, vcc_lo
	s_mov_b32 s15, exec_lo
	global_store_dwordx2 v[9:10], v[13:14], off
	s_waitcnt_vscnt null, 0x0
	global_atomic_cmpswap_x2 v[4:5], v6, v[11:14], s[26:27] offset:32 glc
	s_waitcnt vmcnt(0)
	v_cmpx_ne_u64_e64 v[4:5], v[13:14]
	s_cbranch_execz .LBB4_1610
; %bb.1608:                             ;   in Loop: Header=BB4_1549 Depth=1
	s_mov_b32 s20, 0
.LBB4_1609:                             ;   Parent Loop BB4_1549 Depth=1
                                        ; =>  This Inner Loop Header: Depth=2
	v_mov_b32_e32 v2, s18
	v_mov_b32_e32 v3, s19
	s_sleep 1
	global_store_dwordx2 v[9:10], v[4:5], off
	s_waitcnt_vscnt null, 0x0
	global_atomic_cmpswap_x2 v[2:3], v6, v[2:5], s[26:27] offset:32 glc
	s_waitcnt vmcnt(0)
	v_cmp_eq_u64_e32 vcc_lo, v[2:3], v[4:5]
	v_mov_b32_e32 v5, v3
	v_mov_b32_e32 v4, v2
	s_or_b32 s20, vcc_lo, s20
	s_andn2_b32 exec_lo, exec_lo, s20
	s_cbranch_execnz .LBB4_1609
.LBB4_1610:                             ;   in Loop: Header=BB4_1549 Depth=1
	s_or_b32 exec_lo, exec_lo, s15
	global_load_dwordx2 v[2:3], v6, s[26:27] offset:16
	s_mov_b32 s20, exec_lo
	s_mov_b32 s15, exec_lo
	v_mbcnt_lo_u32_b32 v4, s20, 0
	v_cmpx_eq_u32_e32 0, v4
	s_cbranch_execz .LBB4_1612
; %bb.1611:                             ;   in Loop: Header=BB4_1549 Depth=1
	s_bcnt1_i32_b32 s20, s20
	v_mov_b32_e32 v5, s20
	s_waitcnt vmcnt(0)
	global_atomic_add_x2 v[2:3], v[5:6], off offset:8
.LBB4_1612:                             ;   in Loop: Header=BB4_1549 Depth=1
	s_or_b32 exec_lo, exec_lo, s15
	s_waitcnt vmcnt(0)
	global_load_dwordx2 v[9:10], v[2:3], off offset:16
	s_waitcnt vmcnt(0)
	v_cmp_eq_u64_e32 vcc_lo, 0, v[9:10]
	s_cbranch_vccnz .LBB4_1614
; %bb.1613:                             ;   in Loop: Header=BB4_1549 Depth=1
	global_load_dword v5, v[2:3], off offset:24
	s_waitcnt vmcnt(0)
	v_and_b32_e32 v2, 0x7fffff, v5
	s_waitcnt_vscnt null, 0x0
	global_store_dwordx2 v[9:10], v[5:6], off
	v_readfirstlane_b32 m0, v2
	s_sendmsg sendmsg(MSG_INTERRUPT)
.LBB4_1614:                             ;   in Loop: Header=BB4_1549 Depth=1
	s_or_b32 exec_lo, exec_lo, s5
	v_add_co_u32 v2, vcc_lo, v27, v48
	v_add_co_ci_u32_e32 v3, vcc_lo, 0, v28, vcc_lo
	s_branch .LBB4_1618
	.p2align	6
.LBB4_1615:                             ;   in Loop: Header=BB4_1618 Depth=2
	s_or_b32 exec_lo, exec_lo, s5
	v_readfirstlane_b32 s5, v4
	s_cmp_eq_u32 s5, 0
	s_cbranch_scc1 .LBB4_1617
; %bb.1616:                             ;   in Loop: Header=BB4_1618 Depth=2
	s_sleep 1
	s_cbranch_execnz .LBB4_1618
	s_branch .LBB4_1620
	.p2align	6
.LBB4_1617:                             ;   in Loop: Header=BB4_1549 Depth=1
	s_branch .LBB4_1620
.LBB4_1618:                             ;   Parent Loop BB4_1549 Depth=1
                                        ; =>  This Inner Loop Header: Depth=2
	v_mov_b32_e32 v4, 1
	s_and_saveexec_b32 s5, s4
	s_cbranch_execz .LBB4_1615
; %bb.1619:                             ;   in Loop: Header=BB4_1618 Depth=2
	global_load_dword v4, v[29:30], off offset:20 glc dlc
	s_waitcnt vmcnt(0)
	buffer_gl1_inv
	buffer_gl0_inv
	v_and_b32_e32 v4, 1, v4
	s_branch .LBB4_1615
.LBB4_1620:                             ;   in Loop: Header=BB4_1549 Depth=1
	global_load_dwordx4 v[2:5], v[2:3], off
	s_and_saveexec_b32 s5, s4
	s_cbranch_execz .LBB4_1548
; %bb.1621:                             ;   in Loop: Header=BB4_1549 Depth=1
	s_clause 0x2
	global_load_dwordx2 v[4:5], v6, s[26:27] offset:40
	global_load_dwordx2 v[13:14], v6, s[26:27] offset:24 glc dlc
	global_load_dwordx2 v[11:12], v6, s[26:27]
	s_waitcnt vmcnt(2)
	v_add_co_u32 v15, vcc_lo, v4, 1
	v_add_co_ci_u32_e32 v16, vcc_lo, 0, v5, vcc_lo
	v_add_co_u32 v9, vcc_lo, v15, s18
	v_add_co_ci_u32_e32 v10, vcc_lo, s19, v16, vcc_lo
	v_cmp_eq_u64_e32 vcc_lo, 0, v[9:10]
	v_cndmask_b32_e32 v10, v10, v16, vcc_lo
	v_cndmask_b32_e32 v9, v9, v15, vcc_lo
	v_and_b32_e32 v5, v10, v5
	v_and_b32_e32 v4, v9, v4
	v_mul_lo_u32 v5, v5, 24
	v_mul_hi_u32 v15, v4, 24
	v_mul_lo_u32 v4, v4, 24
	v_add_nc_u32_e32 v5, v15, v5
	s_waitcnt vmcnt(0)
	v_add_co_u32 v4, vcc_lo, v11, v4
	v_mov_b32_e32 v11, v13
	v_add_co_ci_u32_e32 v5, vcc_lo, v12, v5, vcc_lo
	v_mov_b32_e32 v12, v14
	global_store_dwordx2 v[4:5], v[13:14], off
	s_waitcnt_vscnt null, 0x0
	global_atomic_cmpswap_x2 v[11:12], v6, v[9:12], s[26:27] offset:24 glc
	s_waitcnt vmcnt(0)
	v_cmp_ne_u64_e32 vcc_lo, v[11:12], v[13:14]
	s_and_b32 exec_lo, exec_lo, vcc_lo
	s_cbranch_execz .LBB4_1548
; %bb.1622:                             ;   in Loop: Header=BB4_1549 Depth=1
	s_mov_b32 s4, 0
.LBB4_1623:                             ;   Parent Loop BB4_1549 Depth=1
                                        ; =>  This Inner Loop Header: Depth=2
	s_sleep 1
	global_store_dwordx2 v[4:5], v[11:12], off
	s_waitcnt_vscnt null, 0x0
	global_atomic_cmpswap_x2 v[13:14], v6, v[9:12], s[26:27] offset:24 glc
	s_waitcnt vmcnt(0)
	v_cmp_eq_u64_e32 vcc_lo, v[13:14], v[11:12]
	v_mov_b32_e32 v11, v13
	v_mov_b32_e32 v12, v14
	s_or_b32 s4, vcc_lo, s4
	s_andn2_b32 exec_lo, exec_lo, s4
	s_cbranch_execnz .LBB4_1623
	s_branch .LBB4_1548
.LBB4_1624:
	s_branch .LBB4_1653
.LBB4_1625:
                                        ; implicit-def: $vgpr2_vgpr3
	s_cbranch_execz .LBB4_1653
; %bb.1626:
	v_readfirstlane_b32 s4, v49
	v_mov_b32_e32 v8, 0
	v_mov_b32_e32 v9, 0
	v_cmp_eq_u32_e64 s4, s4, v49
	s_and_saveexec_b32 s5, s4
	s_cbranch_execz .LBB4_1632
; %bb.1627:
	s_waitcnt vmcnt(0)
	v_mov_b32_e32 v2, 0
	s_mov_b32 s6, exec_lo
	global_load_dwordx2 v[5:6], v2, s[26:27] offset:24 glc dlc
	s_waitcnt vmcnt(0)
	buffer_gl1_inv
	buffer_gl0_inv
	s_clause 0x1
	global_load_dwordx2 v[3:4], v2, s[26:27] offset:40
	global_load_dwordx2 v[7:8], v2, s[26:27]
	s_waitcnt vmcnt(1)
	v_and_b32_e32 v4, v4, v6
	v_and_b32_e32 v3, v3, v5
	v_mul_lo_u32 v4, v4, 24
	v_mul_hi_u32 v9, v3, 24
	v_mul_lo_u32 v3, v3, 24
	v_add_nc_u32_e32 v4, v9, v4
	s_waitcnt vmcnt(0)
	v_add_co_u32 v3, vcc_lo, v7, v3
	v_add_co_ci_u32_e32 v4, vcc_lo, v8, v4, vcc_lo
	global_load_dwordx2 v[3:4], v[3:4], off glc dlc
	s_waitcnt vmcnt(0)
	global_atomic_cmpswap_x2 v[8:9], v2, v[3:6], s[26:27] offset:24 glc
	s_waitcnt vmcnt(0)
	buffer_gl1_inv
	buffer_gl0_inv
	v_cmpx_ne_u64_e64 v[8:9], v[5:6]
	s_cbranch_execz .LBB4_1631
; %bb.1628:
	s_mov_b32 s7, 0
	.p2align	6
.LBB4_1629:                             ; =>This Inner Loop Header: Depth=1
	s_sleep 1
	s_clause 0x1
	global_load_dwordx2 v[3:4], v2, s[26:27] offset:40
	global_load_dwordx2 v[10:11], v2, s[26:27]
	v_mov_b32_e32 v5, v8
	v_mov_b32_e32 v6, v9
	s_waitcnt vmcnt(1)
	v_and_b32_e32 v3, v3, v5
	v_and_b32_e32 v4, v4, v6
	s_waitcnt vmcnt(0)
	v_mad_u64_u32 v[7:8], null, v3, 24, v[10:11]
	v_mov_b32_e32 v3, v8
	v_mad_u64_u32 v[3:4], null, v4, 24, v[3:4]
	v_mov_b32_e32 v8, v3
	global_load_dwordx2 v[3:4], v[7:8], off glc dlc
	s_waitcnt vmcnt(0)
	global_atomic_cmpswap_x2 v[8:9], v2, v[3:6], s[26:27] offset:24 glc
	s_waitcnt vmcnt(0)
	buffer_gl1_inv
	buffer_gl0_inv
	v_cmp_eq_u64_e32 vcc_lo, v[8:9], v[5:6]
	s_or_b32 s7, vcc_lo, s7
	s_andn2_b32 exec_lo, exec_lo, s7
	s_cbranch_execnz .LBB4_1629
; %bb.1630:
	s_or_b32 exec_lo, exec_lo, s7
.LBB4_1631:
	s_or_b32 exec_lo, exec_lo, s6
.LBB4_1632:
	s_or_b32 exec_lo, exec_lo, s5
	s_waitcnt vmcnt(0)
	v_mov_b32_e32 v2, 0
	v_readfirstlane_b32 s6, v8
	v_readfirstlane_b32 s7, v9
	s_mov_b32 s5, exec_lo
	s_clause 0x1
	global_load_dwordx2 v[10:11], v2, s[26:27] offset:40
	global_load_dwordx4 v[4:7], v2, s[26:27]
	s_waitcnt vmcnt(1)
	v_readfirstlane_b32 s10, v10
	v_readfirstlane_b32 s11, v11
	s_and_b64 s[10:11], s[6:7], s[10:11]
	s_mul_i32 s15, s11, 24
	s_mul_hi_u32 s16, s10, 24
	s_mul_i32 s17, s10, 24
	s_add_i32 s16, s16, s15
	s_waitcnt vmcnt(0)
	v_add_co_u32 v8, vcc_lo, v4, s17
	v_add_co_ci_u32_e32 v9, vcc_lo, s16, v5, vcc_lo
	s_and_saveexec_b32 s15, s4
	s_cbranch_execz .LBB4_1634
; %bb.1633:
	v_mov_b32_e32 v10, s5
	v_mov_b32_e32 v11, v2
	;; [unrolled: 1-line block ×4, first 2 shown]
	global_store_dwordx4 v[8:9], v[10:13], off offset:8
.LBB4_1634:
	s_or_b32 exec_lo, exec_lo, s15
	s_lshl_b64 s[10:11], s[10:11], 12
	s_mov_b32 s16, 0
	v_add_co_u32 v6, vcc_lo, v6, s10
	v_add_co_ci_u32_e32 v7, vcc_lo, s11, v7, vcc_lo
	s_mov_b32 s17, s16
	v_readfirstlane_b32 s10, v6
	v_add_co_u32 v6, vcc_lo, v6, v48
	s_mov_b32 s18, s16
	s_mov_b32 s19, s16
	v_and_or_b32 v0, 0xffffff1f, v0, 32
	v_mov_b32_e32 v3, v2
	v_readfirstlane_b32 s11, v7
	v_mov_b32_e32 v10, s16
	v_add_co_ci_u32_e32 v7, vcc_lo, 0, v7, vcc_lo
	v_mov_b32_e32 v11, s17
	v_mov_b32_e32 v12, s18
	;; [unrolled: 1-line block ×3, first 2 shown]
	global_store_dwordx4 v48, v[0:3], s[10:11]
	global_store_dwordx4 v48, v[10:13], s[10:11] offset:16
	global_store_dwordx4 v48, v[10:13], s[10:11] offset:32
	global_store_dwordx4 v48, v[10:13], s[10:11] offset:48
	s_and_saveexec_b32 s5, s4
	s_cbranch_execz .LBB4_1642
; %bb.1635:
	v_mov_b32_e32 v10, 0
	v_mov_b32_e32 v11, s6
	;; [unrolled: 1-line block ×3, first 2 shown]
	s_clause 0x1
	global_load_dwordx2 v[13:14], v10, s[26:27] offset:32 glc dlc
	global_load_dwordx2 v[0:1], v10, s[26:27] offset:40
	s_waitcnt vmcnt(0)
	v_readfirstlane_b32 s10, v0
	v_readfirstlane_b32 s11, v1
	s_and_b64 s[10:11], s[10:11], s[6:7]
	s_mul_i32 s11, s11, 24
	s_mul_hi_u32 s15, s10, 24
	s_mul_i32 s10, s10, 24
	s_add_i32 s15, s15, s11
	v_add_co_u32 v4, vcc_lo, v4, s10
	v_add_co_ci_u32_e32 v5, vcc_lo, s15, v5, vcc_lo
	s_mov_b32 s10, exec_lo
	global_store_dwordx2 v[4:5], v[13:14], off
	s_waitcnt_vscnt null, 0x0
	global_atomic_cmpswap_x2 v[2:3], v10, v[11:14], s[26:27] offset:32 glc
	s_waitcnt vmcnt(0)
	v_cmpx_ne_u64_e64 v[2:3], v[13:14]
	s_cbranch_execz .LBB4_1638
; %bb.1636:
	s_mov_b32 s11, 0
.LBB4_1637:                             ; =>This Inner Loop Header: Depth=1
	v_mov_b32_e32 v0, s6
	v_mov_b32_e32 v1, s7
	s_sleep 1
	global_store_dwordx2 v[4:5], v[2:3], off
	s_waitcnt_vscnt null, 0x0
	global_atomic_cmpswap_x2 v[0:1], v10, v[0:3], s[26:27] offset:32 glc
	s_waitcnt vmcnt(0)
	v_cmp_eq_u64_e32 vcc_lo, v[0:1], v[2:3]
	v_mov_b32_e32 v3, v1
	v_mov_b32_e32 v2, v0
	s_or_b32 s11, vcc_lo, s11
	s_andn2_b32 exec_lo, exec_lo, s11
	s_cbranch_execnz .LBB4_1637
.LBB4_1638:
	s_or_b32 exec_lo, exec_lo, s10
	v_mov_b32_e32 v3, 0
	s_mov_b32 s11, exec_lo
	s_mov_b32 s10, exec_lo
	v_mbcnt_lo_u32_b32 v2, s11, 0
	global_load_dwordx2 v[0:1], v3, s[26:27] offset:16
	v_cmpx_eq_u32_e32 0, v2
	s_cbranch_execz .LBB4_1640
; %bb.1639:
	s_bcnt1_i32_b32 s11, s11
	v_mov_b32_e32 v2, s11
	s_waitcnt vmcnt(0)
	global_atomic_add_x2 v[0:1], v[2:3], off offset:8
.LBB4_1640:
	s_or_b32 exec_lo, exec_lo, s10
	s_waitcnt vmcnt(0)
	global_load_dwordx2 v[2:3], v[0:1], off offset:16
	s_waitcnt vmcnt(0)
	v_cmp_eq_u64_e32 vcc_lo, 0, v[2:3]
	s_cbranch_vccnz .LBB4_1642
; %bb.1641:
	global_load_dword v0, v[0:1], off offset:24
	v_mov_b32_e32 v1, 0
	s_waitcnt vmcnt(0)
	v_and_b32_e32 v4, 0x7fffff, v0
	s_waitcnt_vscnt null, 0x0
	global_store_dwordx2 v[2:3], v[0:1], off
	v_readfirstlane_b32 m0, v4
	s_sendmsg sendmsg(MSG_INTERRUPT)
.LBB4_1642:
	s_or_b32 exec_lo, exec_lo, s5
	s_branch .LBB4_1646
	.p2align	6
.LBB4_1643:                             ;   in Loop: Header=BB4_1646 Depth=1
	s_or_b32 exec_lo, exec_lo, s5
	v_readfirstlane_b32 s5, v0
	s_cmp_eq_u32 s5, 0
	s_cbranch_scc1 .LBB4_1645
; %bb.1644:                             ;   in Loop: Header=BB4_1646 Depth=1
	s_sleep 1
	s_cbranch_execnz .LBB4_1646
	s_branch .LBB4_1648
	.p2align	6
.LBB4_1645:
	s_branch .LBB4_1648
.LBB4_1646:                             ; =>This Inner Loop Header: Depth=1
	v_mov_b32_e32 v0, 1
	s_and_saveexec_b32 s5, s4
	s_cbranch_execz .LBB4_1643
; %bb.1647:                             ;   in Loop: Header=BB4_1646 Depth=1
	global_load_dword v0, v[8:9], off offset:20 glc dlc
	s_waitcnt vmcnt(0)
	buffer_gl1_inv
	buffer_gl0_inv
	v_and_b32_e32 v0, 1, v0
	s_branch .LBB4_1643
.LBB4_1648:
	global_load_dwordx2 v[2:3], v[6:7], off
	s_and_saveexec_b32 s5, s4
	s_cbranch_execz .LBB4_1652
; %bb.1649:
	v_mov_b32_e32 v8, 0
	s_clause 0x2
	global_load_dwordx2 v[0:1], v8, s[26:27] offset:40
	global_load_dwordx2 v[9:10], v8, s[26:27] offset:24 glc dlc
	global_load_dwordx2 v[6:7], v8, s[26:27]
	s_waitcnt vmcnt(2)
	v_add_co_u32 v11, vcc_lo, v0, 1
	v_add_co_ci_u32_e32 v12, vcc_lo, 0, v1, vcc_lo
	v_add_co_u32 v4, vcc_lo, v11, s6
	v_add_co_ci_u32_e32 v5, vcc_lo, s7, v12, vcc_lo
	v_cmp_eq_u64_e32 vcc_lo, 0, v[4:5]
	v_cndmask_b32_e32 v5, v5, v12, vcc_lo
	v_cndmask_b32_e32 v4, v4, v11, vcc_lo
	v_and_b32_e32 v1, v5, v1
	v_and_b32_e32 v0, v4, v0
	v_mul_lo_u32 v1, v1, 24
	v_mul_hi_u32 v11, v0, 24
	v_mul_lo_u32 v0, v0, 24
	v_add_nc_u32_e32 v1, v11, v1
	s_waitcnt vmcnt(0)
	v_add_co_u32 v0, vcc_lo, v6, v0
	v_mov_b32_e32 v6, v9
	v_add_co_ci_u32_e32 v1, vcc_lo, v7, v1, vcc_lo
	v_mov_b32_e32 v7, v10
	global_store_dwordx2 v[0:1], v[9:10], off
	s_waitcnt_vscnt null, 0x0
	global_atomic_cmpswap_x2 v[6:7], v8, v[4:7], s[26:27] offset:24 glc
	s_waitcnt vmcnt(0)
	v_cmp_ne_u64_e32 vcc_lo, v[6:7], v[9:10]
	s_and_b32 exec_lo, exec_lo, vcc_lo
	s_cbranch_execz .LBB4_1652
; %bb.1650:
	s_mov_b32 s4, 0
.LBB4_1651:                             ; =>This Inner Loop Header: Depth=1
	s_sleep 1
	global_store_dwordx2 v[0:1], v[6:7], off
	s_waitcnt_vscnt null, 0x0
	global_atomic_cmpswap_x2 v[9:10], v8, v[4:7], s[26:27] offset:24 glc
	s_waitcnt vmcnt(0)
	v_cmp_eq_u64_e32 vcc_lo, v[9:10], v[6:7]
	v_mov_b32_e32 v6, v9
	v_mov_b32_e32 v7, v10
	s_or_b32 s4, vcc_lo, s4
	s_andn2_b32 exec_lo, exec_lo, s4
	s_cbranch_execnz .LBB4_1651
.LBB4_1652:
	s_or_b32 exec_lo, exec_lo, s5
.LBB4_1653:
	v_readfirstlane_b32 s4, v49
	s_waitcnt vmcnt(0)
	v_mov_b32_e32 v0, 0
	v_mov_b32_e32 v1, 0
	v_cmp_eq_u32_e64 s4, s4, v49
	s_and_saveexec_b32 s5, s4
	s_cbranch_execz .LBB4_1659
; %bb.1654:
	v_mov_b32_e32 v4, 0
	s_mov_b32 s6, exec_lo
	global_load_dwordx2 v[7:8], v4, s[26:27] offset:24 glc dlc
	s_waitcnt vmcnt(0)
	buffer_gl1_inv
	buffer_gl0_inv
	s_clause 0x1
	global_load_dwordx2 v[0:1], v4, s[26:27] offset:40
	global_load_dwordx2 v[5:6], v4, s[26:27]
	s_waitcnt vmcnt(1)
	v_and_b32_e32 v1, v1, v8
	v_and_b32_e32 v0, v0, v7
	v_mul_lo_u32 v1, v1, 24
	v_mul_hi_u32 v9, v0, 24
	v_mul_lo_u32 v0, v0, 24
	v_add_nc_u32_e32 v1, v9, v1
	s_waitcnt vmcnt(0)
	v_add_co_u32 v0, vcc_lo, v5, v0
	v_add_co_ci_u32_e32 v1, vcc_lo, v6, v1, vcc_lo
	global_load_dwordx2 v[5:6], v[0:1], off glc dlc
	s_waitcnt vmcnt(0)
	global_atomic_cmpswap_x2 v[0:1], v4, v[5:8], s[26:27] offset:24 glc
	s_waitcnt vmcnt(0)
	buffer_gl1_inv
	buffer_gl0_inv
	v_cmpx_ne_u64_e64 v[0:1], v[7:8]
	s_cbranch_execz .LBB4_1658
; %bb.1655:
	s_mov_b32 s7, 0
	.p2align	6
.LBB4_1656:                             ; =>This Inner Loop Header: Depth=1
	s_sleep 1
	s_clause 0x1
	global_load_dwordx2 v[5:6], v4, s[26:27] offset:40
	global_load_dwordx2 v[9:10], v4, s[26:27]
	v_mov_b32_e32 v8, v1
	v_mov_b32_e32 v7, v0
	s_waitcnt vmcnt(1)
	v_and_b32_e32 v0, v5, v7
	v_and_b32_e32 v5, v6, v8
	s_waitcnt vmcnt(0)
	v_mad_u64_u32 v[0:1], null, v0, 24, v[9:10]
	v_mad_u64_u32 v[5:6], null, v5, 24, v[1:2]
	v_mov_b32_e32 v1, v5
	global_load_dwordx2 v[5:6], v[0:1], off glc dlc
	s_waitcnt vmcnt(0)
	global_atomic_cmpswap_x2 v[0:1], v4, v[5:8], s[26:27] offset:24 glc
	s_waitcnt vmcnt(0)
	buffer_gl1_inv
	buffer_gl0_inv
	v_cmp_eq_u64_e32 vcc_lo, v[0:1], v[7:8]
	s_or_b32 s7, vcc_lo, s7
	s_andn2_b32 exec_lo, exec_lo, s7
	s_cbranch_execnz .LBB4_1656
; %bb.1657:
	s_or_b32 exec_lo, exec_lo, s7
.LBB4_1658:
	s_or_b32 exec_lo, exec_lo, s6
.LBB4_1659:
	s_or_b32 exec_lo, exec_lo, s5
	v_mov_b32_e32 v5, 0
	v_readfirstlane_b32 s6, v0
	v_readfirstlane_b32 s7, v1
	s_mov_b32 s5, exec_lo
	s_clause 0x1
	global_load_dwordx2 v[10:11], v5, s[26:27] offset:40
	global_load_dwordx4 v[6:9], v5, s[26:27]
	s_waitcnt vmcnt(1)
	v_readfirstlane_b32 s10, v10
	v_readfirstlane_b32 s11, v11
	s_and_b64 s[10:11], s[6:7], s[10:11]
	s_mul_i32 s15, s11, 24
	s_mul_hi_u32 s16, s10, 24
	s_mul_i32 s17, s10, 24
	s_add_i32 s16, s16, s15
	s_waitcnt vmcnt(0)
	v_add_co_u32 v10, vcc_lo, v6, s17
	v_add_co_ci_u32_e32 v11, vcc_lo, s16, v7, vcc_lo
	s_and_saveexec_b32 s15, s4
	s_cbranch_execz .LBB4_1661
; %bb.1660:
	v_mov_b32_e32 v4, s5
	v_mov_b32_e32 v13, v5
	;; [unrolled: 1-line block ×5, first 2 shown]
	global_store_dwordx4 v[10:11], v[12:15], off offset:8
.LBB4_1661:
	s_or_b32 exec_lo, exec_lo, s15
	s_lshl_b64 s[10:11], s[10:11], 12
	s_mov_b32 s16, 0
	v_add_co_u32 v0, vcc_lo, v8, s10
	v_add_co_ci_u32_e32 v1, vcc_lo, s11, v9, vcc_lo
	s_mov_b32 s17, s16
	s_mov_b32 s18, s16
	;; [unrolled: 1-line block ×3, first 2 shown]
	v_and_or_b32 v2, 0xffffff1d, v2, 34
	v_mov_b32_e32 v4, 10
	v_readfirstlane_b32 s10, v0
	v_readfirstlane_b32 s11, v1
	v_mov_b32_e32 v12, s16
	v_mov_b32_e32 v13, s17
	;; [unrolled: 1-line block ×4, first 2 shown]
	global_store_dwordx4 v48, v[2:5], s[10:11]
	global_store_dwordx4 v48, v[12:15], s[10:11] offset:16
	global_store_dwordx4 v48, v[12:15], s[10:11] offset:32
	;; [unrolled: 1-line block ×3, first 2 shown]
	s_and_saveexec_b32 s5, s4
	s_cbranch_execz .LBB4_1669
; %bb.1662:
	v_mov_b32_e32 v8, 0
	v_mov_b32_e32 v12, s6
	;; [unrolled: 1-line block ×3, first 2 shown]
	s_clause 0x1
	global_load_dwordx2 v[14:15], v8, s[26:27] offset:32 glc dlc
	global_load_dwordx2 v[0:1], v8, s[26:27] offset:40
	s_waitcnt vmcnt(0)
	v_readfirstlane_b32 s10, v0
	v_readfirstlane_b32 s11, v1
	s_and_b64 s[10:11], s[10:11], s[6:7]
	s_mul_i32 s11, s11, 24
	s_mul_hi_u32 s15, s10, 24
	s_mul_i32 s10, s10, 24
	s_add_i32 s15, s15, s11
	v_add_co_u32 v4, vcc_lo, v6, s10
	v_add_co_ci_u32_e32 v5, vcc_lo, s15, v7, vcc_lo
	s_mov_b32 s10, exec_lo
	global_store_dwordx2 v[4:5], v[14:15], off
	s_waitcnt_vscnt null, 0x0
	global_atomic_cmpswap_x2 v[2:3], v8, v[12:15], s[26:27] offset:32 glc
	s_waitcnt vmcnt(0)
	v_cmpx_ne_u64_e64 v[2:3], v[14:15]
	s_cbranch_execz .LBB4_1665
; %bb.1663:
	s_mov_b32 s11, 0
.LBB4_1664:                             ; =>This Inner Loop Header: Depth=1
	v_mov_b32_e32 v0, s6
	v_mov_b32_e32 v1, s7
	s_sleep 1
	global_store_dwordx2 v[4:5], v[2:3], off
	s_waitcnt_vscnt null, 0x0
	global_atomic_cmpswap_x2 v[0:1], v8, v[0:3], s[26:27] offset:32 glc
	s_waitcnt vmcnt(0)
	v_cmp_eq_u64_e32 vcc_lo, v[0:1], v[2:3]
	v_mov_b32_e32 v3, v1
	v_mov_b32_e32 v2, v0
	s_or_b32 s11, vcc_lo, s11
	s_andn2_b32 exec_lo, exec_lo, s11
	s_cbranch_execnz .LBB4_1664
.LBB4_1665:
	s_or_b32 exec_lo, exec_lo, s10
	v_mov_b32_e32 v3, 0
	s_mov_b32 s11, exec_lo
	s_mov_b32 s10, exec_lo
	v_mbcnt_lo_u32_b32 v2, s11, 0
	global_load_dwordx2 v[0:1], v3, s[26:27] offset:16
	v_cmpx_eq_u32_e32 0, v2
	s_cbranch_execz .LBB4_1667
; %bb.1666:
	s_bcnt1_i32_b32 s11, s11
	v_mov_b32_e32 v2, s11
	s_waitcnt vmcnt(0)
	global_atomic_add_x2 v[0:1], v[2:3], off offset:8
.LBB4_1667:
	s_or_b32 exec_lo, exec_lo, s10
	s_waitcnt vmcnt(0)
	global_load_dwordx2 v[2:3], v[0:1], off offset:16
	s_waitcnt vmcnt(0)
	v_cmp_eq_u64_e32 vcc_lo, 0, v[2:3]
	s_cbranch_vccnz .LBB4_1669
; %bb.1668:
	global_load_dword v0, v[0:1], off offset:24
	v_mov_b32_e32 v1, 0
	s_waitcnt vmcnt(0)
	v_and_b32_e32 v4, 0x7fffff, v0
	s_waitcnt_vscnt null, 0x0
	global_store_dwordx2 v[2:3], v[0:1], off
	v_readfirstlane_b32 m0, v4
	s_sendmsg sendmsg(MSG_INTERRUPT)
.LBB4_1669:
	s_or_b32 exec_lo, exec_lo, s5
	s_branch .LBB4_1673
	.p2align	6
.LBB4_1670:                             ;   in Loop: Header=BB4_1673 Depth=1
	s_or_b32 exec_lo, exec_lo, s5
	v_readfirstlane_b32 s5, v0
	s_cmp_eq_u32 s5, 0
	s_cbranch_scc1 .LBB4_1672
; %bb.1671:                             ;   in Loop: Header=BB4_1673 Depth=1
	s_sleep 1
	s_cbranch_execnz .LBB4_1673
	s_branch .LBB4_1675
	.p2align	6
.LBB4_1672:
	s_branch .LBB4_1675
.LBB4_1673:                             ; =>This Inner Loop Header: Depth=1
	v_mov_b32_e32 v0, 1
	s_and_saveexec_b32 s5, s4
	s_cbranch_execz .LBB4_1670
; %bb.1674:                             ;   in Loop: Header=BB4_1673 Depth=1
	global_load_dword v0, v[10:11], off offset:20 glc dlc
	s_waitcnt vmcnt(0)
	buffer_gl1_inv
	buffer_gl0_inv
	v_and_b32_e32 v0, 1, v0
	s_branch .LBB4_1670
.LBB4_1675:
	s_and_saveexec_b32 s5, s4
	s_cbranch_execz .LBB4_1679
; %bb.1676:
	v_mov_b32_e32 v6, 0
	s_clause 0x2
	global_load_dwordx2 v[2:3], v6, s[26:27] offset:40
	global_load_dwordx2 v[7:8], v6, s[26:27] offset:24 glc dlc
	global_load_dwordx2 v[4:5], v6, s[26:27]
	s_waitcnt vmcnt(2)
	v_add_co_u32 v9, vcc_lo, v2, 1
	v_add_co_ci_u32_e32 v10, vcc_lo, 0, v3, vcc_lo
	v_add_co_u32 v0, vcc_lo, v9, s6
	v_add_co_ci_u32_e32 v1, vcc_lo, s7, v10, vcc_lo
	v_cmp_eq_u64_e32 vcc_lo, 0, v[0:1]
	v_cndmask_b32_e32 v1, v1, v10, vcc_lo
	v_cndmask_b32_e32 v0, v0, v9, vcc_lo
	v_and_b32_e32 v3, v1, v3
	v_and_b32_e32 v2, v0, v2
	v_mul_lo_u32 v3, v3, 24
	v_mul_hi_u32 v9, v2, 24
	v_mul_lo_u32 v2, v2, 24
	v_add_nc_u32_e32 v3, v9, v3
	s_waitcnt vmcnt(0)
	v_add_co_u32 v4, vcc_lo, v4, v2
	v_mov_b32_e32 v2, v7
	v_add_co_ci_u32_e32 v5, vcc_lo, v5, v3, vcc_lo
	v_mov_b32_e32 v3, v8
	global_store_dwordx2 v[4:5], v[7:8], off
	s_waitcnt_vscnt null, 0x0
	global_atomic_cmpswap_x2 v[2:3], v6, v[0:3], s[26:27] offset:24 glc
	s_waitcnt vmcnt(0)
	v_cmp_ne_u64_e32 vcc_lo, v[2:3], v[7:8]
	s_and_b32 exec_lo, exec_lo, vcc_lo
	s_cbranch_execz .LBB4_1679
; %bb.1677:
	s_mov_b32 s4, 0
.LBB4_1678:                             ; =>This Inner Loop Header: Depth=1
	s_sleep 1
	global_store_dwordx2 v[4:5], v[2:3], off
	s_waitcnt_vscnt null, 0x0
	global_atomic_cmpswap_x2 v[7:8], v6, v[0:3], s[26:27] offset:24 glc
	s_waitcnt vmcnt(0)
	v_cmp_eq_u64_e32 vcc_lo, v[7:8], v[2:3]
	v_mov_b32_e32 v2, v7
	v_mov_b32_e32 v3, v8
	s_or_b32 s4, vcc_lo, s4
	s_andn2_b32 exec_lo, exec_lo, s4
	s_cbranch_execnz .LBB4_1678
.LBB4_1679:
	s_or_b32 exec_lo, exec_lo, s5
	flat_load_dwordx2 v[0:1], v[36:37]
	s_waitcnt vmcnt(0) lgkmcnt(0)
	flat_load_dword v2, v[0:1]
	s_waitcnt vmcnt(0) lgkmcnt(0)
	v_add_nc_u32_e32 v2, 1, v2
	flat_store_dword v[0:1], v2
.LBB4_1680:
	s_or_b32 exec_lo, exec_lo, s29
	s_getpc_b64 s[4:5]
	s_add_u32 s4, s4, _ZN8migraphx4test4failEv@rel32@lo+4
	s_addc_u32 s5, s5, _ZN8migraphx4test4failEv@rel32@hi+12
	s_swappc_b64 s[30:31], s[4:5]
	; divergent unreachable
.LBB4_1681:
	s_andn2_saveexec_b32 s4, s28
	s_or_b32 exec_lo, exec_lo, s4
	v_readlane_b32 s30, v40, 0
	v_readlane_b32 s31, v40, 1
	;; [unrolled: 1-line block ×3, first 2 shown]
	s_or_saveexec_b32 s5, -1
	buffer_load_dword v40, off, s[0:3], s33 offset:32 ; 4-byte Folded Reload
	s_mov_b32 exec_lo, s5
	s_addk_i32 s32, 0xfa00
	s_mov_b32 s33, s4
	s_waitcnt vmcnt(0)
	s_setpc_b64 s[30:31]
.Lfunc_end4:
	.size	_ZL31upper_bound_multiple_duplicatesRN8migraphx4test12test_managerE, .Lfunc_end4-_ZL31upper_bound_multiple_duplicatesRN8migraphx4test12test_managerE
                                        ; -- End function
	.section	.AMDGPU.csdata,"",@progbits
; Function info:
; codeLenInByte = 60780
; NumSgprs: 46
; NumVgprs: 50
; ScratchSize: 48
; MemoryBound: 0
	.text
	.p2align	2                               ; -- Begin function _ZL23upper_bound_all_smallerRN8migraphx4test12test_managerE
	.type	_ZL23upper_bound_all_smallerRN8migraphx4test12test_managerE,@function
_ZL23upper_bound_all_smallerRN8migraphx4test12test_managerE: ; @_ZL23upper_bound_all_smallerRN8migraphx4test12test_managerE
; %bb.0:
	s_waitcnt vmcnt(0) expcnt(0) lgkmcnt(0)
	s_mov_b32 s4, s33
	s_mov_b32 s33, s32
	s_or_saveexec_b32 s5, -1
	buffer_store_dword v40, off, s[0:3], s33 offset:20 ; 4-byte Folded Spill
	s_mov_b32 exec_lo, s5
	v_writelane_b32 v40, s4, 2
	v_writelane_b32 v40, s30, 0
	s_addk_i32 s32, 0x400
	v_writelane_b32 v40, s31, 1
	v_mov_b32_e32 v36, v0
	v_mov_b32_e32 v0, 1
	;; [unrolled: 1-line block ×5, first 2 shown]
	buffer_store_dword v0, off, s[0:3], s33
	buffer_store_dword v1, off, s[0:3], s33 offset:4
	v_mov_b32_e32 v0, 5
	v_mov_b32_e32 v4, 5
	v_mov_b32_e32 v1, 0
	v_lshrrev_b32_e64 v38, 5, s33
	v_mov_b32_e32 v3, 4
	s_mov_b32 s5, 0
	buffer_store_dword v2, off, s[0:3], s33 offset:8
	buffer_store_dword v3, off, s[0:3], s33 offset:12
	buffer_store_dword v4, off, s[0:3], s33 offset:16
	.p2align	6
.LBB5_1:                                ; =>This Inner Loop Header: Depth=1
	v_alignbit_b32 v2, v1, v0, 1
	v_lshl_add_u32 v4, v2, 2, v38
	v_lshrrev_b64 v[2:3], 1, v[0:1]
	buffer_load_dword v5, v4, s[0:3], 0 offen
	v_not_b32_e32 v6, v2
	v_not_b32_e32 v7, v3
	v_add_co_u32 v0, vcc_lo, v0, v6
	v_add_co_ci_u32_e32 v1, vcc_lo, v1, v7, vcc_lo
	s_waitcnt vmcnt(0)
	v_cmp_lt_i32_e32 vcc_lo, 0, v5
	v_cndmask_b32_e32 v1, v1, v3, vcc_lo
	v_cndmask_b32_e32 v0, v0, v2, vcc_lo
	v_add_nc_u32_e32 v2, 4, v4
	v_cmp_gt_i64_e64 s4, 1, v[0:1]
	v_cndmask_b32_e32 v38, v2, v38, vcc_lo
	s_or_b32 s5, s4, s5
	s_andn2_b32 exec_lo, exec_lo, s5
	s_cbranch_execnz .LBB5_1
; %bb.2:
	s_or_b32 exec_lo, exec_lo, s5
	v_lshrrev_b32_e64 v0, 5, s33
	s_mov_b32 s4, exec_lo
	v_cmpx_ne_u32_e64 v0, v38
	s_xor_b32 s28, exec_lo, s4
	s_cbranch_execz .LBB5_1681
; %bb.3:
	v_and_b32_e32 v0, 0x3ff, v31
	s_mov_b32 s29, exec_lo
	v_cmpx_eq_u32_e32 0, v0
	s_cbranch_execz .LBB5_1680
; %bb.4:
	s_load_dwordx2 s[26:27], s[8:9], 0x50
	v_mbcnt_lo_u32_b32 v48, -1, 0
	v_mov_b32_e32 v6, 0
	v_mov_b32_e32 v7, 0
	v_readfirstlane_b32 s4, v48
	v_cmp_eq_u32_e64 s4, s4, v48
	s_and_saveexec_b32 s5, s4
	s_cbranch_execz .LBB5_10
; %bb.5:
	v_mov_b32_e32 v0, 0
	s_mov_b32 s6, exec_lo
	s_waitcnt lgkmcnt(0)
	global_load_dwordx2 v[3:4], v0, s[26:27] offset:24 glc dlc
	s_waitcnt vmcnt(0)
	buffer_gl1_inv
	buffer_gl0_inv
	s_clause 0x1
	global_load_dwordx2 v[1:2], v0, s[26:27] offset:40
	global_load_dwordx2 v[5:6], v0, s[26:27]
	s_waitcnt vmcnt(1)
	v_and_b32_e32 v2, v2, v4
	v_and_b32_e32 v1, v1, v3
	v_mul_lo_u32 v2, v2, 24
	v_mul_hi_u32 v7, v1, 24
	v_mul_lo_u32 v1, v1, 24
	v_add_nc_u32_e32 v2, v7, v2
	s_waitcnt vmcnt(0)
	v_add_co_u32 v1, vcc_lo, v5, v1
	v_add_co_ci_u32_e32 v2, vcc_lo, v6, v2, vcc_lo
	global_load_dwordx2 v[1:2], v[1:2], off glc dlc
	s_waitcnt vmcnt(0)
	global_atomic_cmpswap_x2 v[6:7], v0, v[1:4], s[26:27] offset:24 glc
	s_waitcnt vmcnt(0)
	buffer_gl1_inv
	buffer_gl0_inv
	v_cmpx_ne_u64_e64 v[6:7], v[3:4]
	s_cbranch_execz .LBB5_9
; %bb.6:
	s_mov_b32 s7, 0
	.p2align	6
.LBB5_7:                                ; =>This Inner Loop Header: Depth=1
	s_sleep 1
	s_clause 0x1
	global_load_dwordx2 v[1:2], v0, s[26:27] offset:40
	global_load_dwordx2 v[8:9], v0, s[26:27]
	v_mov_b32_e32 v3, v6
	v_mov_b32_e32 v4, v7
	s_waitcnt vmcnt(1)
	v_and_b32_e32 v1, v1, v3
	v_and_b32_e32 v2, v2, v4
	s_waitcnt vmcnt(0)
	v_mad_u64_u32 v[5:6], null, v1, 24, v[8:9]
	v_mov_b32_e32 v1, v6
	v_mad_u64_u32 v[1:2], null, v2, 24, v[1:2]
	v_mov_b32_e32 v6, v1
	global_load_dwordx2 v[1:2], v[5:6], off glc dlc
	s_waitcnt vmcnt(0)
	global_atomic_cmpswap_x2 v[6:7], v0, v[1:4], s[26:27] offset:24 glc
	s_waitcnt vmcnt(0)
	buffer_gl1_inv
	buffer_gl0_inv
	v_cmp_eq_u64_e32 vcc_lo, v[6:7], v[3:4]
	s_or_b32 s7, vcc_lo, s7
	s_andn2_b32 exec_lo, exec_lo, s7
	s_cbranch_execnz .LBB5_7
; %bb.8:
	s_or_b32 exec_lo, exec_lo, s7
.LBB5_9:
	s_or_b32 exec_lo, exec_lo, s6
.LBB5_10:
	s_or_b32 exec_lo, exec_lo, s5
	v_mov_b32_e32 v5, 0
	v_readfirstlane_b32 s6, v6
	v_readfirstlane_b32 s7, v7
	s_mov_b32 s5, exec_lo
	s_waitcnt lgkmcnt(0)
	s_clause 0x1
	global_load_dwordx2 v[8:9], v5, s[26:27] offset:40
	global_load_dwordx4 v[0:3], v5, s[26:27]
	s_waitcnt vmcnt(1)
	v_readfirstlane_b32 s10, v8
	v_readfirstlane_b32 s11, v9
	s_and_b64 s[10:11], s[6:7], s[10:11]
	s_mul_i32 s15, s11, 24
	s_mul_hi_u32 s16, s10, 24
	s_mul_i32 s17, s10, 24
	s_add_i32 s16, s16, s15
	s_waitcnt vmcnt(0)
	v_add_co_u32 v8, vcc_lo, v0, s17
	v_add_co_ci_u32_e32 v9, vcc_lo, s16, v1, vcc_lo
	s_and_saveexec_b32 s15, s4
	s_cbranch_execz .LBB5_12
; %bb.11:
	v_mov_b32_e32 v4, s5
	v_mov_b32_e32 v6, 2
	;; [unrolled: 1-line block ×3, first 2 shown]
	global_store_dwordx4 v[8:9], v[4:7], off offset:8
.LBB5_12:
	s_or_b32 exec_lo, exec_lo, s15
	s_lshl_b64 s[10:11], s[10:11], 12
	v_lshlrev_b32_e32 v39, 6, v48
	v_add_co_u32 v2, vcc_lo, v2, s10
	v_add_co_ci_u32_e32 v3, vcc_lo, s11, v3, vcc_lo
	s_mov_b32 s16, 0
	v_add_co_u32 v10, vcc_lo, v2, v39
	s_mov_b32 s17, s16
	s_mov_b32 s18, s16
	;; [unrolled: 1-line block ×3, first 2 shown]
	v_mov_b32_e32 v4, 33
	v_mov_b32_e32 v6, v5
	;; [unrolled: 1-line block ×3, first 2 shown]
	v_readfirstlane_b32 s10, v2
	v_readfirstlane_b32 s11, v3
	v_mov_b32_e32 v12, s16
	v_add_co_ci_u32_e32 v11, vcc_lo, 0, v3, vcc_lo
	v_mov_b32_e32 v13, s17
	v_mov_b32_e32 v14, s18
	;; [unrolled: 1-line block ×3, first 2 shown]
	global_store_dwordx4 v39, v[4:7], s[10:11]
	global_store_dwordx4 v39, v[12:15], s[10:11] offset:16
	global_store_dwordx4 v39, v[12:15], s[10:11] offset:32
	;; [unrolled: 1-line block ×3, first 2 shown]
	s_and_saveexec_b32 s5, s4
	s_cbranch_execz .LBB5_20
; %bb.13:
	v_mov_b32_e32 v6, 0
	v_mov_b32_e32 v12, s6
	v_mov_b32_e32 v13, s7
	s_mov_b32 s10, exec_lo
	s_clause 0x1
	global_load_dwordx2 v[14:15], v6, s[26:27] offset:32 glc dlc
	global_load_dwordx2 v[2:3], v6, s[26:27] offset:40
	s_waitcnt vmcnt(0)
	v_and_b32_e32 v3, s7, v3
	v_and_b32_e32 v2, s6, v2
	v_mul_lo_u32 v3, v3, 24
	v_mul_hi_u32 v4, v2, 24
	v_mul_lo_u32 v2, v2, 24
	v_add_nc_u32_e32 v3, v4, v3
	v_add_co_u32 v4, vcc_lo, v0, v2
	v_add_co_ci_u32_e32 v5, vcc_lo, v1, v3, vcc_lo
	global_store_dwordx2 v[4:5], v[14:15], off
	s_waitcnt_vscnt null, 0x0
	global_atomic_cmpswap_x2 v[2:3], v6, v[12:15], s[26:27] offset:32 glc
	s_waitcnt vmcnt(0)
	v_cmpx_ne_u64_e64 v[2:3], v[14:15]
	s_cbranch_execz .LBB5_16
; %bb.14:
	s_mov_b32 s11, 0
.LBB5_15:                               ; =>This Inner Loop Header: Depth=1
	v_mov_b32_e32 v0, s6
	v_mov_b32_e32 v1, s7
	s_sleep 1
	global_store_dwordx2 v[4:5], v[2:3], off
	s_waitcnt_vscnt null, 0x0
	global_atomic_cmpswap_x2 v[0:1], v6, v[0:3], s[26:27] offset:32 glc
	s_waitcnt vmcnt(0)
	v_cmp_eq_u64_e32 vcc_lo, v[0:1], v[2:3]
	v_mov_b32_e32 v3, v1
	v_mov_b32_e32 v2, v0
	s_or_b32 s11, vcc_lo, s11
	s_andn2_b32 exec_lo, exec_lo, s11
	s_cbranch_execnz .LBB5_15
.LBB5_16:
	s_or_b32 exec_lo, exec_lo, s10
	v_mov_b32_e32 v3, 0
	s_mov_b32 s11, exec_lo
	s_mov_b32 s10, exec_lo
	v_mbcnt_lo_u32_b32 v2, s11, 0
	global_load_dwordx2 v[0:1], v3, s[26:27] offset:16
	v_cmpx_eq_u32_e32 0, v2
	s_cbranch_execz .LBB5_18
; %bb.17:
	s_bcnt1_i32_b32 s11, s11
	v_mov_b32_e32 v2, s11
	s_waitcnt vmcnt(0)
	global_atomic_add_x2 v[0:1], v[2:3], off offset:8
.LBB5_18:
	s_or_b32 exec_lo, exec_lo, s10
	s_waitcnt vmcnt(0)
	global_load_dwordx2 v[2:3], v[0:1], off offset:16
	s_waitcnt vmcnt(0)
	v_cmp_eq_u64_e32 vcc_lo, 0, v[2:3]
	s_cbranch_vccnz .LBB5_20
; %bb.19:
	global_load_dword v0, v[0:1], off offset:24
	v_mov_b32_e32 v1, 0
	s_waitcnt vmcnt(0)
	v_and_b32_e32 v4, 0x7fffff, v0
	s_waitcnt_vscnt null, 0x0
	global_store_dwordx2 v[2:3], v[0:1], off
	v_readfirstlane_b32 m0, v4
	s_sendmsg sendmsg(MSG_INTERRUPT)
.LBB5_20:
	s_or_b32 exec_lo, exec_lo, s5
	s_branch .LBB5_24
	.p2align	6
.LBB5_21:                               ;   in Loop: Header=BB5_24 Depth=1
	s_or_b32 exec_lo, exec_lo, s5
	v_readfirstlane_b32 s5, v0
	s_cmp_eq_u32 s5, 0
	s_cbranch_scc1 .LBB5_23
; %bb.22:                               ;   in Loop: Header=BB5_24 Depth=1
	s_sleep 1
	s_cbranch_execnz .LBB5_24
	s_branch .LBB5_26
	.p2align	6
.LBB5_23:
	s_branch .LBB5_26
.LBB5_24:                               ; =>This Inner Loop Header: Depth=1
	v_mov_b32_e32 v0, 1
	s_and_saveexec_b32 s5, s4
	s_cbranch_execz .LBB5_21
; %bb.25:                               ;   in Loop: Header=BB5_24 Depth=1
	global_load_dword v0, v[8:9], off offset:20 glc dlc
	s_waitcnt vmcnt(0)
	buffer_gl1_inv
	buffer_gl0_inv
	v_and_b32_e32 v0, 1, v0
	s_branch .LBB5_21
.LBB5_26:
	global_load_dwordx2 v[4:5], v[10:11], off
	s_and_saveexec_b32 s5, s4
	s_cbranch_execz .LBB5_30
; %bb.27:
	v_mov_b32_e32 v8, 0
	s_clause 0x2
	global_load_dwordx2 v[2:3], v8, s[26:27] offset:40
	global_load_dwordx2 v[9:10], v8, s[26:27] offset:24 glc dlc
	global_load_dwordx2 v[6:7], v8, s[26:27]
	s_waitcnt vmcnt(2)
	v_add_co_u32 v11, vcc_lo, v2, 1
	v_add_co_ci_u32_e32 v12, vcc_lo, 0, v3, vcc_lo
	v_add_co_u32 v0, vcc_lo, v11, s6
	v_add_co_ci_u32_e32 v1, vcc_lo, s7, v12, vcc_lo
	v_cmp_eq_u64_e32 vcc_lo, 0, v[0:1]
	v_cndmask_b32_e32 v1, v1, v12, vcc_lo
	v_cndmask_b32_e32 v0, v0, v11, vcc_lo
	v_and_b32_e32 v3, v1, v3
	v_and_b32_e32 v2, v0, v2
	v_mul_lo_u32 v3, v3, 24
	v_mul_hi_u32 v11, v2, 24
	v_mul_lo_u32 v2, v2, 24
	v_add_nc_u32_e32 v3, v11, v3
	s_waitcnt vmcnt(0)
	v_add_co_u32 v6, vcc_lo, v6, v2
	v_mov_b32_e32 v2, v9
	v_add_co_ci_u32_e32 v7, vcc_lo, v7, v3, vcc_lo
	v_mov_b32_e32 v3, v10
	global_store_dwordx2 v[6:7], v[9:10], off
	s_waitcnt_vscnt null, 0x0
	global_atomic_cmpswap_x2 v[2:3], v8, v[0:3], s[26:27] offset:24 glc
	s_waitcnt vmcnt(0)
	v_cmp_ne_u64_e32 vcc_lo, v[2:3], v[9:10]
	s_and_b32 exec_lo, exec_lo, vcc_lo
	s_cbranch_execz .LBB5_30
; %bb.28:
	s_mov_b32 s4, 0
.LBB5_29:                               ; =>This Inner Loop Header: Depth=1
	s_sleep 1
	global_store_dwordx2 v[6:7], v[2:3], off
	s_waitcnt_vscnt null, 0x0
	global_atomic_cmpswap_x2 v[9:10], v8, v[0:3], s[26:27] offset:24 glc
	s_waitcnt vmcnt(0)
	v_cmp_eq_u64_e32 vcc_lo, v[9:10], v[2:3]
	v_mov_b32_e32 v2, v9
	v_mov_b32_e32 v3, v10
	s_or_b32 s4, vcc_lo, s4
	s_andn2_b32 exec_lo, exec_lo, s4
	s_cbranch_execnz .LBB5_29
.LBB5_30:
	s_or_b32 exec_lo, exec_lo, s5
	s_getpc_b64 s[6:7]
	s_add_u32 s6, s6, .str.5@rel32@lo+4
	s_addc_u32 s7, s7, .str.5@rel32@hi+12
	s_cmp_lg_u64 s[6:7], 0
	s_cselect_b32 s15, -1, 0
	s_and_b32 vcc_lo, exec_lo, s15
	s_cbranch_vccz .LBB5_109
; %bb.31:
	s_waitcnt vmcnt(0)
	v_and_b32_e32 v28, 2, v4
	v_mov_b32_e32 v7, 0
	v_and_b32_e32 v0, -3, v4
	v_mov_b32_e32 v1, v5
	v_mov_b32_e32 v8, 2
	;; [unrolled: 1-line block ×3, first 2 shown]
	s_mov_b64 s[10:11], 3
	s_branch .LBB5_33
.LBB5_32:                               ;   in Loop: Header=BB5_33 Depth=1
	s_or_b32 exec_lo, exec_lo, s5
	s_sub_u32 s10, s10, s16
	s_subb_u32 s11, s11, s17
	s_add_u32 s6, s6, s16
	s_addc_u32 s7, s7, s17
	s_cmp_lg_u64 s[10:11], 0
	s_cbranch_scc0 .LBB5_108
.LBB5_33:                               ; =>This Loop Header: Depth=1
                                        ;     Child Loop BB5_42 Depth 2
                                        ;     Child Loop BB5_38 Depth 2
	;; [unrolled: 1-line block ×11, first 2 shown]
	v_cmp_lt_u64_e64 s4, s[10:11], 56
	v_cmp_gt_u64_e64 s5, s[10:11], 7
                                        ; implicit-def: $vgpr2_vgpr3
                                        ; implicit-def: $sgpr22
	s_and_b32 s4, s4, exec_lo
	s_cselect_b32 s17, s11, 0
	s_cselect_b32 s16, s10, 56
	s_and_b32 vcc_lo, exec_lo, s5
	s_mov_b32 s4, -1
	s_cbranch_vccz .LBB5_40
; %bb.34:                               ;   in Loop: Header=BB5_33 Depth=1
	s_andn2_b32 vcc_lo, exec_lo, s4
	s_mov_b64 s[4:5], s[6:7]
	s_cbranch_vccz .LBB5_44
.LBB5_35:                               ;   in Loop: Header=BB5_33 Depth=1
	s_cmp_gt_u32 s22, 7
	s_cbranch_scc1 .LBB5_45
.LBB5_36:                               ;   in Loop: Header=BB5_33 Depth=1
	v_mov_b32_e32 v10, 0
	v_mov_b32_e32 v11, 0
	s_cmp_eq_u32 s22, 0
	s_cbranch_scc1 .LBB5_39
; %bb.37:                               ;   in Loop: Header=BB5_33 Depth=1
	s_mov_b64 s[18:19], 0
	s_mov_b64 s[20:21], 0
.LBB5_38:                               ;   Parent Loop BB5_33 Depth=1
                                        ; =>  This Inner Loop Header: Depth=2
	s_add_u32 s24, s4, s20
	s_addc_u32 s25, s5, s21
	s_add_u32 s20, s20, 1
	global_load_ubyte v6, v7, s[24:25]
	s_addc_u32 s21, s21, 0
	s_waitcnt vmcnt(0)
	v_and_b32_e32 v6, 0xffff, v6
	v_lshlrev_b64 v[12:13], s18, v[6:7]
	s_add_u32 s18, s18, 8
	s_addc_u32 s19, s19, 0
	s_cmp_lg_u32 s22, s20
	v_or_b32_e32 v10, v12, v10
	v_or_b32_e32 v11, v13, v11
	s_cbranch_scc1 .LBB5_38
.LBB5_39:                               ;   in Loop: Header=BB5_33 Depth=1
	s_mov_b32 s23, 0
	s_cbranch_execz .LBB5_46
	s_branch .LBB5_47
.LBB5_40:                               ;   in Loop: Header=BB5_33 Depth=1
	s_waitcnt vmcnt(0)
	v_mov_b32_e32 v2, 0
	v_mov_b32_e32 v3, 0
	s_cmp_eq_u64 s[10:11], 0
	s_mov_b64 s[4:5], 0
	s_cbranch_scc1 .LBB5_43
; %bb.41:                               ;   in Loop: Header=BB5_33 Depth=1
	v_mov_b32_e32 v2, 0
	v_mov_b32_e32 v3, 0
	s_lshl_b64 s[18:19], s[16:17], 3
	s_mov_b64 s[20:21], s[6:7]
.LBB5_42:                               ;   Parent Loop BB5_33 Depth=1
                                        ; =>  This Inner Loop Header: Depth=2
	global_load_ubyte v6, v7, s[20:21]
	s_waitcnt vmcnt(0)
	v_and_b32_e32 v6, 0xffff, v6
	v_lshlrev_b64 v[10:11], s4, v[6:7]
	s_add_u32 s4, s4, 8
	s_addc_u32 s5, s5, 0
	s_add_u32 s20, s20, 1
	s_addc_u32 s21, s21, 0
	s_cmp_lg_u32 s18, s4
	v_or_b32_e32 v2, v10, v2
	v_or_b32_e32 v3, v11, v3
	s_cbranch_scc1 .LBB5_42
.LBB5_43:                               ;   in Loop: Header=BB5_33 Depth=1
	s_mov_b32 s22, 0
	s_mov_b64 s[4:5], s[6:7]
	s_cbranch_execnz .LBB5_35
.LBB5_44:                               ;   in Loop: Header=BB5_33 Depth=1
	global_load_dwordx2 v[2:3], v7, s[6:7]
	s_add_i32 s22, s16, -8
	s_add_u32 s4, s6, 8
	s_addc_u32 s5, s7, 0
	s_cmp_gt_u32 s22, 7
	s_cbranch_scc0 .LBB5_36
.LBB5_45:                               ;   in Loop: Header=BB5_33 Depth=1
                                        ; implicit-def: $vgpr10_vgpr11
                                        ; implicit-def: $sgpr23
.LBB5_46:                               ;   in Loop: Header=BB5_33 Depth=1
	global_load_dwordx2 v[10:11], v7, s[4:5]
	s_add_i32 s23, s22, -8
	s_add_u32 s4, s4, 8
	s_addc_u32 s5, s5, 0
.LBB5_47:                               ;   in Loop: Header=BB5_33 Depth=1
	s_cmp_gt_u32 s23, 7
	s_cbranch_scc1 .LBB5_52
; %bb.48:                               ;   in Loop: Header=BB5_33 Depth=1
	v_mov_b32_e32 v12, 0
	v_mov_b32_e32 v13, 0
	s_cmp_eq_u32 s23, 0
	s_cbranch_scc1 .LBB5_51
; %bb.49:                               ;   in Loop: Header=BB5_33 Depth=1
	s_mov_b64 s[18:19], 0
	s_mov_b64 s[20:21], 0
.LBB5_50:                               ;   Parent Loop BB5_33 Depth=1
                                        ; =>  This Inner Loop Header: Depth=2
	s_add_u32 s24, s4, s20
	s_addc_u32 s25, s5, s21
	s_add_u32 s20, s20, 1
	global_load_ubyte v6, v7, s[24:25]
	s_addc_u32 s21, s21, 0
	s_waitcnt vmcnt(0)
	v_and_b32_e32 v6, 0xffff, v6
	v_lshlrev_b64 v[14:15], s18, v[6:7]
	s_add_u32 s18, s18, 8
	s_addc_u32 s19, s19, 0
	s_cmp_lg_u32 s23, s20
	v_or_b32_e32 v12, v14, v12
	v_or_b32_e32 v13, v15, v13
	s_cbranch_scc1 .LBB5_50
.LBB5_51:                               ;   in Loop: Header=BB5_33 Depth=1
	s_mov_b32 s22, 0
	s_cbranch_execz .LBB5_53
	s_branch .LBB5_54
.LBB5_52:                               ;   in Loop: Header=BB5_33 Depth=1
                                        ; implicit-def: $sgpr22
.LBB5_53:                               ;   in Loop: Header=BB5_33 Depth=1
	global_load_dwordx2 v[12:13], v7, s[4:5]
	s_add_i32 s22, s23, -8
	s_add_u32 s4, s4, 8
	s_addc_u32 s5, s5, 0
.LBB5_54:                               ;   in Loop: Header=BB5_33 Depth=1
	s_cmp_gt_u32 s22, 7
	s_cbranch_scc1 .LBB5_59
; %bb.55:                               ;   in Loop: Header=BB5_33 Depth=1
	v_mov_b32_e32 v14, 0
	v_mov_b32_e32 v15, 0
	s_cmp_eq_u32 s22, 0
	s_cbranch_scc1 .LBB5_58
; %bb.56:                               ;   in Loop: Header=BB5_33 Depth=1
	s_mov_b64 s[18:19], 0
	s_mov_b64 s[20:21], 0
.LBB5_57:                               ;   Parent Loop BB5_33 Depth=1
                                        ; =>  This Inner Loop Header: Depth=2
	s_add_u32 s24, s4, s20
	s_addc_u32 s25, s5, s21
	s_add_u32 s20, s20, 1
	global_load_ubyte v6, v7, s[24:25]
	s_addc_u32 s21, s21, 0
	s_waitcnt vmcnt(0)
	v_and_b32_e32 v6, 0xffff, v6
	v_lshlrev_b64 v[16:17], s18, v[6:7]
	s_add_u32 s18, s18, 8
	s_addc_u32 s19, s19, 0
	s_cmp_lg_u32 s22, s20
	v_or_b32_e32 v14, v16, v14
	v_or_b32_e32 v15, v17, v15
	s_cbranch_scc1 .LBB5_57
.LBB5_58:                               ;   in Loop: Header=BB5_33 Depth=1
	s_mov_b32 s23, 0
	s_cbranch_execz .LBB5_60
	s_branch .LBB5_61
.LBB5_59:                               ;   in Loop: Header=BB5_33 Depth=1
                                        ; implicit-def: $vgpr14_vgpr15
                                        ; implicit-def: $sgpr23
.LBB5_60:                               ;   in Loop: Header=BB5_33 Depth=1
	global_load_dwordx2 v[14:15], v7, s[4:5]
	s_add_i32 s23, s22, -8
	s_add_u32 s4, s4, 8
	s_addc_u32 s5, s5, 0
.LBB5_61:                               ;   in Loop: Header=BB5_33 Depth=1
	s_cmp_gt_u32 s23, 7
	s_cbranch_scc1 .LBB5_66
; %bb.62:                               ;   in Loop: Header=BB5_33 Depth=1
	v_mov_b32_e32 v16, 0
	v_mov_b32_e32 v17, 0
	s_cmp_eq_u32 s23, 0
	s_cbranch_scc1 .LBB5_65
; %bb.63:                               ;   in Loop: Header=BB5_33 Depth=1
	s_mov_b64 s[18:19], 0
	s_mov_b64 s[20:21], 0
.LBB5_64:                               ;   Parent Loop BB5_33 Depth=1
                                        ; =>  This Inner Loop Header: Depth=2
	s_add_u32 s24, s4, s20
	s_addc_u32 s25, s5, s21
	s_add_u32 s20, s20, 1
	global_load_ubyte v6, v7, s[24:25]
	s_addc_u32 s21, s21, 0
	s_waitcnt vmcnt(0)
	v_and_b32_e32 v6, 0xffff, v6
	v_lshlrev_b64 v[18:19], s18, v[6:7]
	s_add_u32 s18, s18, 8
	s_addc_u32 s19, s19, 0
	s_cmp_lg_u32 s23, s20
	v_or_b32_e32 v16, v18, v16
	v_or_b32_e32 v17, v19, v17
	s_cbranch_scc1 .LBB5_64
.LBB5_65:                               ;   in Loop: Header=BB5_33 Depth=1
	s_mov_b32 s22, 0
	s_cbranch_execz .LBB5_67
	s_branch .LBB5_68
.LBB5_66:                               ;   in Loop: Header=BB5_33 Depth=1
                                        ; implicit-def: $sgpr22
.LBB5_67:                               ;   in Loop: Header=BB5_33 Depth=1
	global_load_dwordx2 v[16:17], v7, s[4:5]
	s_add_i32 s22, s23, -8
	s_add_u32 s4, s4, 8
	s_addc_u32 s5, s5, 0
.LBB5_68:                               ;   in Loop: Header=BB5_33 Depth=1
	s_cmp_gt_u32 s22, 7
	s_cbranch_scc1 .LBB5_73
; %bb.69:                               ;   in Loop: Header=BB5_33 Depth=1
	v_mov_b32_e32 v18, 0
	v_mov_b32_e32 v19, 0
	s_cmp_eq_u32 s22, 0
	s_cbranch_scc1 .LBB5_72
; %bb.70:                               ;   in Loop: Header=BB5_33 Depth=1
	s_mov_b64 s[18:19], 0
	s_mov_b64 s[20:21], 0
.LBB5_71:                               ;   Parent Loop BB5_33 Depth=1
                                        ; =>  This Inner Loop Header: Depth=2
	s_add_u32 s24, s4, s20
	s_addc_u32 s25, s5, s21
	s_add_u32 s20, s20, 1
	global_load_ubyte v6, v7, s[24:25]
	s_addc_u32 s21, s21, 0
	s_waitcnt vmcnt(0)
	v_and_b32_e32 v6, 0xffff, v6
	v_lshlrev_b64 v[20:21], s18, v[6:7]
	s_add_u32 s18, s18, 8
	s_addc_u32 s19, s19, 0
	s_cmp_lg_u32 s22, s20
	v_or_b32_e32 v18, v20, v18
	v_or_b32_e32 v19, v21, v19
	s_cbranch_scc1 .LBB5_71
.LBB5_72:                               ;   in Loop: Header=BB5_33 Depth=1
	s_mov_b32 s23, 0
	s_cbranch_execz .LBB5_74
	s_branch .LBB5_75
.LBB5_73:                               ;   in Loop: Header=BB5_33 Depth=1
                                        ; implicit-def: $vgpr18_vgpr19
                                        ; implicit-def: $sgpr23
.LBB5_74:                               ;   in Loop: Header=BB5_33 Depth=1
	global_load_dwordx2 v[18:19], v7, s[4:5]
	s_add_i32 s23, s22, -8
	s_add_u32 s4, s4, 8
	s_addc_u32 s5, s5, 0
.LBB5_75:                               ;   in Loop: Header=BB5_33 Depth=1
	s_cmp_gt_u32 s23, 7
	s_cbranch_scc1 .LBB5_80
; %bb.76:                               ;   in Loop: Header=BB5_33 Depth=1
	v_mov_b32_e32 v20, 0
	v_mov_b32_e32 v21, 0
	s_cmp_eq_u32 s23, 0
	s_cbranch_scc1 .LBB5_79
; %bb.77:                               ;   in Loop: Header=BB5_33 Depth=1
	s_mov_b64 s[18:19], 0
	s_mov_b64 s[20:21], s[4:5]
.LBB5_78:                               ;   Parent Loop BB5_33 Depth=1
                                        ; =>  This Inner Loop Header: Depth=2
	global_load_ubyte v6, v7, s[20:21]
	s_add_i32 s23, s23, -1
	s_waitcnt vmcnt(0)
	v_and_b32_e32 v6, 0xffff, v6
	v_lshlrev_b64 v[22:23], s18, v[6:7]
	s_add_u32 s18, s18, 8
	s_addc_u32 s19, s19, 0
	s_add_u32 s20, s20, 1
	s_addc_u32 s21, s21, 0
	s_cmp_lg_u32 s23, 0
	v_or_b32_e32 v20, v22, v20
	v_or_b32_e32 v21, v23, v21
	s_cbranch_scc1 .LBB5_78
.LBB5_79:                               ;   in Loop: Header=BB5_33 Depth=1
	s_cbranch_execz .LBB5_81
	s_branch .LBB5_82
.LBB5_80:                               ;   in Loop: Header=BB5_33 Depth=1
.LBB5_81:                               ;   in Loop: Header=BB5_33 Depth=1
	global_load_dwordx2 v[20:21], v7, s[4:5]
.LBB5_82:                               ;   in Loop: Header=BB5_33 Depth=1
	v_readfirstlane_b32 s4, v48
	v_mov_b32_e32 v26, 0
	v_mov_b32_e32 v27, 0
	v_cmp_eq_u32_e64 s4, s4, v48
	s_and_saveexec_b32 s5, s4
	s_cbranch_execz .LBB5_88
; %bb.83:                               ;   in Loop: Header=BB5_33 Depth=1
	global_load_dwordx2 v[24:25], v7, s[26:27] offset:24 glc dlc
	s_waitcnt vmcnt(0)
	buffer_gl1_inv
	buffer_gl0_inv
	s_clause 0x1
	global_load_dwordx2 v[22:23], v7, s[26:27] offset:40
	global_load_dwordx2 v[26:27], v7, s[26:27]
	s_mov_b32 s18, exec_lo
	s_waitcnt vmcnt(1)
	v_and_b32_e32 v6, v23, v25
	v_and_b32_e32 v22, v22, v24
	v_mul_lo_u32 v6, v6, 24
	v_mul_hi_u32 v23, v22, 24
	v_mul_lo_u32 v22, v22, 24
	v_add_nc_u32_e32 v6, v23, v6
	s_waitcnt vmcnt(0)
	v_add_co_u32 v22, vcc_lo, v26, v22
	v_add_co_ci_u32_e32 v23, vcc_lo, v27, v6, vcc_lo
	global_load_dwordx2 v[22:23], v[22:23], off glc dlc
	s_waitcnt vmcnt(0)
	global_atomic_cmpswap_x2 v[26:27], v7, v[22:25], s[26:27] offset:24 glc
	s_waitcnt vmcnt(0)
	buffer_gl1_inv
	buffer_gl0_inv
	v_cmpx_ne_u64_e64 v[26:27], v[24:25]
	s_cbranch_execz .LBB5_87
; %bb.84:                               ;   in Loop: Header=BB5_33 Depth=1
	s_mov_b32 s19, 0
	.p2align	6
.LBB5_85:                               ;   Parent Loop BB5_33 Depth=1
                                        ; =>  This Inner Loop Header: Depth=2
	s_sleep 1
	s_clause 0x1
	global_load_dwordx2 v[22:23], v7, s[26:27] offset:40
	global_load_dwordx2 v[29:30], v7, s[26:27]
	v_mov_b32_e32 v24, v26
	v_mov_b32_e32 v25, v27
	s_waitcnt vmcnt(1)
	v_and_b32_e32 v6, v22, v24
	v_and_b32_e32 v22, v23, v25
	s_waitcnt vmcnt(0)
	v_mad_u64_u32 v[26:27], null, v6, 24, v[29:30]
	v_mov_b32_e32 v6, v27
	v_mad_u64_u32 v[22:23], null, v22, 24, v[6:7]
	v_mov_b32_e32 v27, v22
	global_load_dwordx2 v[22:23], v[26:27], off glc dlc
	s_waitcnt vmcnt(0)
	global_atomic_cmpswap_x2 v[26:27], v7, v[22:25], s[26:27] offset:24 glc
	s_waitcnt vmcnt(0)
	buffer_gl1_inv
	buffer_gl0_inv
	v_cmp_eq_u64_e32 vcc_lo, v[26:27], v[24:25]
	s_or_b32 s19, vcc_lo, s19
	s_andn2_b32 exec_lo, exec_lo, s19
	s_cbranch_execnz .LBB5_85
; %bb.86:                               ;   in Loop: Header=BB5_33 Depth=1
	s_or_b32 exec_lo, exec_lo, s19
.LBB5_87:                               ;   in Loop: Header=BB5_33 Depth=1
	s_or_b32 exec_lo, exec_lo, s18
.LBB5_88:                               ;   in Loop: Header=BB5_33 Depth=1
	s_or_b32 exec_lo, exec_lo, s5
	s_clause 0x1
	global_load_dwordx2 v[29:30], v7, s[26:27] offset:40
	global_load_dwordx4 v[22:25], v7, s[26:27]
	v_readfirstlane_b32 s18, v26
	v_readfirstlane_b32 s19, v27
	s_mov_b32 s5, exec_lo
	s_waitcnt vmcnt(1)
	v_readfirstlane_b32 s20, v29
	v_readfirstlane_b32 s21, v30
	s_and_b64 s[20:21], s[18:19], s[20:21]
	s_mul_i32 s22, s21, 24
	s_mul_hi_u32 s23, s20, 24
	s_mul_i32 s24, s20, 24
	s_add_i32 s23, s23, s22
	s_waitcnt vmcnt(0)
	v_add_co_u32 v26, vcc_lo, v22, s24
	v_add_co_ci_u32_e32 v27, vcc_lo, s23, v23, vcc_lo
	s_and_saveexec_b32 s22, s4
	s_cbranch_execz .LBB5_90
; %bb.89:                               ;   in Loop: Header=BB5_33 Depth=1
	v_mov_b32_e32 v6, s5
	global_store_dwordx4 v[26:27], v[6:9], off offset:8
.LBB5_90:                               ;   in Loop: Header=BB5_33 Depth=1
	s_or_b32 exec_lo, exec_lo, s22
	s_lshl_b64 s[20:21], s[20:21], 12
	v_cmp_gt_u64_e64 vcc_lo, s[10:11], 56
	v_or_b32_e32 v29, v0, v28
	v_add_co_u32 v24, s5, v24, s20
	v_add_co_ci_u32_e64 v25, s5, s21, v25, s5
	s_lshl_b32 s5, s16, 2
	v_or_b32_e32 v6, 0, v1
	v_cndmask_b32_e32 v0, v29, v0, vcc_lo
	s_add_i32 s5, s5, 28
	v_readfirstlane_b32 s20, v24
	s_and_b32 s5, s5, 0x1e0
	v_cndmask_b32_e32 v1, v6, v1, vcc_lo
	v_readfirstlane_b32 s21, v25
	v_and_or_b32 v0, 0xffffff1f, v0, s5
	global_store_dwordx4 v39, v[0:3], s[20:21]
	global_store_dwordx4 v39, v[10:13], s[20:21] offset:16
	global_store_dwordx4 v39, v[14:17], s[20:21] offset:32
	;; [unrolled: 1-line block ×3, first 2 shown]
	s_and_saveexec_b32 s5, s4
	s_cbranch_execz .LBB5_98
; %bb.91:                               ;   in Loop: Header=BB5_33 Depth=1
	s_clause 0x1
	global_load_dwordx2 v[14:15], v7, s[26:27] offset:32 glc dlc
	global_load_dwordx2 v[0:1], v7, s[26:27] offset:40
	v_mov_b32_e32 v12, s18
	v_mov_b32_e32 v13, s19
	s_waitcnt vmcnt(0)
	v_readfirstlane_b32 s20, v0
	v_readfirstlane_b32 s21, v1
	s_and_b64 s[20:21], s[20:21], s[18:19]
	s_mul_i32 s21, s21, 24
	s_mul_hi_u32 s22, s20, 24
	s_mul_i32 s20, s20, 24
	s_add_i32 s22, s22, s21
	v_add_co_u32 v10, vcc_lo, v22, s20
	v_add_co_ci_u32_e32 v11, vcc_lo, s22, v23, vcc_lo
	s_mov_b32 s20, exec_lo
	global_store_dwordx2 v[10:11], v[14:15], off
	s_waitcnt_vscnt null, 0x0
	global_atomic_cmpswap_x2 v[2:3], v7, v[12:15], s[26:27] offset:32 glc
	s_waitcnt vmcnt(0)
	v_cmpx_ne_u64_e64 v[2:3], v[14:15]
	s_cbranch_execz .LBB5_94
; %bb.92:                               ;   in Loop: Header=BB5_33 Depth=1
	s_mov_b32 s21, 0
.LBB5_93:                               ;   Parent Loop BB5_33 Depth=1
                                        ; =>  This Inner Loop Header: Depth=2
	v_mov_b32_e32 v0, s18
	v_mov_b32_e32 v1, s19
	s_sleep 1
	global_store_dwordx2 v[10:11], v[2:3], off
	s_waitcnt_vscnt null, 0x0
	global_atomic_cmpswap_x2 v[0:1], v7, v[0:3], s[26:27] offset:32 glc
	s_waitcnt vmcnt(0)
	v_cmp_eq_u64_e32 vcc_lo, v[0:1], v[2:3]
	v_mov_b32_e32 v3, v1
	v_mov_b32_e32 v2, v0
	s_or_b32 s21, vcc_lo, s21
	s_andn2_b32 exec_lo, exec_lo, s21
	s_cbranch_execnz .LBB5_93
.LBB5_94:                               ;   in Loop: Header=BB5_33 Depth=1
	s_or_b32 exec_lo, exec_lo, s20
	global_load_dwordx2 v[0:1], v7, s[26:27] offset:16
	s_mov_b32 s21, exec_lo
	s_mov_b32 s20, exec_lo
	v_mbcnt_lo_u32_b32 v2, s21, 0
	v_cmpx_eq_u32_e32 0, v2
	s_cbranch_execz .LBB5_96
; %bb.95:                               ;   in Loop: Header=BB5_33 Depth=1
	s_bcnt1_i32_b32 s21, s21
	v_mov_b32_e32 v6, s21
	s_waitcnt vmcnt(0)
	global_atomic_add_x2 v[0:1], v[6:7], off offset:8
.LBB5_96:                               ;   in Loop: Header=BB5_33 Depth=1
	s_or_b32 exec_lo, exec_lo, s20
	s_waitcnt vmcnt(0)
	global_load_dwordx2 v[2:3], v[0:1], off offset:16
	s_waitcnt vmcnt(0)
	v_cmp_eq_u64_e32 vcc_lo, 0, v[2:3]
	s_cbranch_vccnz .LBB5_98
; %bb.97:                               ;   in Loop: Header=BB5_33 Depth=1
	global_load_dword v6, v[0:1], off offset:24
	s_waitcnt vmcnt(0)
	v_and_b32_e32 v0, 0x7fffff, v6
	s_waitcnt_vscnt null, 0x0
	global_store_dwordx2 v[2:3], v[6:7], off
	v_readfirstlane_b32 m0, v0
	s_sendmsg sendmsg(MSG_INTERRUPT)
.LBB5_98:                               ;   in Loop: Header=BB5_33 Depth=1
	s_or_b32 exec_lo, exec_lo, s5
	v_add_co_u32 v0, vcc_lo, v24, v39
	v_add_co_ci_u32_e32 v1, vcc_lo, 0, v25, vcc_lo
	s_branch .LBB5_102
	.p2align	6
.LBB5_99:                               ;   in Loop: Header=BB5_102 Depth=2
	s_or_b32 exec_lo, exec_lo, s5
	v_readfirstlane_b32 s5, v2
	s_cmp_eq_u32 s5, 0
	s_cbranch_scc1 .LBB5_101
; %bb.100:                              ;   in Loop: Header=BB5_102 Depth=2
	s_sleep 1
	s_cbranch_execnz .LBB5_102
	s_branch .LBB5_104
	.p2align	6
.LBB5_101:                              ;   in Loop: Header=BB5_33 Depth=1
	s_branch .LBB5_104
.LBB5_102:                              ;   Parent Loop BB5_33 Depth=1
                                        ; =>  This Inner Loop Header: Depth=2
	v_mov_b32_e32 v2, 1
	s_and_saveexec_b32 s5, s4
	s_cbranch_execz .LBB5_99
; %bb.103:                              ;   in Loop: Header=BB5_102 Depth=2
	global_load_dword v2, v[26:27], off offset:20 glc dlc
	s_waitcnt vmcnt(0)
	buffer_gl1_inv
	buffer_gl0_inv
	v_and_b32_e32 v2, 1, v2
	s_branch .LBB5_99
.LBB5_104:                              ;   in Loop: Header=BB5_33 Depth=1
	global_load_dwordx4 v[0:3], v[0:1], off
	s_and_saveexec_b32 s5, s4
	s_cbranch_execz .LBB5_32
; %bb.105:                              ;   in Loop: Header=BB5_33 Depth=1
	s_clause 0x2
	global_load_dwordx2 v[2:3], v7, s[26:27] offset:40
	global_load_dwordx2 v[14:15], v7, s[26:27] offset:24 glc dlc
	global_load_dwordx2 v[12:13], v7, s[26:27]
	s_waitcnt vmcnt(2)
	v_add_co_u32 v6, vcc_lo, v2, 1
	v_add_co_ci_u32_e32 v16, vcc_lo, 0, v3, vcc_lo
	v_add_co_u32 v10, vcc_lo, v6, s18
	v_add_co_ci_u32_e32 v11, vcc_lo, s19, v16, vcc_lo
	v_cmp_eq_u64_e32 vcc_lo, 0, v[10:11]
	v_cndmask_b32_e32 v11, v11, v16, vcc_lo
	v_cndmask_b32_e32 v10, v10, v6, vcc_lo
	v_and_b32_e32 v3, v11, v3
	v_and_b32_e32 v2, v10, v2
	v_mul_lo_u32 v3, v3, 24
	v_mul_hi_u32 v6, v2, 24
	v_mul_lo_u32 v2, v2, 24
	v_add_nc_u32_e32 v3, v6, v3
	s_waitcnt vmcnt(0)
	v_add_co_u32 v2, vcc_lo, v12, v2
	v_mov_b32_e32 v12, v14
	v_add_co_ci_u32_e32 v3, vcc_lo, v13, v3, vcc_lo
	v_mov_b32_e32 v13, v15
	global_store_dwordx2 v[2:3], v[14:15], off
	s_waitcnt_vscnt null, 0x0
	global_atomic_cmpswap_x2 v[12:13], v7, v[10:13], s[26:27] offset:24 glc
	s_waitcnt vmcnt(0)
	v_cmp_ne_u64_e32 vcc_lo, v[12:13], v[14:15]
	s_and_b32 exec_lo, exec_lo, vcc_lo
	s_cbranch_execz .LBB5_32
; %bb.106:                              ;   in Loop: Header=BB5_33 Depth=1
	s_mov_b32 s4, 0
.LBB5_107:                              ;   Parent Loop BB5_33 Depth=1
                                        ; =>  This Inner Loop Header: Depth=2
	s_sleep 1
	global_store_dwordx2 v[2:3], v[12:13], off
	s_waitcnt_vscnt null, 0x0
	global_atomic_cmpswap_x2 v[14:15], v7, v[10:13], s[26:27] offset:24 glc
	s_waitcnt vmcnt(0)
	v_cmp_eq_u64_e32 vcc_lo, v[14:15], v[12:13]
	v_mov_b32_e32 v12, v14
	v_mov_b32_e32 v13, v15
	s_or_b32 s4, vcc_lo, s4
	s_andn2_b32 exec_lo, exec_lo, s4
	s_cbranch_execnz .LBB5_107
	s_branch .LBB5_32
.LBB5_108:
	s_branch .LBB5_137
.LBB5_109:
                                        ; implicit-def: $vgpr0_vgpr1
	s_cbranch_execz .LBB5_137
; %bb.110:
	v_readfirstlane_b32 s4, v48
	v_mov_b32_e32 v7, 0
	v_mov_b32_e32 v8, 0
	v_cmp_eq_u32_e64 s4, s4, v48
	s_and_saveexec_b32 s5, s4
	s_cbranch_execz .LBB5_116
; %bb.111:
	s_waitcnt vmcnt(0)
	v_mov_b32_e32 v0, 0
	s_mov_b32 s6, exec_lo
	global_load_dwordx2 v[9:10], v0, s[26:27] offset:24 glc dlc
	s_waitcnt vmcnt(0)
	buffer_gl1_inv
	buffer_gl0_inv
	s_clause 0x1
	global_load_dwordx2 v[1:2], v0, s[26:27] offset:40
	global_load_dwordx2 v[6:7], v0, s[26:27]
	s_waitcnt vmcnt(1)
	v_and_b32_e32 v2, v2, v10
	v_and_b32_e32 v1, v1, v9
	v_mul_lo_u32 v2, v2, 24
	v_mul_hi_u32 v3, v1, 24
	v_mul_lo_u32 v1, v1, 24
	v_add_nc_u32_e32 v2, v3, v2
	s_waitcnt vmcnt(0)
	v_add_co_u32 v1, vcc_lo, v6, v1
	v_add_co_ci_u32_e32 v2, vcc_lo, v7, v2, vcc_lo
	global_load_dwordx2 v[7:8], v[1:2], off glc dlc
	s_waitcnt vmcnt(0)
	global_atomic_cmpswap_x2 v[7:8], v0, v[7:10], s[26:27] offset:24 glc
	s_waitcnt vmcnt(0)
	buffer_gl1_inv
	buffer_gl0_inv
	v_cmpx_ne_u64_e64 v[7:8], v[9:10]
	s_cbranch_execz .LBB5_115
; %bb.112:
	s_mov_b32 s7, 0
	.p2align	6
.LBB5_113:                              ; =>This Inner Loop Header: Depth=1
	s_sleep 1
	s_clause 0x1
	global_load_dwordx2 v[1:2], v0, s[26:27] offset:40
	global_load_dwordx2 v[11:12], v0, s[26:27]
	v_mov_b32_e32 v10, v8
	v_mov_b32_e32 v9, v7
	s_waitcnt vmcnt(1)
	v_and_b32_e32 v1, v1, v9
	v_and_b32_e32 v2, v2, v10
	s_waitcnt vmcnt(0)
	v_mad_u64_u32 v[6:7], null, v1, 24, v[11:12]
	v_mov_b32_e32 v1, v7
	v_mad_u64_u32 v[1:2], null, v2, 24, v[1:2]
	v_mov_b32_e32 v7, v1
	global_load_dwordx2 v[7:8], v[6:7], off glc dlc
	s_waitcnt vmcnt(0)
	global_atomic_cmpswap_x2 v[7:8], v0, v[7:10], s[26:27] offset:24 glc
	s_waitcnt vmcnt(0)
	buffer_gl1_inv
	buffer_gl0_inv
	v_cmp_eq_u64_e32 vcc_lo, v[7:8], v[9:10]
	s_or_b32 s7, vcc_lo, s7
	s_andn2_b32 exec_lo, exec_lo, s7
	s_cbranch_execnz .LBB5_113
; %bb.114:
	s_or_b32 exec_lo, exec_lo, s7
.LBB5_115:
	s_or_b32 exec_lo, exec_lo, s6
.LBB5_116:
	s_or_b32 exec_lo, exec_lo, s5
	v_mov_b32_e32 v6, 0
	v_readfirstlane_b32 s6, v7
	v_readfirstlane_b32 s7, v8
	s_mov_b32 s5, exec_lo
	s_clause 0x1
	global_load_dwordx2 v[9:10], v6, s[26:27] offset:40
	global_load_dwordx4 v[0:3], v6, s[26:27]
	s_waitcnt vmcnt(1)
	v_readfirstlane_b32 s10, v9
	v_readfirstlane_b32 s11, v10
	s_and_b64 s[10:11], s[6:7], s[10:11]
	s_mul_i32 s16, s11, 24
	s_mul_hi_u32 s17, s10, 24
	s_mul_i32 s18, s10, 24
	s_add_i32 s17, s17, s16
	s_waitcnt vmcnt(0)
	v_add_co_u32 v8, vcc_lo, v0, s18
	v_add_co_ci_u32_e32 v9, vcc_lo, s17, v1, vcc_lo
	s_and_saveexec_b32 s16, s4
	s_cbranch_execz .LBB5_118
; %bb.117:
	v_mov_b32_e32 v10, s5
	v_mov_b32_e32 v11, v6
	;; [unrolled: 1-line block ×4, first 2 shown]
	global_store_dwordx4 v[8:9], v[10:13], off offset:8
.LBB5_118:
	s_or_b32 exec_lo, exec_lo, s16
	s_lshl_b64 s[10:11], s[10:11], 12
	s_mov_b32 s16, 0
	v_add_co_u32 v2, vcc_lo, v2, s10
	v_add_co_ci_u32_e32 v3, vcc_lo, s11, v3, vcc_lo
	s_mov_b32 s17, s16
	v_add_co_u32 v10, vcc_lo, v2, v39
	s_mov_b32 s18, s16
	s_mov_b32 s19, s16
	v_and_or_b32 v4, 0xffffff1f, v4, 32
	v_mov_b32_e32 v7, v6
	v_readfirstlane_b32 s10, v2
	v_readfirstlane_b32 s11, v3
	v_mov_b32_e32 v12, s16
	v_add_co_ci_u32_e32 v11, vcc_lo, 0, v3, vcc_lo
	v_mov_b32_e32 v13, s17
	v_mov_b32_e32 v14, s18
	;; [unrolled: 1-line block ×3, first 2 shown]
	global_store_dwordx4 v39, v[4:7], s[10:11]
	global_store_dwordx4 v39, v[12:15], s[10:11] offset:16
	global_store_dwordx4 v39, v[12:15], s[10:11] offset:32
	;; [unrolled: 1-line block ×3, first 2 shown]
	s_and_saveexec_b32 s5, s4
	s_cbranch_execz .LBB5_126
; %bb.119:
	v_mov_b32_e32 v6, 0
	v_mov_b32_e32 v12, s6
	;; [unrolled: 1-line block ×3, first 2 shown]
	s_clause 0x1
	global_load_dwordx2 v[14:15], v6, s[26:27] offset:32 glc dlc
	global_load_dwordx2 v[2:3], v6, s[26:27] offset:40
	s_waitcnt vmcnt(0)
	v_readfirstlane_b32 s10, v2
	v_readfirstlane_b32 s11, v3
	s_and_b64 s[10:11], s[10:11], s[6:7]
	s_mul_i32 s11, s11, 24
	s_mul_hi_u32 s16, s10, 24
	s_mul_i32 s10, s10, 24
	s_add_i32 s16, s16, s11
	v_add_co_u32 v4, vcc_lo, v0, s10
	v_add_co_ci_u32_e32 v5, vcc_lo, s16, v1, vcc_lo
	s_mov_b32 s10, exec_lo
	global_store_dwordx2 v[4:5], v[14:15], off
	s_waitcnt_vscnt null, 0x0
	global_atomic_cmpswap_x2 v[2:3], v6, v[12:15], s[26:27] offset:32 glc
	s_waitcnt vmcnt(0)
	v_cmpx_ne_u64_e64 v[2:3], v[14:15]
	s_cbranch_execz .LBB5_122
; %bb.120:
	s_mov_b32 s11, 0
.LBB5_121:                              ; =>This Inner Loop Header: Depth=1
	v_mov_b32_e32 v0, s6
	v_mov_b32_e32 v1, s7
	s_sleep 1
	global_store_dwordx2 v[4:5], v[2:3], off
	s_waitcnt_vscnt null, 0x0
	global_atomic_cmpswap_x2 v[0:1], v6, v[0:3], s[26:27] offset:32 glc
	s_waitcnt vmcnt(0)
	v_cmp_eq_u64_e32 vcc_lo, v[0:1], v[2:3]
	v_mov_b32_e32 v3, v1
	v_mov_b32_e32 v2, v0
	s_or_b32 s11, vcc_lo, s11
	s_andn2_b32 exec_lo, exec_lo, s11
	s_cbranch_execnz .LBB5_121
.LBB5_122:
	s_or_b32 exec_lo, exec_lo, s10
	v_mov_b32_e32 v3, 0
	s_mov_b32 s11, exec_lo
	s_mov_b32 s10, exec_lo
	v_mbcnt_lo_u32_b32 v2, s11, 0
	global_load_dwordx2 v[0:1], v3, s[26:27] offset:16
	v_cmpx_eq_u32_e32 0, v2
	s_cbranch_execz .LBB5_124
; %bb.123:
	s_bcnt1_i32_b32 s11, s11
	v_mov_b32_e32 v2, s11
	s_waitcnt vmcnt(0)
	global_atomic_add_x2 v[0:1], v[2:3], off offset:8
.LBB5_124:
	s_or_b32 exec_lo, exec_lo, s10
	s_waitcnt vmcnt(0)
	global_load_dwordx2 v[2:3], v[0:1], off offset:16
	s_waitcnt vmcnt(0)
	v_cmp_eq_u64_e32 vcc_lo, 0, v[2:3]
	s_cbranch_vccnz .LBB5_126
; %bb.125:
	global_load_dword v0, v[0:1], off offset:24
	v_mov_b32_e32 v1, 0
	s_waitcnt vmcnt(0)
	v_and_b32_e32 v4, 0x7fffff, v0
	s_waitcnt_vscnt null, 0x0
	global_store_dwordx2 v[2:3], v[0:1], off
	v_readfirstlane_b32 m0, v4
	s_sendmsg sendmsg(MSG_INTERRUPT)
.LBB5_126:
	s_or_b32 exec_lo, exec_lo, s5
	s_branch .LBB5_130
	.p2align	6
.LBB5_127:                              ;   in Loop: Header=BB5_130 Depth=1
	s_or_b32 exec_lo, exec_lo, s5
	v_readfirstlane_b32 s5, v0
	s_cmp_eq_u32 s5, 0
	s_cbranch_scc1 .LBB5_129
; %bb.128:                              ;   in Loop: Header=BB5_130 Depth=1
	s_sleep 1
	s_cbranch_execnz .LBB5_130
	s_branch .LBB5_132
	.p2align	6
.LBB5_129:
	s_branch .LBB5_132
.LBB5_130:                              ; =>This Inner Loop Header: Depth=1
	v_mov_b32_e32 v0, 1
	s_and_saveexec_b32 s5, s4
	s_cbranch_execz .LBB5_127
; %bb.131:                              ;   in Loop: Header=BB5_130 Depth=1
	global_load_dword v0, v[8:9], off offset:20 glc dlc
	s_waitcnt vmcnt(0)
	buffer_gl1_inv
	buffer_gl0_inv
	v_and_b32_e32 v0, 1, v0
	s_branch .LBB5_127
.LBB5_132:
	global_load_dwordx2 v[0:1], v[10:11], off
	s_and_saveexec_b32 s5, s4
	s_cbranch_execz .LBB5_136
; %bb.133:
	v_mov_b32_e32 v8, 0
	s_clause 0x2
	global_load_dwordx2 v[4:5], v8, s[26:27] offset:40
	global_load_dwordx2 v[9:10], v8, s[26:27] offset:24 glc dlc
	global_load_dwordx2 v[6:7], v8, s[26:27]
	s_waitcnt vmcnt(2)
	v_add_co_u32 v11, vcc_lo, v4, 1
	v_add_co_ci_u32_e32 v12, vcc_lo, 0, v5, vcc_lo
	v_add_co_u32 v2, vcc_lo, v11, s6
	v_add_co_ci_u32_e32 v3, vcc_lo, s7, v12, vcc_lo
	v_cmp_eq_u64_e32 vcc_lo, 0, v[2:3]
	v_cndmask_b32_e32 v3, v3, v12, vcc_lo
	v_cndmask_b32_e32 v2, v2, v11, vcc_lo
	v_and_b32_e32 v5, v3, v5
	v_and_b32_e32 v4, v2, v4
	v_mul_lo_u32 v5, v5, 24
	v_mul_hi_u32 v11, v4, 24
	v_mul_lo_u32 v4, v4, 24
	v_add_nc_u32_e32 v5, v11, v5
	s_waitcnt vmcnt(0)
	v_add_co_u32 v6, vcc_lo, v6, v4
	v_mov_b32_e32 v4, v9
	v_add_co_ci_u32_e32 v7, vcc_lo, v7, v5, vcc_lo
	v_mov_b32_e32 v5, v10
	global_store_dwordx2 v[6:7], v[9:10], off
	s_waitcnt_vscnt null, 0x0
	global_atomic_cmpswap_x2 v[4:5], v8, v[2:5], s[26:27] offset:24 glc
	s_waitcnt vmcnt(0)
	v_cmp_ne_u64_e32 vcc_lo, v[4:5], v[9:10]
	s_and_b32 exec_lo, exec_lo, vcc_lo
	s_cbranch_execz .LBB5_136
; %bb.134:
	s_mov_b32 s4, 0
.LBB5_135:                              ; =>This Inner Loop Header: Depth=1
	s_sleep 1
	global_store_dwordx2 v[6:7], v[4:5], off
	s_waitcnt_vscnt null, 0x0
	global_atomic_cmpswap_x2 v[9:10], v8, v[2:5], s[26:27] offset:24 glc
	s_waitcnt vmcnt(0)
	v_cmp_eq_u64_e32 vcc_lo, v[9:10], v[4:5]
	v_mov_b32_e32 v4, v9
	v_mov_b32_e32 v5, v10
	s_or_b32 s4, vcc_lo, s4
	s_andn2_b32 exec_lo, exec_lo, s4
	s_cbranch_execnz .LBB5_135
.LBB5_136:
	s_or_b32 exec_lo, exec_lo, s5
.LBB5_137:
	s_getpc_b64 s[6:7]
	s_add_u32 s6, s6, __PRETTY_FUNCTION__._ZL23upper_bound_all_smallerRN8migraphx4test12test_managerE@rel32@lo+4
	s_addc_u32 s7, s7, __PRETTY_FUNCTION__._ZL23upper_bound_all_smallerRN8migraphx4test12test_managerE@rel32@hi+12
	s_cmp_lg_u64 s[6:7], 0
	s_cbranch_scc0 .LBB5_216
; %bb.138:
	s_waitcnt vmcnt(0)
	v_and_b32_e32 v6, -3, v0
	v_mov_b32_e32 v7, v1
	v_mov_b32_e32 v3, 0
	;; [unrolled: 1-line block ×4, first 2 shown]
	s_mov_b64 s[10:11], 61
	s_branch .LBB5_140
.LBB5_139:                              ;   in Loop: Header=BB5_140 Depth=1
	s_or_b32 exec_lo, exec_lo, s5
	s_sub_u32 s10, s10, s16
	s_subb_u32 s11, s11, s17
	s_add_u32 s6, s6, s16
	s_addc_u32 s7, s7, s17
	s_cmp_lg_u64 s[10:11], 0
	s_cbranch_scc0 .LBB5_215
.LBB5_140:                              ; =>This Loop Header: Depth=1
                                        ;     Child Loop BB5_149 Depth 2
                                        ;     Child Loop BB5_145 Depth 2
	;; [unrolled: 1-line block ×11, first 2 shown]
	v_cmp_lt_u64_e64 s4, s[10:11], 56
	v_cmp_gt_u64_e64 s5, s[10:11], 7
                                        ; implicit-def: $sgpr22
	s_and_b32 s4, s4, exec_lo
	s_cselect_b32 s17, s11, 0
	s_cselect_b32 s16, s10, 56
	s_and_b32 vcc_lo, exec_lo, s5
	s_mov_b32 s4, -1
	s_cbranch_vccz .LBB5_147
; %bb.141:                              ;   in Loop: Header=BB5_140 Depth=1
	s_andn2_b32 vcc_lo, exec_lo, s4
	s_mov_b64 s[4:5], s[6:7]
	s_cbranch_vccz .LBB5_151
.LBB5_142:                              ;   in Loop: Header=BB5_140 Depth=1
	s_cmp_gt_u32 s22, 7
	s_cbranch_scc1 .LBB5_152
.LBB5_143:                              ;   in Loop: Header=BB5_140 Depth=1
	v_mov_b32_e32 v10, 0
	v_mov_b32_e32 v11, 0
	s_cmp_eq_u32 s22, 0
	s_cbranch_scc1 .LBB5_146
; %bb.144:                              ;   in Loop: Header=BB5_140 Depth=1
	s_mov_b64 s[18:19], 0
	s_mov_b64 s[20:21], 0
.LBB5_145:                              ;   Parent Loop BB5_140 Depth=1
                                        ; =>  This Inner Loop Header: Depth=2
	s_add_u32 s24, s4, s20
	s_addc_u32 s25, s5, s21
	s_add_u32 s20, s20, 1
	global_load_ubyte v2, v3, s[24:25]
	s_addc_u32 s21, s21, 0
	s_waitcnt vmcnt(0)
	v_and_b32_e32 v2, 0xffff, v2
	v_lshlrev_b64 v[12:13], s18, v[2:3]
	s_add_u32 s18, s18, 8
	s_addc_u32 s19, s19, 0
	s_cmp_lg_u32 s22, s20
	v_or_b32_e32 v10, v12, v10
	v_or_b32_e32 v11, v13, v11
	s_cbranch_scc1 .LBB5_145
.LBB5_146:                              ;   in Loop: Header=BB5_140 Depth=1
	s_mov_b32 s23, 0
	s_cbranch_execz .LBB5_153
	s_branch .LBB5_154
.LBB5_147:                              ;   in Loop: Header=BB5_140 Depth=1
	s_waitcnt vmcnt(0)
	v_mov_b32_e32 v8, 0
	v_mov_b32_e32 v9, 0
	s_cmp_eq_u64 s[10:11], 0
	s_mov_b64 s[4:5], 0
	s_cbranch_scc1 .LBB5_150
; %bb.148:                              ;   in Loop: Header=BB5_140 Depth=1
	v_mov_b32_e32 v8, 0
	v_mov_b32_e32 v9, 0
	s_lshl_b64 s[18:19], s[16:17], 3
	s_mov_b64 s[20:21], s[6:7]
.LBB5_149:                              ;   Parent Loop BB5_140 Depth=1
                                        ; =>  This Inner Loop Header: Depth=2
	global_load_ubyte v2, v3, s[20:21]
	s_waitcnt vmcnt(0)
	v_and_b32_e32 v2, 0xffff, v2
	v_lshlrev_b64 v[10:11], s4, v[2:3]
	s_add_u32 s4, s4, 8
	s_addc_u32 s5, s5, 0
	s_add_u32 s20, s20, 1
	s_addc_u32 s21, s21, 0
	s_cmp_lg_u32 s18, s4
	v_or_b32_e32 v8, v10, v8
	v_or_b32_e32 v9, v11, v9
	s_cbranch_scc1 .LBB5_149
.LBB5_150:                              ;   in Loop: Header=BB5_140 Depth=1
	s_mov_b32 s22, 0
	s_mov_b64 s[4:5], s[6:7]
	s_cbranch_execnz .LBB5_142
.LBB5_151:                              ;   in Loop: Header=BB5_140 Depth=1
	global_load_dwordx2 v[8:9], v3, s[6:7]
	s_add_i32 s22, s16, -8
	s_add_u32 s4, s6, 8
	s_addc_u32 s5, s7, 0
	s_cmp_gt_u32 s22, 7
	s_cbranch_scc0 .LBB5_143
.LBB5_152:                              ;   in Loop: Header=BB5_140 Depth=1
                                        ; implicit-def: $vgpr10_vgpr11
                                        ; implicit-def: $sgpr23
.LBB5_153:                              ;   in Loop: Header=BB5_140 Depth=1
	global_load_dwordx2 v[10:11], v3, s[4:5]
	s_add_i32 s23, s22, -8
	s_add_u32 s4, s4, 8
	s_addc_u32 s5, s5, 0
.LBB5_154:                              ;   in Loop: Header=BB5_140 Depth=1
	s_cmp_gt_u32 s23, 7
	s_cbranch_scc1 .LBB5_159
; %bb.155:                              ;   in Loop: Header=BB5_140 Depth=1
	v_mov_b32_e32 v12, 0
	v_mov_b32_e32 v13, 0
	s_cmp_eq_u32 s23, 0
	s_cbranch_scc1 .LBB5_158
; %bb.156:                              ;   in Loop: Header=BB5_140 Depth=1
	s_mov_b64 s[18:19], 0
	s_mov_b64 s[20:21], 0
.LBB5_157:                              ;   Parent Loop BB5_140 Depth=1
                                        ; =>  This Inner Loop Header: Depth=2
	s_add_u32 s24, s4, s20
	s_addc_u32 s25, s5, s21
	s_add_u32 s20, s20, 1
	global_load_ubyte v2, v3, s[24:25]
	s_addc_u32 s21, s21, 0
	s_waitcnt vmcnt(0)
	v_and_b32_e32 v2, 0xffff, v2
	v_lshlrev_b64 v[14:15], s18, v[2:3]
	s_add_u32 s18, s18, 8
	s_addc_u32 s19, s19, 0
	s_cmp_lg_u32 s23, s20
	v_or_b32_e32 v12, v14, v12
	v_or_b32_e32 v13, v15, v13
	s_cbranch_scc1 .LBB5_157
.LBB5_158:                              ;   in Loop: Header=BB5_140 Depth=1
	s_mov_b32 s22, 0
	s_cbranch_execz .LBB5_160
	s_branch .LBB5_161
.LBB5_159:                              ;   in Loop: Header=BB5_140 Depth=1
                                        ; implicit-def: $sgpr22
.LBB5_160:                              ;   in Loop: Header=BB5_140 Depth=1
	global_load_dwordx2 v[12:13], v3, s[4:5]
	s_add_i32 s22, s23, -8
	s_add_u32 s4, s4, 8
	s_addc_u32 s5, s5, 0
.LBB5_161:                              ;   in Loop: Header=BB5_140 Depth=1
	s_cmp_gt_u32 s22, 7
	s_cbranch_scc1 .LBB5_166
; %bb.162:                              ;   in Loop: Header=BB5_140 Depth=1
	v_mov_b32_e32 v14, 0
	v_mov_b32_e32 v15, 0
	s_cmp_eq_u32 s22, 0
	s_cbranch_scc1 .LBB5_165
; %bb.163:                              ;   in Loop: Header=BB5_140 Depth=1
	s_mov_b64 s[18:19], 0
	s_mov_b64 s[20:21], 0
.LBB5_164:                              ;   Parent Loop BB5_140 Depth=1
                                        ; =>  This Inner Loop Header: Depth=2
	s_add_u32 s24, s4, s20
	s_addc_u32 s25, s5, s21
	s_add_u32 s20, s20, 1
	global_load_ubyte v2, v3, s[24:25]
	s_addc_u32 s21, s21, 0
	s_waitcnt vmcnt(0)
	v_and_b32_e32 v2, 0xffff, v2
	v_lshlrev_b64 v[16:17], s18, v[2:3]
	s_add_u32 s18, s18, 8
	s_addc_u32 s19, s19, 0
	s_cmp_lg_u32 s22, s20
	v_or_b32_e32 v14, v16, v14
	v_or_b32_e32 v15, v17, v15
	s_cbranch_scc1 .LBB5_164
.LBB5_165:                              ;   in Loop: Header=BB5_140 Depth=1
	s_mov_b32 s23, 0
	s_cbranch_execz .LBB5_167
	s_branch .LBB5_168
.LBB5_166:                              ;   in Loop: Header=BB5_140 Depth=1
                                        ; implicit-def: $vgpr14_vgpr15
                                        ; implicit-def: $sgpr23
.LBB5_167:                              ;   in Loop: Header=BB5_140 Depth=1
	global_load_dwordx2 v[14:15], v3, s[4:5]
	s_add_i32 s23, s22, -8
	s_add_u32 s4, s4, 8
	s_addc_u32 s5, s5, 0
.LBB5_168:                              ;   in Loop: Header=BB5_140 Depth=1
	s_cmp_gt_u32 s23, 7
	s_cbranch_scc1 .LBB5_173
; %bb.169:                              ;   in Loop: Header=BB5_140 Depth=1
	v_mov_b32_e32 v16, 0
	v_mov_b32_e32 v17, 0
	s_cmp_eq_u32 s23, 0
	s_cbranch_scc1 .LBB5_172
; %bb.170:                              ;   in Loop: Header=BB5_140 Depth=1
	s_mov_b64 s[18:19], 0
	s_mov_b64 s[20:21], 0
.LBB5_171:                              ;   Parent Loop BB5_140 Depth=1
                                        ; =>  This Inner Loop Header: Depth=2
	s_add_u32 s24, s4, s20
	s_addc_u32 s25, s5, s21
	s_add_u32 s20, s20, 1
	global_load_ubyte v2, v3, s[24:25]
	s_addc_u32 s21, s21, 0
	s_waitcnt vmcnt(0)
	v_and_b32_e32 v2, 0xffff, v2
	v_lshlrev_b64 v[18:19], s18, v[2:3]
	s_add_u32 s18, s18, 8
	s_addc_u32 s19, s19, 0
	s_cmp_lg_u32 s23, s20
	v_or_b32_e32 v16, v18, v16
	v_or_b32_e32 v17, v19, v17
	s_cbranch_scc1 .LBB5_171
.LBB5_172:                              ;   in Loop: Header=BB5_140 Depth=1
	s_mov_b32 s22, 0
	s_cbranch_execz .LBB5_174
	s_branch .LBB5_175
.LBB5_173:                              ;   in Loop: Header=BB5_140 Depth=1
                                        ; implicit-def: $sgpr22
.LBB5_174:                              ;   in Loop: Header=BB5_140 Depth=1
	global_load_dwordx2 v[16:17], v3, s[4:5]
	s_add_i32 s22, s23, -8
	s_add_u32 s4, s4, 8
	s_addc_u32 s5, s5, 0
.LBB5_175:                              ;   in Loop: Header=BB5_140 Depth=1
	s_cmp_gt_u32 s22, 7
	s_cbranch_scc1 .LBB5_180
; %bb.176:                              ;   in Loop: Header=BB5_140 Depth=1
	v_mov_b32_e32 v18, 0
	v_mov_b32_e32 v19, 0
	s_cmp_eq_u32 s22, 0
	s_cbranch_scc1 .LBB5_179
; %bb.177:                              ;   in Loop: Header=BB5_140 Depth=1
	s_mov_b64 s[18:19], 0
	s_mov_b64 s[20:21], 0
.LBB5_178:                              ;   Parent Loop BB5_140 Depth=1
                                        ; =>  This Inner Loop Header: Depth=2
	s_add_u32 s24, s4, s20
	s_addc_u32 s25, s5, s21
	s_add_u32 s20, s20, 1
	global_load_ubyte v2, v3, s[24:25]
	s_addc_u32 s21, s21, 0
	s_waitcnt vmcnt(0)
	v_and_b32_e32 v2, 0xffff, v2
	v_lshlrev_b64 v[20:21], s18, v[2:3]
	s_add_u32 s18, s18, 8
	s_addc_u32 s19, s19, 0
	s_cmp_lg_u32 s22, s20
	v_or_b32_e32 v18, v20, v18
	v_or_b32_e32 v19, v21, v19
	s_cbranch_scc1 .LBB5_178
.LBB5_179:                              ;   in Loop: Header=BB5_140 Depth=1
	s_mov_b32 s23, 0
	s_cbranch_execz .LBB5_181
	s_branch .LBB5_182
.LBB5_180:                              ;   in Loop: Header=BB5_140 Depth=1
                                        ; implicit-def: $vgpr18_vgpr19
                                        ; implicit-def: $sgpr23
.LBB5_181:                              ;   in Loop: Header=BB5_140 Depth=1
	global_load_dwordx2 v[18:19], v3, s[4:5]
	s_add_i32 s23, s22, -8
	s_add_u32 s4, s4, 8
	s_addc_u32 s5, s5, 0
.LBB5_182:                              ;   in Loop: Header=BB5_140 Depth=1
	s_cmp_gt_u32 s23, 7
	s_cbranch_scc1 .LBB5_187
; %bb.183:                              ;   in Loop: Header=BB5_140 Depth=1
	v_mov_b32_e32 v20, 0
	v_mov_b32_e32 v21, 0
	s_cmp_eq_u32 s23, 0
	s_cbranch_scc1 .LBB5_186
; %bb.184:                              ;   in Loop: Header=BB5_140 Depth=1
	s_mov_b64 s[18:19], 0
	s_mov_b64 s[20:21], s[4:5]
.LBB5_185:                              ;   Parent Loop BB5_140 Depth=1
                                        ; =>  This Inner Loop Header: Depth=2
	global_load_ubyte v2, v3, s[20:21]
	s_add_i32 s23, s23, -1
	s_waitcnt vmcnt(0)
	v_and_b32_e32 v2, 0xffff, v2
	v_lshlrev_b64 v[22:23], s18, v[2:3]
	s_add_u32 s18, s18, 8
	s_addc_u32 s19, s19, 0
	s_add_u32 s20, s20, 1
	s_addc_u32 s21, s21, 0
	s_cmp_lg_u32 s23, 0
	v_or_b32_e32 v20, v22, v20
	v_or_b32_e32 v21, v23, v21
	s_cbranch_scc1 .LBB5_185
.LBB5_186:                              ;   in Loop: Header=BB5_140 Depth=1
	s_cbranch_execz .LBB5_188
	s_branch .LBB5_189
.LBB5_187:                              ;   in Loop: Header=BB5_140 Depth=1
.LBB5_188:                              ;   in Loop: Header=BB5_140 Depth=1
	global_load_dwordx2 v[20:21], v3, s[4:5]
.LBB5_189:                              ;   in Loop: Header=BB5_140 Depth=1
	v_readfirstlane_b32 s4, v48
	v_mov_b32_e32 v26, 0
	v_mov_b32_e32 v27, 0
	v_cmp_eq_u32_e64 s4, s4, v48
	s_and_saveexec_b32 s5, s4
	s_cbranch_execz .LBB5_195
; %bb.190:                              ;   in Loop: Header=BB5_140 Depth=1
	global_load_dwordx2 v[24:25], v3, s[26:27] offset:24 glc dlc
	s_waitcnt vmcnt(0)
	buffer_gl1_inv
	buffer_gl0_inv
	s_clause 0x1
	global_load_dwordx2 v[22:23], v3, s[26:27] offset:40
	global_load_dwordx2 v[26:27], v3, s[26:27]
	s_mov_b32 s18, exec_lo
	s_waitcnt vmcnt(1)
	v_and_b32_e32 v2, v23, v25
	v_and_b32_e32 v22, v22, v24
	v_mul_lo_u32 v2, v2, 24
	v_mul_hi_u32 v23, v22, 24
	v_mul_lo_u32 v22, v22, 24
	v_add_nc_u32_e32 v2, v23, v2
	s_waitcnt vmcnt(0)
	v_add_co_u32 v22, vcc_lo, v26, v22
	v_add_co_ci_u32_e32 v23, vcc_lo, v27, v2, vcc_lo
	global_load_dwordx2 v[22:23], v[22:23], off glc dlc
	s_waitcnt vmcnt(0)
	global_atomic_cmpswap_x2 v[26:27], v3, v[22:25], s[26:27] offset:24 glc
	s_waitcnt vmcnt(0)
	buffer_gl1_inv
	buffer_gl0_inv
	v_cmpx_ne_u64_e64 v[26:27], v[24:25]
	s_cbranch_execz .LBB5_194
; %bb.191:                              ;   in Loop: Header=BB5_140 Depth=1
	s_mov_b32 s19, 0
	.p2align	6
.LBB5_192:                              ;   Parent Loop BB5_140 Depth=1
                                        ; =>  This Inner Loop Header: Depth=2
	s_sleep 1
	s_clause 0x1
	global_load_dwordx2 v[22:23], v3, s[26:27] offset:40
	global_load_dwordx2 v[28:29], v3, s[26:27]
	v_mov_b32_e32 v24, v26
	v_mov_b32_e32 v25, v27
	s_waitcnt vmcnt(1)
	v_and_b32_e32 v2, v22, v24
	v_and_b32_e32 v22, v23, v25
	s_waitcnt vmcnt(0)
	v_mad_u64_u32 v[26:27], null, v2, 24, v[28:29]
	v_mov_b32_e32 v2, v27
	v_mad_u64_u32 v[22:23], null, v22, 24, v[2:3]
	v_mov_b32_e32 v27, v22
	global_load_dwordx2 v[22:23], v[26:27], off glc dlc
	s_waitcnt vmcnt(0)
	global_atomic_cmpswap_x2 v[26:27], v3, v[22:25], s[26:27] offset:24 glc
	s_waitcnt vmcnt(0)
	buffer_gl1_inv
	buffer_gl0_inv
	v_cmp_eq_u64_e32 vcc_lo, v[26:27], v[24:25]
	s_or_b32 s19, vcc_lo, s19
	s_andn2_b32 exec_lo, exec_lo, s19
	s_cbranch_execnz .LBB5_192
; %bb.193:                              ;   in Loop: Header=BB5_140 Depth=1
	s_or_b32 exec_lo, exec_lo, s19
.LBB5_194:                              ;   in Loop: Header=BB5_140 Depth=1
	s_or_b32 exec_lo, exec_lo, s18
.LBB5_195:                              ;   in Loop: Header=BB5_140 Depth=1
	s_or_b32 exec_lo, exec_lo, s5
	s_clause 0x1
	global_load_dwordx2 v[28:29], v3, s[26:27] offset:40
	global_load_dwordx4 v[22:25], v3, s[26:27]
	v_readfirstlane_b32 s18, v26
	v_readfirstlane_b32 s19, v27
	s_mov_b32 s5, exec_lo
	s_waitcnt vmcnt(1)
	v_readfirstlane_b32 s20, v28
	v_readfirstlane_b32 s21, v29
	s_and_b64 s[20:21], s[18:19], s[20:21]
	s_mul_i32 s22, s21, 24
	s_mul_hi_u32 s23, s20, 24
	s_mul_i32 s24, s20, 24
	s_add_i32 s23, s23, s22
	s_waitcnt vmcnt(0)
	v_add_co_u32 v26, vcc_lo, v22, s24
	v_add_co_ci_u32_e32 v27, vcc_lo, s23, v23, vcc_lo
	s_and_saveexec_b32 s22, s4
	s_cbranch_execz .LBB5_197
; %bb.196:                              ;   in Loop: Header=BB5_140 Depth=1
	v_mov_b32_e32 v2, s5
	global_store_dwordx4 v[26:27], v[2:5], off offset:8
.LBB5_197:                              ;   in Loop: Header=BB5_140 Depth=1
	s_or_b32 exec_lo, exec_lo, s22
	s_lshl_b64 s[20:21], s[20:21], 12
	v_or_b32_e32 v2, 2, v6
	v_add_co_u32 v24, vcc_lo, v24, s20
	v_add_co_ci_u32_e32 v25, vcc_lo, s21, v25, vcc_lo
	v_cmp_gt_u64_e64 vcc_lo, s[10:11], 56
	s_lshl_b32 s5, s16, 2
	v_readfirstlane_b32 s20, v24
	s_add_i32 s5, s5, 28
	v_readfirstlane_b32 s21, v25
	s_and_b32 s5, s5, 0x1e0
	v_cndmask_b32_e32 v2, v2, v6, vcc_lo
	v_and_or_b32 v6, 0xffffff1f, v2, s5
	global_store_dwordx4 v39, v[10:13], s[20:21] offset:16
	global_store_dwordx4 v39, v[6:9], s[20:21]
	global_store_dwordx4 v39, v[14:17], s[20:21] offset:32
	global_store_dwordx4 v39, v[18:21], s[20:21] offset:48
	s_and_saveexec_b32 s5, s4
	s_cbranch_execz .LBB5_205
; %bb.198:                              ;   in Loop: Header=BB5_140 Depth=1
	s_clause 0x1
	global_load_dwordx2 v[14:15], v3, s[26:27] offset:32 glc dlc
	global_load_dwordx2 v[6:7], v3, s[26:27] offset:40
	v_mov_b32_e32 v12, s18
	v_mov_b32_e32 v13, s19
	s_waitcnt vmcnt(0)
	v_readfirstlane_b32 s20, v6
	v_readfirstlane_b32 s21, v7
	s_and_b64 s[20:21], s[20:21], s[18:19]
	s_mul_i32 s21, s21, 24
	s_mul_hi_u32 s22, s20, 24
	s_mul_i32 s20, s20, 24
	s_add_i32 s22, s22, s21
	v_add_co_u32 v10, vcc_lo, v22, s20
	v_add_co_ci_u32_e32 v11, vcc_lo, s22, v23, vcc_lo
	s_mov_b32 s20, exec_lo
	global_store_dwordx2 v[10:11], v[14:15], off
	s_waitcnt_vscnt null, 0x0
	global_atomic_cmpswap_x2 v[8:9], v3, v[12:15], s[26:27] offset:32 glc
	s_waitcnt vmcnt(0)
	v_cmpx_ne_u64_e64 v[8:9], v[14:15]
	s_cbranch_execz .LBB5_201
; %bb.199:                              ;   in Loop: Header=BB5_140 Depth=1
	s_mov_b32 s21, 0
.LBB5_200:                              ;   Parent Loop BB5_140 Depth=1
                                        ; =>  This Inner Loop Header: Depth=2
	v_mov_b32_e32 v6, s18
	v_mov_b32_e32 v7, s19
	s_sleep 1
	global_store_dwordx2 v[10:11], v[8:9], off
	s_waitcnt_vscnt null, 0x0
	global_atomic_cmpswap_x2 v[6:7], v3, v[6:9], s[26:27] offset:32 glc
	s_waitcnt vmcnt(0)
	v_cmp_eq_u64_e32 vcc_lo, v[6:7], v[8:9]
	v_mov_b32_e32 v9, v7
	v_mov_b32_e32 v8, v6
	s_or_b32 s21, vcc_lo, s21
	s_andn2_b32 exec_lo, exec_lo, s21
	s_cbranch_execnz .LBB5_200
.LBB5_201:                              ;   in Loop: Header=BB5_140 Depth=1
	s_or_b32 exec_lo, exec_lo, s20
	global_load_dwordx2 v[6:7], v3, s[26:27] offset:16
	s_mov_b32 s21, exec_lo
	s_mov_b32 s20, exec_lo
	v_mbcnt_lo_u32_b32 v2, s21, 0
	v_cmpx_eq_u32_e32 0, v2
	s_cbranch_execz .LBB5_203
; %bb.202:                              ;   in Loop: Header=BB5_140 Depth=1
	s_bcnt1_i32_b32 s21, s21
	v_mov_b32_e32 v2, s21
	s_waitcnt vmcnt(0)
	global_atomic_add_x2 v[6:7], v[2:3], off offset:8
.LBB5_203:                              ;   in Loop: Header=BB5_140 Depth=1
	s_or_b32 exec_lo, exec_lo, s20
	s_waitcnt vmcnt(0)
	global_load_dwordx2 v[8:9], v[6:7], off offset:16
	s_waitcnt vmcnt(0)
	v_cmp_eq_u64_e32 vcc_lo, 0, v[8:9]
	s_cbranch_vccnz .LBB5_205
; %bb.204:                              ;   in Loop: Header=BB5_140 Depth=1
	global_load_dword v2, v[6:7], off offset:24
	s_waitcnt vmcnt(0)
	v_and_b32_e32 v6, 0x7fffff, v2
	s_waitcnt_vscnt null, 0x0
	global_store_dwordx2 v[8:9], v[2:3], off
	v_readfirstlane_b32 m0, v6
	s_sendmsg sendmsg(MSG_INTERRUPT)
.LBB5_205:                              ;   in Loop: Header=BB5_140 Depth=1
	s_or_b32 exec_lo, exec_lo, s5
	v_add_co_u32 v6, vcc_lo, v24, v39
	v_add_co_ci_u32_e32 v7, vcc_lo, 0, v25, vcc_lo
	s_branch .LBB5_209
	.p2align	6
.LBB5_206:                              ;   in Loop: Header=BB5_209 Depth=2
	s_or_b32 exec_lo, exec_lo, s5
	v_readfirstlane_b32 s5, v2
	s_cmp_eq_u32 s5, 0
	s_cbranch_scc1 .LBB5_208
; %bb.207:                              ;   in Loop: Header=BB5_209 Depth=2
	s_sleep 1
	s_cbranch_execnz .LBB5_209
	s_branch .LBB5_211
	.p2align	6
.LBB5_208:                              ;   in Loop: Header=BB5_140 Depth=1
	s_branch .LBB5_211
.LBB5_209:                              ;   Parent Loop BB5_140 Depth=1
                                        ; =>  This Inner Loop Header: Depth=2
	v_mov_b32_e32 v2, 1
	s_and_saveexec_b32 s5, s4
	s_cbranch_execz .LBB5_206
; %bb.210:                              ;   in Loop: Header=BB5_209 Depth=2
	global_load_dword v2, v[26:27], off offset:20 glc dlc
	s_waitcnt vmcnt(0)
	buffer_gl1_inv
	buffer_gl0_inv
	v_and_b32_e32 v2, 1, v2
	s_branch .LBB5_206
.LBB5_211:                              ;   in Loop: Header=BB5_140 Depth=1
	global_load_dwordx4 v[6:9], v[6:7], off
	s_and_saveexec_b32 s5, s4
	s_cbranch_execz .LBB5_139
; %bb.212:                              ;   in Loop: Header=BB5_140 Depth=1
	s_clause 0x2
	global_load_dwordx2 v[10:11], v3, s[26:27] offset:40
	global_load_dwordx2 v[14:15], v3, s[26:27] offset:24 glc dlc
	global_load_dwordx2 v[12:13], v3, s[26:27]
	s_waitcnt vmcnt(2)
	v_add_co_u32 v2, vcc_lo, v10, 1
	v_add_co_ci_u32_e32 v16, vcc_lo, 0, v11, vcc_lo
	v_add_co_u32 v8, vcc_lo, v2, s18
	v_add_co_ci_u32_e32 v9, vcc_lo, s19, v16, vcc_lo
	v_cmp_eq_u64_e32 vcc_lo, 0, v[8:9]
	v_cndmask_b32_e32 v9, v9, v16, vcc_lo
	v_cndmask_b32_e32 v8, v8, v2, vcc_lo
	v_and_b32_e32 v2, v9, v11
	v_and_b32_e32 v10, v8, v10
	v_mul_lo_u32 v2, v2, 24
	v_mul_hi_u32 v11, v10, 24
	v_mul_lo_u32 v10, v10, 24
	v_add_nc_u32_e32 v2, v11, v2
	s_waitcnt vmcnt(0)
	v_add_co_u32 v12, vcc_lo, v12, v10
	v_mov_b32_e32 v10, v14
	v_mov_b32_e32 v11, v15
	v_add_co_ci_u32_e32 v13, vcc_lo, v13, v2, vcc_lo
	global_store_dwordx2 v[12:13], v[14:15], off
	s_waitcnt_vscnt null, 0x0
	global_atomic_cmpswap_x2 v[10:11], v3, v[8:11], s[26:27] offset:24 glc
	s_waitcnt vmcnt(0)
	v_cmp_ne_u64_e32 vcc_lo, v[10:11], v[14:15]
	s_and_b32 exec_lo, exec_lo, vcc_lo
	s_cbranch_execz .LBB5_139
; %bb.213:                              ;   in Loop: Header=BB5_140 Depth=1
	s_mov_b32 s4, 0
.LBB5_214:                              ;   Parent Loop BB5_140 Depth=1
                                        ; =>  This Inner Loop Header: Depth=2
	s_sleep 1
	global_store_dwordx2 v[12:13], v[10:11], off
	s_waitcnt_vscnt null, 0x0
	global_atomic_cmpswap_x2 v[14:15], v3, v[8:11], s[26:27] offset:24 glc
	s_waitcnt vmcnt(0)
	v_cmp_eq_u64_e32 vcc_lo, v[14:15], v[10:11]
	v_mov_b32_e32 v10, v14
	v_mov_b32_e32 v11, v15
	s_or_b32 s4, vcc_lo, s4
	s_andn2_b32 exec_lo, exec_lo, s4
	s_cbranch_execnz .LBB5_214
	s_branch .LBB5_139
.LBB5_215:
	s_branch .LBB5_244
.LBB5_216:
	s_cbranch_execz .LBB5_244
; %bb.217:
	v_readfirstlane_b32 s4, v48
	s_waitcnt vmcnt(0)
	v_mov_b32_e32 v8, 0
	v_mov_b32_e32 v9, 0
	v_cmp_eq_u32_e64 s4, s4, v48
	s_and_saveexec_b32 s5, s4
	s_cbranch_execz .LBB5_223
; %bb.218:
	v_mov_b32_e32 v2, 0
	s_mov_b32 s6, exec_lo
	global_load_dwordx2 v[5:6], v2, s[26:27] offset:24 glc dlc
	s_waitcnt vmcnt(0)
	buffer_gl1_inv
	buffer_gl0_inv
	s_clause 0x1
	global_load_dwordx2 v[3:4], v2, s[26:27] offset:40
	global_load_dwordx2 v[7:8], v2, s[26:27]
	s_waitcnt vmcnt(1)
	v_and_b32_e32 v4, v4, v6
	v_and_b32_e32 v3, v3, v5
	v_mul_lo_u32 v4, v4, 24
	v_mul_hi_u32 v9, v3, 24
	v_mul_lo_u32 v3, v3, 24
	v_add_nc_u32_e32 v4, v9, v4
	s_waitcnt vmcnt(0)
	v_add_co_u32 v3, vcc_lo, v7, v3
	v_add_co_ci_u32_e32 v4, vcc_lo, v8, v4, vcc_lo
	global_load_dwordx2 v[3:4], v[3:4], off glc dlc
	s_waitcnt vmcnt(0)
	global_atomic_cmpswap_x2 v[8:9], v2, v[3:6], s[26:27] offset:24 glc
	s_waitcnt vmcnt(0)
	buffer_gl1_inv
	buffer_gl0_inv
	v_cmpx_ne_u64_e64 v[8:9], v[5:6]
	s_cbranch_execz .LBB5_222
; %bb.219:
	s_mov_b32 s7, 0
	.p2align	6
.LBB5_220:                              ; =>This Inner Loop Header: Depth=1
	s_sleep 1
	s_clause 0x1
	global_load_dwordx2 v[3:4], v2, s[26:27] offset:40
	global_load_dwordx2 v[10:11], v2, s[26:27]
	v_mov_b32_e32 v5, v8
	v_mov_b32_e32 v6, v9
	s_waitcnt vmcnt(1)
	v_and_b32_e32 v3, v3, v5
	v_and_b32_e32 v4, v4, v6
	s_waitcnt vmcnt(0)
	v_mad_u64_u32 v[7:8], null, v3, 24, v[10:11]
	v_mov_b32_e32 v3, v8
	v_mad_u64_u32 v[3:4], null, v4, 24, v[3:4]
	v_mov_b32_e32 v8, v3
	global_load_dwordx2 v[3:4], v[7:8], off glc dlc
	s_waitcnt vmcnt(0)
	global_atomic_cmpswap_x2 v[8:9], v2, v[3:6], s[26:27] offset:24 glc
	s_waitcnt vmcnt(0)
	buffer_gl1_inv
	buffer_gl0_inv
	v_cmp_eq_u64_e32 vcc_lo, v[8:9], v[5:6]
	s_or_b32 s7, vcc_lo, s7
	s_andn2_b32 exec_lo, exec_lo, s7
	s_cbranch_execnz .LBB5_220
; %bb.221:
	s_or_b32 exec_lo, exec_lo, s7
.LBB5_222:
	s_or_b32 exec_lo, exec_lo, s6
.LBB5_223:
	s_or_b32 exec_lo, exec_lo, s5
	v_mov_b32_e32 v2, 0
	v_readfirstlane_b32 s6, v8
	v_readfirstlane_b32 s7, v9
	s_mov_b32 s5, exec_lo
	s_clause 0x1
	global_load_dwordx2 v[10:11], v2, s[26:27] offset:40
	global_load_dwordx4 v[4:7], v2, s[26:27]
	s_waitcnt vmcnt(1)
	v_readfirstlane_b32 s10, v10
	v_readfirstlane_b32 s11, v11
	s_and_b64 s[10:11], s[6:7], s[10:11]
	s_mul_i32 s16, s11, 24
	s_mul_hi_u32 s17, s10, 24
	s_mul_i32 s18, s10, 24
	s_add_i32 s17, s17, s16
	s_waitcnt vmcnt(0)
	v_add_co_u32 v8, vcc_lo, v4, s18
	v_add_co_ci_u32_e32 v9, vcc_lo, s17, v5, vcc_lo
	s_and_saveexec_b32 s16, s4
	s_cbranch_execz .LBB5_225
; %bb.224:
	v_mov_b32_e32 v10, s5
	v_mov_b32_e32 v11, v2
	;; [unrolled: 1-line block ×4, first 2 shown]
	global_store_dwordx4 v[8:9], v[10:13], off offset:8
.LBB5_225:
	s_or_b32 exec_lo, exec_lo, s16
	s_lshl_b64 s[10:11], s[10:11], 12
	s_mov_b32 s16, 0
	v_add_co_u32 v6, vcc_lo, v6, s10
	v_add_co_ci_u32_e32 v7, vcc_lo, s11, v7, vcc_lo
	s_mov_b32 s17, s16
	s_mov_b32 s18, s16
	;; [unrolled: 1-line block ×3, first 2 shown]
	v_and_or_b32 v0, 0xffffff1d, v0, 34
	v_mov_b32_e32 v3, v2
	v_readfirstlane_b32 s10, v6
	v_readfirstlane_b32 s11, v7
	v_mov_b32_e32 v10, s16
	v_mov_b32_e32 v11, s17
	;; [unrolled: 1-line block ×4, first 2 shown]
	global_store_dwordx4 v39, v[0:3], s[10:11]
	global_store_dwordx4 v39, v[10:13], s[10:11] offset:16
	global_store_dwordx4 v39, v[10:13], s[10:11] offset:32
	;; [unrolled: 1-line block ×3, first 2 shown]
	s_and_saveexec_b32 s5, s4
	s_cbranch_execz .LBB5_233
; %bb.226:
	v_mov_b32_e32 v6, 0
	v_mov_b32_e32 v10, s6
	;; [unrolled: 1-line block ×3, first 2 shown]
	s_clause 0x1
	global_load_dwordx2 v[12:13], v6, s[26:27] offset:32 glc dlc
	global_load_dwordx2 v[0:1], v6, s[26:27] offset:40
	s_waitcnt vmcnt(0)
	v_readfirstlane_b32 s10, v0
	v_readfirstlane_b32 s11, v1
	s_and_b64 s[10:11], s[10:11], s[6:7]
	s_mul_i32 s11, s11, 24
	s_mul_hi_u32 s16, s10, 24
	s_mul_i32 s10, s10, 24
	s_add_i32 s16, s16, s11
	v_add_co_u32 v4, vcc_lo, v4, s10
	v_add_co_ci_u32_e32 v5, vcc_lo, s16, v5, vcc_lo
	s_mov_b32 s10, exec_lo
	global_store_dwordx2 v[4:5], v[12:13], off
	s_waitcnt_vscnt null, 0x0
	global_atomic_cmpswap_x2 v[2:3], v6, v[10:13], s[26:27] offset:32 glc
	s_waitcnt vmcnt(0)
	v_cmpx_ne_u64_e64 v[2:3], v[12:13]
	s_cbranch_execz .LBB5_229
; %bb.227:
	s_mov_b32 s11, 0
.LBB5_228:                              ; =>This Inner Loop Header: Depth=1
	v_mov_b32_e32 v0, s6
	v_mov_b32_e32 v1, s7
	s_sleep 1
	global_store_dwordx2 v[4:5], v[2:3], off
	s_waitcnt_vscnt null, 0x0
	global_atomic_cmpswap_x2 v[0:1], v6, v[0:3], s[26:27] offset:32 glc
	s_waitcnt vmcnt(0)
	v_cmp_eq_u64_e32 vcc_lo, v[0:1], v[2:3]
	v_mov_b32_e32 v3, v1
	v_mov_b32_e32 v2, v0
	s_or_b32 s11, vcc_lo, s11
	s_andn2_b32 exec_lo, exec_lo, s11
	s_cbranch_execnz .LBB5_228
.LBB5_229:
	s_or_b32 exec_lo, exec_lo, s10
	v_mov_b32_e32 v3, 0
	s_mov_b32 s11, exec_lo
	s_mov_b32 s10, exec_lo
	v_mbcnt_lo_u32_b32 v2, s11, 0
	global_load_dwordx2 v[0:1], v3, s[26:27] offset:16
	v_cmpx_eq_u32_e32 0, v2
	s_cbranch_execz .LBB5_231
; %bb.230:
	s_bcnt1_i32_b32 s11, s11
	v_mov_b32_e32 v2, s11
	s_waitcnt vmcnt(0)
	global_atomic_add_x2 v[0:1], v[2:3], off offset:8
.LBB5_231:
	s_or_b32 exec_lo, exec_lo, s10
	s_waitcnt vmcnt(0)
	global_load_dwordx2 v[2:3], v[0:1], off offset:16
	s_waitcnt vmcnt(0)
	v_cmp_eq_u64_e32 vcc_lo, 0, v[2:3]
	s_cbranch_vccnz .LBB5_233
; %bb.232:
	global_load_dword v0, v[0:1], off offset:24
	v_mov_b32_e32 v1, 0
	s_waitcnt vmcnt(0)
	v_and_b32_e32 v4, 0x7fffff, v0
	s_waitcnt_vscnt null, 0x0
	global_store_dwordx2 v[2:3], v[0:1], off
	v_readfirstlane_b32 m0, v4
	s_sendmsg sendmsg(MSG_INTERRUPT)
.LBB5_233:
	s_or_b32 exec_lo, exec_lo, s5
	s_branch .LBB5_237
	.p2align	6
.LBB5_234:                              ;   in Loop: Header=BB5_237 Depth=1
	s_or_b32 exec_lo, exec_lo, s5
	v_readfirstlane_b32 s5, v0
	s_cmp_eq_u32 s5, 0
	s_cbranch_scc1 .LBB5_236
; %bb.235:                              ;   in Loop: Header=BB5_237 Depth=1
	s_sleep 1
	s_cbranch_execnz .LBB5_237
	s_branch .LBB5_239
	.p2align	6
.LBB5_236:
	s_branch .LBB5_239
.LBB5_237:                              ; =>This Inner Loop Header: Depth=1
	v_mov_b32_e32 v0, 1
	s_and_saveexec_b32 s5, s4
	s_cbranch_execz .LBB5_234
; %bb.238:                              ;   in Loop: Header=BB5_237 Depth=1
	global_load_dword v0, v[8:9], off offset:20 glc dlc
	s_waitcnt vmcnt(0)
	buffer_gl1_inv
	buffer_gl0_inv
	v_and_b32_e32 v0, 1, v0
	s_branch .LBB5_234
.LBB5_239:
	s_and_saveexec_b32 s5, s4
	s_cbranch_execz .LBB5_243
; %bb.240:
	v_mov_b32_e32 v6, 0
	s_clause 0x2
	global_load_dwordx2 v[2:3], v6, s[26:27] offset:40
	global_load_dwordx2 v[7:8], v6, s[26:27] offset:24 glc dlc
	global_load_dwordx2 v[4:5], v6, s[26:27]
	s_waitcnt vmcnt(2)
	v_add_co_u32 v9, vcc_lo, v2, 1
	v_add_co_ci_u32_e32 v10, vcc_lo, 0, v3, vcc_lo
	v_add_co_u32 v0, vcc_lo, v9, s6
	v_add_co_ci_u32_e32 v1, vcc_lo, s7, v10, vcc_lo
	v_cmp_eq_u64_e32 vcc_lo, 0, v[0:1]
	v_cndmask_b32_e32 v1, v1, v10, vcc_lo
	v_cndmask_b32_e32 v0, v0, v9, vcc_lo
	v_and_b32_e32 v3, v1, v3
	v_and_b32_e32 v2, v0, v2
	v_mul_lo_u32 v3, v3, 24
	v_mul_hi_u32 v9, v2, 24
	v_mul_lo_u32 v2, v2, 24
	v_add_nc_u32_e32 v3, v9, v3
	s_waitcnt vmcnt(0)
	v_add_co_u32 v4, vcc_lo, v4, v2
	v_mov_b32_e32 v2, v7
	v_add_co_ci_u32_e32 v5, vcc_lo, v5, v3, vcc_lo
	v_mov_b32_e32 v3, v8
	global_store_dwordx2 v[4:5], v[7:8], off
	s_waitcnt_vscnt null, 0x0
	global_atomic_cmpswap_x2 v[2:3], v6, v[0:3], s[26:27] offset:24 glc
	s_waitcnt vmcnt(0)
	v_cmp_ne_u64_e32 vcc_lo, v[2:3], v[7:8]
	s_and_b32 exec_lo, exec_lo, vcc_lo
	s_cbranch_execz .LBB5_243
; %bb.241:
	s_mov_b32 s4, 0
.LBB5_242:                              ; =>This Inner Loop Header: Depth=1
	s_sleep 1
	global_store_dwordx2 v[4:5], v[2:3], off
	s_waitcnt_vscnt null, 0x0
	global_atomic_cmpswap_x2 v[7:8], v6, v[0:3], s[26:27] offset:24 glc
	s_waitcnt vmcnt(0)
	v_cmp_eq_u64_e32 vcc_lo, v[7:8], v[2:3]
	v_mov_b32_e32 v2, v7
	v_mov_b32_e32 v3, v8
	s_or_b32 s4, vcc_lo, s4
	s_andn2_b32 exec_lo, exec_lo, s4
	s_cbranch_execnz .LBB5_242
.LBB5_243:
	s_or_b32 exec_lo, exec_lo, s5
.LBB5_244:
	v_readfirstlane_b32 s4, v48
	s_waitcnt vmcnt(0)
	v_mov_b32_e32 v6, 0
	v_mov_b32_e32 v7, 0
	v_cmp_eq_u32_e64 s4, s4, v48
	s_and_saveexec_b32 s5, s4
	s_cbranch_execz .LBB5_250
; %bb.245:
	v_mov_b32_e32 v0, 0
	s_mov_b32 s6, exec_lo
	global_load_dwordx2 v[3:4], v0, s[26:27] offset:24 glc dlc
	s_waitcnt vmcnt(0)
	buffer_gl1_inv
	buffer_gl0_inv
	s_clause 0x1
	global_load_dwordx2 v[1:2], v0, s[26:27] offset:40
	global_load_dwordx2 v[5:6], v0, s[26:27]
	s_waitcnt vmcnt(1)
	v_and_b32_e32 v2, v2, v4
	v_and_b32_e32 v1, v1, v3
	v_mul_lo_u32 v2, v2, 24
	v_mul_hi_u32 v7, v1, 24
	v_mul_lo_u32 v1, v1, 24
	v_add_nc_u32_e32 v2, v7, v2
	s_waitcnt vmcnt(0)
	v_add_co_u32 v1, vcc_lo, v5, v1
	v_add_co_ci_u32_e32 v2, vcc_lo, v6, v2, vcc_lo
	global_load_dwordx2 v[1:2], v[1:2], off glc dlc
	s_waitcnt vmcnt(0)
	global_atomic_cmpswap_x2 v[6:7], v0, v[1:4], s[26:27] offset:24 glc
	s_waitcnt vmcnt(0)
	buffer_gl1_inv
	buffer_gl0_inv
	v_cmpx_ne_u64_e64 v[6:7], v[3:4]
	s_cbranch_execz .LBB5_249
; %bb.246:
	s_mov_b32 s7, 0
	.p2align	6
.LBB5_247:                              ; =>This Inner Loop Header: Depth=1
	s_sleep 1
	s_clause 0x1
	global_load_dwordx2 v[1:2], v0, s[26:27] offset:40
	global_load_dwordx2 v[8:9], v0, s[26:27]
	v_mov_b32_e32 v3, v6
	v_mov_b32_e32 v4, v7
	s_waitcnt vmcnt(1)
	v_and_b32_e32 v1, v1, v3
	v_and_b32_e32 v2, v2, v4
	s_waitcnt vmcnt(0)
	v_mad_u64_u32 v[5:6], null, v1, 24, v[8:9]
	v_mov_b32_e32 v1, v6
	v_mad_u64_u32 v[1:2], null, v2, 24, v[1:2]
	v_mov_b32_e32 v6, v1
	global_load_dwordx2 v[1:2], v[5:6], off glc dlc
	s_waitcnt vmcnt(0)
	global_atomic_cmpswap_x2 v[6:7], v0, v[1:4], s[26:27] offset:24 glc
	s_waitcnt vmcnt(0)
	buffer_gl1_inv
	buffer_gl0_inv
	v_cmp_eq_u64_e32 vcc_lo, v[6:7], v[3:4]
	s_or_b32 s7, vcc_lo, s7
	s_andn2_b32 exec_lo, exec_lo, s7
	s_cbranch_execnz .LBB5_247
; %bb.248:
	s_or_b32 exec_lo, exec_lo, s7
.LBB5_249:
	s_or_b32 exec_lo, exec_lo, s6
.LBB5_250:
	s_or_b32 exec_lo, exec_lo, s5
	v_mov_b32_e32 v5, 0
	v_readfirstlane_b32 s6, v6
	v_readfirstlane_b32 s7, v7
	s_mov_b32 s5, exec_lo
	s_clause 0x1
	global_load_dwordx2 v[8:9], v5, s[26:27] offset:40
	global_load_dwordx4 v[0:3], v5, s[26:27]
	s_waitcnt vmcnt(1)
	v_readfirstlane_b32 s10, v8
	v_readfirstlane_b32 s11, v9
	s_and_b64 s[10:11], s[6:7], s[10:11]
	s_mul_i32 s16, s11, 24
	s_mul_hi_u32 s17, s10, 24
	s_mul_i32 s18, s10, 24
	s_add_i32 s17, s17, s16
	s_waitcnt vmcnt(0)
	v_add_co_u32 v8, vcc_lo, v0, s18
	v_add_co_ci_u32_e32 v9, vcc_lo, s17, v1, vcc_lo
	s_and_saveexec_b32 s16, s4
	s_cbranch_execz .LBB5_252
; %bb.251:
	v_mov_b32_e32 v4, s5
	v_mov_b32_e32 v6, 2
	;; [unrolled: 1-line block ×3, first 2 shown]
	global_store_dwordx4 v[8:9], v[4:7], off offset:8
.LBB5_252:
	s_or_b32 exec_lo, exec_lo, s16
	s_lshl_b64 s[10:11], s[10:11], 12
	s_mov_b32 s16, 0
	v_add_co_u32 v2, vcc_lo, v2, s10
	v_add_co_ci_u32_e32 v3, vcc_lo, s11, v3, vcc_lo
	s_mov_b32 s17, s16
	v_add_co_u32 v10, vcc_lo, v2, v39
	s_mov_b32 s18, s16
	s_mov_b32 s19, s16
	v_mov_b32_e32 v4, 33
	v_mov_b32_e32 v6, v5
	;; [unrolled: 1-line block ×3, first 2 shown]
	v_readfirstlane_b32 s10, v2
	v_readfirstlane_b32 s11, v3
	v_mov_b32_e32 v12, s16
	v_add_co_ci_u32_e32 v11, vcc_lo, 0, v3, vcc_lo
	v_mov_b32_e32 v13, s17
	v_mov_b32_e32 v14, s18
	;; [unrolled: 1-line block ×3, first 2 shown]
	global_store_dwordx4 v39, v[4:7], s[10:11]
	global_store_dwordx4 v39, v[12:15], s[10:11] offset:16
	global_store_dwordx4 v39, v[12:15], s[10:11] offset:32
	;; [unrolled: 1-line block ×3, first 2 shown]
	s_and_saveexec_b32 s5, s4
	s_cbranch_execz .LBB5_260
; %bb.253:
	v_mov_b32_e32 v6, 0
	v_mov_b32_e32 v12, s6
	;; [unrolled: 1-line block ×3, first 2 shown]
	s_clause 0x1
	global_load_dwordx2 v[14:15], v6, s[26:27] offset:32 glc dlc
	global_load_dwordx2 v[2:3], v6, s[26:27] offset:40
	s_waitcnt vmcnt(0)
	v_readfirstlane_b32 s10, v2
	v_readfirstlane_b32 s11, v3
	s_and_b64 s[10:11], s[10:11], s[6:7]
	s_mul_i32 s11, s11, 24
	s_mul_hi_u32 s16, s10, 24
	s_mul_i32 s10, s10, 24
	s_add_i32 s16, s16, s11
	v_add_co_u32 v4, vcc_lo, v0, s10
	v_add_co_ci_u32_e32 v5, vcc_lo, s16, v1, vcc_lo
	s_mov_b32 s10, exec_lo
	global_store_dwordx2 v[4:5], v[14:15], off
	s_waitcnt_vscnt null, 0x0
	global_atomic_cmpswap_x2 v[2:3], v6, v[12:15], s[26:27] offset:32 glc
	s_waitcnt vmcnt(0)
	v_cmpx_ne_u64_e64 v[2:3], v[14:15]
	s_cbranch_execz .LBB5_256
; %bb.254:
	s_mov_b32 s11, 0
.LBB5_255:                              ; =>This Inner Loop Header: Depth=1
	v_mov_b32_e32 v0, s6
	v_mov_b32_e32 v1, s7
	s_sleep 1
	global_store_dwordx2 v[4:5], v[2:3], off
	s_waitcnt_vscnt null, 0x0
	global_atomic_cmpswap_x2 v[0:1], v6, v[0:3], s[26:27] offset:32 glc
	s_waitcnt vmcnt(0)
	v_cmp_eq_u64_e32 vcc_lo, v[0:1], v[2:3]
	v_mov_b32_e32 v3, v1
	v_mov_b32_e32 v2, v0
	s_or_b32 s11, vcc_lo, s11
	s_andn2_b32 exec_lo, exec_lo, s11
	s_cbranch_execnz .LBB5_255
.LBB5_256:
	s_or_b32 exec_lo, exec_lo, s10
	v_mov_b32_e32 v3, 0
	s_mov_b32 s11, exec_lo
	s_mov_b32 s10, exec_lo
	v_mbcnt_lo_u32_b32 v2, s11, 0
	global_load_dwordx2 v[0:1], v3, s[26:27] offset:16
	v_cmpx_eq_u32_e32 0, v2
	s_cbranch_execz .LBB5_258
; %bb.257:
	s_bcnt1_i32_b32 s11, s11
	v_mov_b32_e32 v2, s11
	s_waitcnt vmcnt(0)
	global_atomic_add_x2 v[0:1], v[2:3], off offset:8
.LBB5_258:
	s_or_b32 exec_lo, exec_lo, s10
	s_waitcnt vmcnt(0)
	global_load_dwordx2 v[2:3], v[0:1], off offset:16
	s_waitcnt vmcnt(0)
	v_cmp_eq_u64_e32 vcc_lo, 0, v[2:3]
	s_cbranch_vccnz .LBB5_260
; %bb.259:
	global_load_dword v0, v[0:1], off offset:24
	v_mov_b32_e32 v1, 0
	s_waitcnt vmcnt(0)
	v_and_b32_e32 v4, 0x7fffff, v0
	s_waitcnt_vscnt null, 0x0
	global_store_dwordx2 v[2:3], v[0:1], off
	v_readfirstlane_b32 m0, v4
	s_sendmsg sendmsg(MSG_INTERRUPT)
.LBB5_260:
	s_or_b32 exec_lo, exec_lo, s5
	s_branch .LBB5_264
	.p2align	6
.LBB5_261:                              ;   in Loop: Header=BB5_264 Depth=1
	s_or_b32 exec_lo, exec_lo, s5
	v_readfirstlane_b32 s5, v0
	s_cmp_eq_u32 s5, 0
	s_cbranch_scc1 .LBB5_263
; %bb.262:                              ;   in Loop: Header=BB5_264 Depth=1
	s_sleep 1
	s_cbranch_execnz .LBB5_264
	s_branch .LBB5_266
	.p2align	6
.LBB5_263:
	s_branch .LBB5_266
.LBB5_264:                              ; =>This Inner Loop Header: Depth=1
	v_mov_b32_e32 v0, 1
	s_and_saveexec_b32 s5, s4
	s_cbranch_execz .LBB5_261
; %bb.265:                              ;   in Loop: Header=BB5_264 Depth=1
	global_load_dword v0, v[8:9], off offset:20 glc dlc
	s_waitcnt vmcnt(0)
	buffer_gl1_inv
	buffer_gl0_inv
	v_and_b32_e32 v0, 1, v0
	s_branch .LBB5_261
.LBB5_266:
	global_load_dwordx2 v[0:1], v[10:11], off
	s_and_saveexec_b32 s5, s4
	s_cbranch_execz .LBB5_270
; %bb.267:
	v_mov_b32_e32 v8, 0
	s_clause 0x2
	global_load_dwordx2 v[4:5], v8, s[26:27] offset:40
	global_load_dwordx2 v[9:10], v8, s[26:27] offset:24 glc dlc
	global_load_dwordx2 v[6:7], v8, s[26:27]
	s_waitcnt vmcnt(2)
	v_add_co_u32 v11, vcc_lo, v4, 1
	v_add_co_ci_u32_e32 v12, vcc_lo, 0, v5, vcc_lo
	v_add_co_u32 v2, vcc_lo, v11, s6
	v_add_co_ci_u32_e32 v3, vcc_lo, s7, v12, vcc_lo
	v_cmp_eq_u64_e32 vcc_lo, 0, v[2:3]
	v_cndmask_b32_e32 v3, v3, v12, vcc_lo
	v_cndmask_b32_e32 v2, v2, v11, vcc_lo
	v_and_b32_e32 v5, v3, v5
	v_and_b32_e32 v4, v2, v4
	v_mul_lo_u32 v5, v5, 24
	v_mul_hi_u32 v11, v4, 24
	v_mul_lo_u32 v4, v4, 24
	v_add_nc_u32_e32 v5, v11, v5
	s_waitcnt vmcnt(0)
	v_add_co_u32 v6, vcc_lo, v6, v4
	v_mov_b32_e32 v4, v9
	v_add_co_ci_u32_e32 v7, vcc_lo, v7, v5, vcc_lo
	v_mov_b32_e32 v5, v10
	global_store_dwordx2 v[6:7], v[9:10], off
	s_waitcnt_vscnt null, 0x0
	global_atomic_cmpswap_x2 v[4:5], v8, v[2:5], s[26:27] offset:24 glc
	s_waitcnt vmcnt(0)
	v_cmp_ne_u64_e32 vcc_lo, v[4:5], v[9:10]
	s_and_b32 exec_lo, exec_lo, vcc_lo
	s_cbranch_execz .LBB5_270
; %bb.268:
	s_mov_b32 s4, 0
.LBB5_269:                              ; =>This Inner Loop Header: Depth=1
	s_sleep 1
	global_store_dwordx2 v[6:7], v[4:5], off
	s_waitcnt_vscnt null, 0x0
	global_atomic_cmpswap_x2 v[9:10], v8, v[2:5], s[26:27] offset:24 glc
	s_waitcnt vmcnt(0)
	v_cmp_eq_u64_e32 vcc_lo, v[9:10], v[4:5]
	v_mov_b32_e32 v4, v9
	v_mov_b32_e32 v5, v10
	s_or_b32 s4, vcc_lo, s4
	s_andn2_b32 exec_lo, exec_lo, s4
	s_cbranch_execnz .LBB5_269
.LBB5_270:
	s_or_b32 exec_lo, exec_lo, s5
	s_getpc_b64 s[6:7]
	s_add_u32 s6, s6, .str.6@rel32@lo+4
	s_addc_u32 s7, s7, .str.6@rel32@hi+12
	s_cmp_lg_u64 s[6:7], 0
	s_cselect_b32 s34, -1, 0
	s_and_b32 vcc_lo, exec_lo, s34
	s_cbranch_vccz .LBB5_349
; %bb.271:
	s_waitcnt vmcnt(0)
	v_and_b32_e32 v31, 2, v0
	v_mov_b32_e32 v6, 0
	v_and_b32_e32 v2, -3, v0
	v_mov_b32_e32 v3, v1
	v_mov_b32_e32 v7, 2
	;; [unrolled: 1-line block ×3, first 2 shown]
	s_mov_b64 s[10:11], 3
	s_branch .LBB5_273
.LBB5_272:                              ;   in Loop: Header=BB5_273 Depth=1
	s_or_b32 exec_lo, exec_lo, s5
	s_sub_u32 s10, s10, s16
	s_subb_u32 s11, s11, s17
	s_add_u32 s6, s6, s16
	s_addc_u32 s7, s7, s17
	s_cmp_lg_u64 s[10:11], 0
	s_cbranch_scc0 .LBB5_348
.LBB5_273:                              ; =>This Loop Header: Depth=1
                                        ;     Child Loop BB5_282 Depth 2
                                        ;     Child Loop BB5_278 Depth 2
	;; [unrolled: 1-line block ×11, first 2 shown]
	v_cmp_lt_u64_e64 s4, s[10:11], 56
	v_cmp_gt_u64_e64 s5, s[10:11], 7
                                        ; implicit-def: $vgpr11_vgpr12
                                        ; implicit-def: $sgpr22
	s_and_b32 s4, s4, exec_lo
	s_cselect_b32 s17, s11, 0
	s_cselect_b32 s16, s10, 56
	s_and_b32 vcc_lo, exec_lo, s5
	s_mov_b32 s4, -1
	s_cbranch_vccz .LBB5_280
; %bb.274:                              ;   in Loop: Header=BB5_273 Depth=1
	s_andn2_b32 vcc_lo, exec_lo, s4
	s_mov_b64 s[4:5], s[6:7]
	s_cbranch_vccz .LBB5_284
.LBB5_275:                              ;   in Loop: Header=BB5_273 Depth=1
	s_cmp_gt_u32 s22, 7
	s_cbranch_scc1 .LBB5_285
.LBB5_276:                              ;   in Loop: Header=BB5_273 Depth=1
	v_mov_b32_e32 v13, 0
	v_mov_b32_e32 v14, 0
	s_cmp_eq_u32 s22, 0
	s_cbranch_scc1 .LBB5_279
; %bb.277:                              ;   in Loop: Header=BB5_273 Depth=1
	s_mov_b64 s[18:19], 0
	s_mov_b64 s[20:21], 0
.LBB5_278:                              ;   Parent Loop BB5_273 Depth=1
                                        ; =>  This Inner Loop Header: Depth=2
	s_add_u32 s24, s4, s20
	s_addc_u32 s25, s5, s21
	s_add_u32 s20, s20, 1
	global_load_ubyte v4, v6, s[24:25]
	s_addc_u32 s21, s21, 0
	s_waitcnt vmcnt(0)
	v_and_b32_e32 v5, 0xffff, v4
	v_lshlrev_b64 v[4:5], s18, v[5:6]
	s_add_u32 s18, s18, 8
	s_addc_u32 s19, s19, 0
	s_cmp_lg_u32 s22, s20
	v_or_b32_e32 v13, v4, v13
	v_or_b32_e32 v14, v5, v14
	s_cbranch_scc1 .LBB5_278
.LBB5_279:                              ;   in Loop: Header=BB5_273 Depth=1
	s_mov_b32 s23, 0
	s_cbranch_execz .LBB5_286
	s_branch .LBB5_287
.LBB5_280:                              ;   in Loop: Header=BB5_273 Depth=1
	v_mov_b32_e32 v11, 0
	v_mov_b32_e32 v12, 0
	s_cmp_eq_u64 s[10:11], 0
	s_mov_b64 s[4:5], 0
	s_cbranch_scc1 .LBB5_283
; %bb.281:                              ;   in Loop: Header=BB5_273 Depth=1
	v_mov_b32_e32 v11, 0
	v_mov_b32_e32 v12, 0
	s_lshl_b64 s[18:19], s[16:17], 3
	s_mov_b64 s[20:21], s[6:7]
.LBB5_282:                              ;   Parent Loop BB5_273 Depth=1
                                        ; =>  This Inner Loop Header: Depth=2
	global_load_ubyte v4, v6, s[20:21]
	s_waitcnt vmcnt(0)
	v_and_b32_e32 v5, 0xffff, v4
	v_lshlrev_b64 v[4:5], s4, v[5:6]
	s_add_u32 s4, s4, 8
	s_addc_u32 s5, s5, 0
	s_add_u32 s20, s20, 1
	s_addc_u32 s21, s21, 0
	s_cmp_lg_u32 s18, s4
	v_or_b32_e32 v11, v4, v11
	v_or_b32_e32 v12, v5, v12
	s_cbranch_scc1 .LBB5_282
.LBB5_283:                              ;   in Loop: Header=BB5_273 Depth=1
	s_mov_b32 s22, 0
	s_mov_b64 s[4:5], s[6:7]
	s_cbranch_execnz .LBB5_275
.LBB5_284:                              ;   in Loop: Header=BB5_273 Depth=1
	global_load_dwordx2 v[11:12], v6, s[6:7]
	s_add_i32 s22, s16, -8
	s_add_u32 s4, s6, 8
	s_addc_u32 s5, s7, 0
	s_cmp_gt_u32 s22, 7
	s_cbranch_scc0 .LBB5_276
.LBB5_285:                              ;   in Loop: Header=BB5_273 Depth=1
                                        ; implicit-def: $vgpr13_vgpr14
                                        ; implicit-def: $sgpr23
.LBB5_286:                              ;   in Loop: Header=BB5_273 Depth=1
	global_load_dwordx2 v[13:14], v6, s[4:5]
	s_add_i32 s23, s22, -8
	s_add_u32 s4, s4, 8
	s_addc_u32 s5, s5, 0
.LBB5_287:                              ;   in Loop: Header=BB5_273 Depth=1
	s_cmp_gt_u32 s23, 7
	s_cbranch_scc1 .LBB5_292
; %bb.288:                              ;   in Loop: Header=BB5_273 Depth=1
	v_mov_b32_e32 v15, 0
	v_mov_b32_e32 v16, 0
	s_cmp_eq_u32 s23, 0
	s_cbranch_scc1 .LBB5_291
; %bb.289:                              ;   in Loop: Header=BB5_273 Depth=1
	s_mov_b64 s[18:19], 0
	s_mov_b64 s[20:21], 0
.LBB5_290:                              ;   Parent Loop BB5_273 Depth=1
                                        ; =>  This Inner Loop Header: Depth=2
	s_add_u32 s24, s4, s20
	s_addc_u32 s25, s5, s21
	s_add_u32 s20, s20, 1
	global_load_ubyte v4, v6, s[24:25]
	s_addc_u32 s21, s21, 0
	s_waitcnt vmcnt(0)
	v_and_b32_e32 v5, 0xffff, v4
	v_lshlrev_b64 v[4:5], s18, v[5:6]
	s_add_u32 s18, s18, 8
	s_addc_u32 s19, s19, 0
	s_cmp_lg_u32 s23, s20
	v_or_b32_e32 v15, v4, v15
	v_or_b32_e32 v16, v5, v16
	s_cbranch_scc1 .LBB5_290
.LBB5_291:                              ;   in Loop: Header=BB5_273 Depth=1
	s_mov_b32 s22, 0
	s_cbranch_execz .LBB5_293
	s_branch .LBB5_294
.LBB5_292:                              ;   in Loop: Header=BB5_273 Depth=1
                                        ; implicit-def: $sgpr22
.LBB5_293:                              ;   in Loop: Header=BB5_273 Depth=1
	global_load_dwordx2 v[15:16], v6, s[4:5]
	s_add_i32 s22, s23, -8
	s_add_u32 s4, s4, 8
	s_addc_u32 s5, s5, 0
.LBB5_294:                              ;   in Loop: Header=BB5_273 Depth=1
	s_cmp_gt_u32 s22, 7
	s_cbranch_scc1 .LBB5_299
; %bb.295:                              ;   in Loop: Header=BB5_273 Depth=1
	v_mov_b32_e32 v17, 0
	v_mov_b32_e32 v18, 0
	s_cmp_eq_u32 s22, 0
	s_cbranch_scc1 .LBB5_298
; %bb.296:                              ;   in Loop: Header=BB5_273 Depth=1
	s_mov_b64 s[18:19], 0
	s_mov_b64 s[20:21], 0
.LBB5_297:                              ;   Parent Loop BB5_273 Depth=1
                                        ; =>  This Inner Loop Header: Depth=2
	s_add_u32 s24, s4, s20
	s_addc_u32 s25, s5, s21
	s_add_u32 s20, s20, 1
	global_load_ubyte v4, v6, s[24:25]
	s_addc_u32 s21, s21, 0
	s_waitcnt vmcnt(0)
	v_and_b32_e32 v5, 0xffff, v4
	v_lshlrev_b64 v[4:5], s18, v[5:6]
	s_add_u32 s18, s18, 8
	s_addc_u32 s19, s19, 0
	s_cmp_lg_u32 s22, s20
	v_or_b32_e32 v17, v4, v17
	v_or_b32_e32 v18, v5, v18
	s_cbranch_scc1 .LBB5_297
.LBB5_298:                              ;   in Loop: Header=BB5_273 Depth=1
	s_mov_b32 s23, 0
	s_cbranch_execz .LBB5_300
	s_branch .LBB5_301
.LBB5_299:                              ;   in Loop: Header=BB5_273 Depth=1
                                        ; implicit-def: $vgpr17_vgpr18
                                        ; implicit-def: $sgpr23
.LBB5_300:                              ;   in Loop: Header=BB5_273 Depth=1
	global_load_dwordx2 v[17:18], v6, s[4:5]
	s_add_i32 s23, s22, -8
	s_add_u32 s4, s4, 8
	s_addc_u32 s5, s5, 0
.LBB5_301:                              ;   in Loop: Header=BB5_273 Depth=1
	s_cmp_gt_u32 s23, 7
	s_cbranch_scc1 .LBB5_306
; %bb.302:                              ;   in Loop: Header=BB5_273 Depth=1
	v_mov_b32_e32 v19, 0
	v_mov_b32_e32 v20, 0
	s_cmp_eq_u32 s23, 0
	s_cbranch_scc1 .LBB5_305
; %bb.303:                              ;   in Loop: Header=BB5_273 Depth=1
	s_mov_b64 s[18:19], 0
	s_mov_b64 s[20:21], 0
.LBB5_304:                              ;   Parent Loop BB5_273 Depth=1
                                        ; =>  This Inner Loop Header: Depth=2
	s_add_u32 s24, s4, s20
	s_addc_u32 s25, s5, s21
	s_add_u32 s20, s20, 1
	global_load_ubyte v4, v6, s[24:25]
	s_addc_u32 s21, s21, 0
	s_waitcnt vmcnt(0)
	v_and_b32_e32 v5, 0xffff, v4
	v_lshlrev_b64 v[4:5], s18, v[5:6]
	s_add_u32 s18, s18, 8
	s_addc_u32 s19, s19, 0
	s_cmp_lg_u32 s23, s20
	v_or_b32_e32 v19, v4, v19
	v_or_b32_e32 v20, v5, v20
	s_cbranch_scc1 .LBB5_304
.LBB5_305:                              ;   in Loop: Header=BB5_273 Depth=1
	s_mov_b32 s22, 0
	s_cbranch_execz .LBB5_307
	s_branch .LBB5_308
.LBB5_306:                              ;   in Loop: Header=BB5_273 Depth=1
                                        ; implicit-def: $sgpr22
.LBB5_307:                              ;   in Loop: Header=BB5_273 Depth=1
	global_load_dwordx2 v[19:20], v6, s[4:5]
	s_add_i32 s22, s23, -8
	s_add_u32 s4, s4, 8
	s_addc_u32 s5, s5, 0
.LBB5_308:                              ;   in Loop: Header=BB5_273 Depth=1
	s_cmp_gt_u32 s22, 7
	s_cbranch_scc1 .LBB5_313
; %bb.309:                              ;   in Loop: Header=BB5_273 Depth=1
	v_mov_b32_e32 v21, 0
	v_mov_b32_e32 v22, 0
	s_cmp_eq_u32 s22, 0
	s_cbranch_scc1 .LBB5_312
; %bb.310:                              ;   in Loop: Header=BB5_273 Depth=1
	s_mov_b64 s[18:19], 0
	s_mov_b64 s[20:21], 0
.LBB5_311:                              ;   Parent Loop BB5_273 Depth=1
                                        ; =>  This Inner Loop Header: Depth=2
	s_add_u32 s24, s4, s20
	s_addc_u32 s25, s5, s21
	s_add_u32 s20, s20, 1
	global_load_ubyte v4, v6, s[24:25]
	s_addc_u32 s21, s21, 0
	s_waitcnt vmcnt(0)
	v_and_b32_e32 v5, 0xffff, v4
	v_lshlrev_b64 v[4:5], s18, v[5:6]
	s_add_u32 s18, s18, 8
	s_addc_u32 s19, s19, 0
	s_cmp_lg_u32 s22, s20
	v_or_b32_e32 v21, v4, v21
	v_or_b32_e32 v22, v5, v22
	s_cbranch_scc1 .LBB5_311
.LBB5_312:                              ;   in Loop: Header=BB5_273 Depth=1
	s_mov_b32 s23, 0
	s_cbranch_execz .LBB5_314
	s_branch .LBB5_315
.LBB5_313:                              ;   in Loop: Header=BB5_273 Depth=1
                                        ; implicit-def: $vgpr21_vgpr22
                                        ; implicit-def: $sgpr23
.LBB5_314:                              ;   in Loop: Header=BB5_273 Depth=1
	global_load_dwordx2 v[21:22], v6, s[4:5]
	s_add_i32 s23, s22, -8
	s_add_u32 s4, s4, 8
	s_addc_u32 s5, s5, 0
.LBB5_315:                              ;   in Loop: Header=BB5_273 Depth=1
	s_cmp_gt_u32 s23, 7
	s_cbranch_scc1 .LBB5_320
; %bb.316:                              ;   in Loop: Header=BB5_273 Depth=1
	v_mov_b32_e32 v23, 0
	v_mov_b32_e32 v24, 0
	s_cmp_eq_u32 s23, 0
	s_cbranch_scc1 .LBB5_319
; %bb.317:                              ;   in Loop: Header=BB5_273 Depth=1
	s_mov_b64 s[18:19], 0
	s_mov_b64 s[20:21], s[4:5]
.LBB5_318:                              ;   Parent Loop BB5_273 Depth=1
                                        ; =>  This Inner Loop Header: Depth=2
	global_load_ubyte v4, v6, s[20:21]
	s_add_i32 s23, s23, -1
	s_waitcnt vmcnt(0)
	v_and_b32_e32 v5, 0xffff, v4
	v_lshlrev_b64 v[4:5], s18, v[5:6]
	s_add_u32 s18, s18, 8
	s_addc_u32 s19, s19, 0
	s_add_u32 s20, s20, 1
	s_addc_u32 s21, s21, 0
	s_cmp_lg_u32 s23, 0
	v_or_b32_e32 v23, v4, v23
	v_or_b32_e32 v24, v5, v24
	s_cbranch_scc1 .LBB5_318
.LBB5_319:                              ;   in Loop: Header=BB5_273 Depth=1
	s_cbranch_execz .LBB5_321
	s_branch .LBB5_322
.LBB5_320:                              ;   in Loop: Header=BB5_273 Depth=1
.LBB5_321:                              ;   in Loop: Header=BB5_273 Depth=1
	global_load_dwordx2 v[23:24], v6, s[4:5]
.LBB5_322:                              ;   in Loop: Header=BB5_273 Depth=1
	v_readfirstlane_b32 s4, v48
	s_waitcnt vmcnt(0)
	v_mov_b32_e32 v4, 0
	v_mov_b32_e32 v5, 0
	v_cmp_eq_u32_e64 s4, s4, v48
	s_and_saveexec_b32 s5, s4
	s_cbranch_execz .LBB5_328
; %bb.323:                              ;   in Loop: Header=BB5_273 Depth=1
	global_load_dwordx2 v[27:28], v6, s[26:27] offset:24 glc dlc
	s_waitcnt vmcnt(0)
	buffer_gl1_inv
	buffer_gl0_inv
	s_clause 0x1
	global_load_dwordx2 v[4:5], v6, s[26:27] offset:40
	global_load_dwordx2 v[9:10], v6, s[26:27]
	s_mov_b32 s18, exec_lo
	s_waitcnt vmcnt(1)
	v_and_b32_e32 v5, v5, v28
	v_and_b32_e32 v4, v4, v27
	v_mul_lo_u32 v5, v5, 24
	v_mul_hi_u32 v25, v4, 24
	v_mul_lo_u32 v4, v4, 24
	v_add_nc_u32_e32 v5, v25, v5
	s_waitcnt vmcnt(0)
	v_add_co_u32 v4, vcc_lo, v9, v4
	v_add_co_ci_u32_e32 v5, vcc_lo, v10, v5, vcc_lo
	global_load_dwordx2 v[25:26], v[4:5], off glc dlc
	s_waitcnt vmcnt(0)
	global_atomic_cmpswap_x2 v[4:5], v6, v[25:28], s[26:27] offset:24 glc
	s_waitcnt vmcnt(0)
	buffer_gl1_inv
	buffer_gl0_inv
	v_cmpx_ne_u64_e64 v[4:5], v[27:28]
	s_cbranch_execz .LBB5_327
; %bb.324:                              ;   in Loop: Header=BB5_273 Depth=1
	s_mov_b32 s19, 0
	.p2align	6
.LBB5_325:                              ;   Parent Loop BB5_273 Depth=1
                                        ; =>  This Inner Loop Header: Depth=2
	s_sleep 1
	s_clause 0x1
	global_load_dwordx2 v[9:10], v6, s[26:27] offset:40
	global_load_dwordx2 v[25:26], v6, s[26:27]
	v_mov_b32_e32 v28, v5
	v_mov_b32_e32 v27, v4
	s_waitcnt vmcnt(1)
	v_and_b32_e32 v4, v9, v27
	v_and_b32_e32 v9, v10, v28
	s_waitcnt vmcnt(0)
	v_mad_u64_u32 v[4:5], null, v4, 24, v[25:26]
	v_mad_u64_u32 v[9:10], null, v9, 24, v[5:6]
	v_mov_b32_e32 v5, v9
	global_load_dwordx2 v[25:26], v[4:5], off glc dlc
	s_waitcnt vmcnt(0)
	global_atomic_cmpswap_x2 v[4:5], v6, v[25:28], s[26:27] offset:24 glc
	s_waitcnt vmcnt(0)
	buffer_gl1_inv
	buffer_gl0_inv
	v_cmp_eq_u64_e32 vcc_lo, v[4:5], v[27:28]
	s_or_b32 s19, vcc_lo, s19
	s_andn2_b32 exec_lo, exec_lo, s19
	s_cbranch_execnz .LBB5_325
; %bb.326:                              ;   in Loop: Header=BB5_273 Depth=1
	s_or_b32 exec_lo, exec_lo, s19
.LBB5_327:                              ;   in Loop: Header=BB5_273 Depth=1
	s_or_b32 exec_lo, exec_lo, s18
.LBB5_328:                              ;   in Loop: Header=BB5_273 Depth=1
	s_or_b32 exec_lo, exec_lo, s5
	s_clause 0x1
	global_load_dwordx2 v[9:10], v6, s[26:27] offset:40
	global_load_dwordx4 v[25:28], v6, s[26:27]
	v_readfirstlane_b32 s18, v4
	v_readfirstlane_b32 s19, v5
	s_mov_b32 s5, exec_lo
	s_waitcnt vmcnt(1)
	v_readfirstlane_b32 s20, v9
	v_readfirstlane_b32 s21, v10
	s_and_b64 s[20:21], s[18:19], s[20:21]
	s_mul_i32 s22, s21, 24
	s_mul_hi_u32 s23, s20, 24
	s_mul_i32 s24, s20, 24
	s_add_i32 s23, s23, s22
	s_waitcnt vmcnt(0)
	v_add_co_u32 v29, vcc_lo, v25, s24
	v_add_co_ci_u32_e32 v30, vcc_lo, s23, v26, vcc_lo
	s_and_saveexec_b32 s22, s4
	s_cbranch_execz .LBB5_330
; %bb.329:                              ;   in Loop: Header=BB5_273 Depth=1
	v_mov_b32_e32 v5, s5
	global_store_dwordx4 v[29:30], v[5:8], off offset:8
.LBB5_330:                              ;   in Loop: Header=BB5_273 Depth=1
	s_or_b32 exec_lo, exec_lo, s22
	s_lshl_b64 s[20:21], s[20:21], 12
	v_cmp_gt_u64_e64 vcc_lo, s[10:11], 56
	v_or_b32_e32 v5, v2, v31
	v_add_co_u32 v27, s5, v27, s20
	v_add_co_ci_u32_e64 v28, s5, s21, v28, s5
	s_lshl_b32 s5, s16, 2
	v_or_b32_e32 v4, 0, v3
	v_cndmask_b32_e32 v2, v5, v2, vcc_lo
	s_add_i32 s5, s5, 28
	v_readfirstlane_b32 s20, v27
	s_and_b32 s5, s5, 0x1e0
	v_cndmask_b32_e32 v10, v4, v3, vcc_lo
	v_readfirstlane_b32 s21, v28
	v_and_or_b32 v9, 0xffffff1f, v2, s5
	global_store_dwordx4 v39, v[9:12], s[20:21]
	global_store_dwordx4 v39, v[13:16], s[20:21] offset:16
	global_store_dwordx4 v39, v[17:20], s[20:21] offset:32
	global_store_dwordx4 v39, v[21:24], s[20:21] offset:48
	s_and_saveexec_b32 s5, s4
	s_cbranch_execz .LBB5_338
; %bb.331:                              ;   in Loop: Header=BB5_273 Depth=1
	s_clause 0x1
	global_load_dwordx2 v[13:14], v6, s[26:27] offset:32 glc dlc
	global_load_dwordx2 v[2:3], v6, s[26:27] offset:40
	v_mov_b32_e32 v11, s18
	v_mov_b32_e32 v12, s19
	s_waitcnt vmcnt(0)
	v_readfirstlane_b32 s20, v2
	v_readfirstlane_b32 s21, v3
	s_and_b64 s[20:21], s[20:21], s[18:19]
	s_mul_i32 s21, s21, 24
	s_mul_hi_u32 s22, s20, 24
	s_mul_i32 s20, s20, 24
	s_add_i32 s22, s22, s21
	v_add_co_u32 v9, vcc_lo, v25, s20
	v_add_co_ci_u32_e32 v10, vcc_lo, s22, v26, vcc_lo
	s_mov_b32 s20, exec_lo
	global_store_dwordx2 v[9:10], v[13:14], off
	s_waitcnt_vscnt null, 0x0
	global_atomic_cmpswap_x2 v[4:5], v6, v[11:14], s[26:27] offset:32 glc
	s_waitcnt vmcnt(0)
	v_cmpx_ne_u64_e64 v[4:5], v[13:14]
	s_cbranch_execz .LBB5_334
; %bb.332:                              ;   in Loop: Header=BB5_273 Depth=1
	s_mov_b32 s21, 0
.LBB5_333:                              ;   Parent Loop BB5_273 Depth=1
                                        ; =>  This Inner Loop Header: Depth=2
	v_mov_b32_e32 v2, s18
	v_mov_b32_e32 v3, s19
	s_sleep 1
	global_store_dwordx2 v[9:10], v[4:5], off
	s_waitcnt_vscnt null, 0x0
	global_atomic_cmpswap_x2 v[2:3], v6, v[2:5], s[26:27] offset:32 glc
	s_waitcnt vmcnt(0)
	v_cmp_eq_u64_e32 vcc_lo, v[2:3], v[4:5]
	v_mov_b32_e32 v5, v3
	v_mov_b32_e32 v4, v2
	s_or_b32 s21, vcc_lo, s21
	s_andn2_b32 exec_lo, exec_lo, s21
	s_cbranch_execnz .LBB5_333
.LBB5_334:                              ;   in Loop: Header=BB5_273 Depth=1
	s_or_b32 exec_lo, exec_lo, s20
	global_load_dwordx2 v[2:3], v6, s[26:27] offset:16
	s_mov_b32 s21, exec_lo
	s_mov_b32 s20, exec_lo
	v_mbcnt_lo_u32_b32 v4, s21, 0
	v_cmpx_eq_u32_e32 0, v4
	s_cbranch_execz .LBB5_336
; %bb.335:                              ;   in Loop: Header=BB5_273 Depth=1
	s_bcnt1_i32_b32 s21, s21
	v_mov_b32_e32 v5, s21
	s_waitcnt vmcnt(0)
	global_atomic_add_x2 v[2:3], v[5:6], off offset:8
.LBB5_336:                              ;   in Loop: Header=BB5_273 Depth=1
	s_or_b32 exec_lo, exec_lo, s20
	s_waitcnt vmcnt(0)
	global_load_dwordx2 v[9:10], v[2:3], off offset:16
	s_waitcnt vmcnt(0)
	v_cmp_eq_u64_e32 vcc_lo, 0, v[9:10]
	s_cbranch_vccnz .LBB5_338
; %bb.337:                              ;   in Loop: Header=BB5_273 Depth=1
	global_load_dword v5, v[2:3], off offset:24
	s_waitcnt vmcnt(0)
	v_and_b32_e32 v2, 0x7fffff, v5
	s_waitcnt_vscnt null, 0x0
	global_store_dwordx2 v[9:10], v[5:6], off
	v_readfirstlane_b32 m0, v2
	s_sendmsg sendmsg(MSG_INTERRUPT)
.LBB5_338:                              ;   in Loop: Header=BB5_273 Depth=1
	s_or_b32 exec_lo, exec_lo, s5
	v_add_co_u32 v2, vcc_lo, v27, v39
	v_add_co_ci_u32_e32 v3, vcc_lo, 0, v28, vcc_lo
	s_branch .LBB5_342
	.p2align	6
.LBB5_339:                              ;   in Loop: Header=BB5_342 Depth=2
	s_or_b32 exec_lo, exec_lo, s5
	v_readfirstlane_b32 s5, v4
	s_cmp_eq_u32 s5, 0
	s_cbranch_scc1 .LBB5_341
; %bb.340:                              ;   in Loop: Header=BB5_342 Depth=2
	s_sleep 1
	s_cbranch_execnz .LBB5_342
	s_branch .LBB5_344
	.p2align	6
.LBB5_341:                              ;   in Loop: Header=BB5_273 Depth=1
	s_branch .LBB5_344
.LBB5_342:                              ;   Parent Loop BB5_273 Depth=1
                                        ; =>  This Inner Loop Header: Depth=2
	v_mov_b32_e32 v4, 1
	s_and_saveexec_b32 s5, s4
	s_cbranch_execz .LBB5_339
; %bb.343:                              ;   in Loop: Header=BB5_342 Depth=2
	global_load_dword v4, v[29:30], off offset:20 glc dlc
	s_waitcnt vmcnt(0)
	buffer_gl1_inv
	buffer_gl0_inv
	v_and_b32_e32 v4, 1, v4
	s_branch .LBB5_339
.LBB5_344:                              ;   in Loop: Header=BB5_273 Depth=1
	global_load_dwordx4 v[2:5], v[2:3], off
	s_and_saveexec_b32 s5, s4
	s_cbranch_execz .LBB5_272
; %bb.345:                              ;   in Loop: Header=BB5_273 Depth=1
	s_clause 0x2
	global_load_dwordx2 v[4:5], v6, s[26:27] offset:40
	global_load_dwordx2 v[13:14], v6, s[26:27] offset:24 glc dlc
	global_load_dwordx2 v[11:12], v6, s[26:27]
	s_waitcnt vmcnt(2)
	v_add_co_u32 v15, vcc_lo, v4, 1
	v_add_co_ci_u32_e32 v16, vcc_lo, 0, v5, vcc_lo
	v_add_co_u32 v9, vcc_lo, v15, s18
	v_add_co_ci_u32_e32 v10, vcc_lo, s19, v16, vcc_lo
	v_cmp_eq_u64_e32 vcc_lo, 0, v[9:10]
	v_cndmask_b32_e32 v10, v10, v16, vcc_lo
	v_cndmask_b32_e32 v9, v9, v15, vcc_lo
	v_and_b32_e32 v5, v10, v5
	v_and_b32_e32 v4, v9, v4
	v_mul_lo_u32 v5, v5, 24
	v_mul_hi_u32 v15, v4, 24
	v_mul_lo_u32 v4, v4, 24
	v_add_nc_u32_e32 v5, v15, v5
	s_waitcnt vmcnt(0)
	v_add_co_u32 v4, vcc_lo, v11, v4
	v_mov_b32_e32 v11, v13
	v_add_co_ci_u32_e32 v5, vcc_lo, v12, v5, vcc_lo
	v_mov_b32_e32 v12, v14
	global_store_dwordx2 v[4:5], v[13:14], off
	s_waitcnt_vscnt null, 0x0
	global_atomic_cmpswap_x2 v[11:12], v6, v[9:12], s[26:27] offset:24 glc
	s_waitcnt vmcnt(0)
	v_cmp_ne_u64_e32 vcc_lo, v[11:12], v[13:14]
	s_and_b32 exec_lo, exec_lo, vcc_lo
	s_cbranch_execz .LBB5_272
; %bb.346:                              ;   in Loop: Header=BB5_273 Depth=1
	s_mov_b32 s4, 0
.LBB5_347:                              ;   Parent Loop BB5_273 Depth=1
                                        ; =>  This Inner Loop Header: Depth=2
	s_sleep 1
	global_store_dwordx2 v[4:5], v[11:12], off
	s_waitcnt_vscnt null, 0x0
	global_atomic_cmpswap_x2 v[13:14], v6, v[9:12], s[26:27] offset:24 glc
	s_waitcnt vmcnt(0)
	v_cmp_eq_u64_e32 vcc_lo, v[13:14], v[11:12]
	v_mov_b32_e32 v11, v13
	v_mov_b32_e32 v12, v14
	s_or_b32 s4, vcc_lo, s4
	s_andn2_b32 exec_lo, exec_lo, s4
	s_cbranch_execnz .LBB5_347
	s_branch .LBB5_272
.LBB5_348:
	s_branch .LBB5_377
.LBB5_349:
                                        ; implicit-def: $vgpr2_vgpr3
	s_cbranch_execz .LBB5_377
; %bb.350:
	v_readfirstlane_b32 s4, v48
	v_mov_b32_e32 v8, 0
	v_mov_b32_e32 v9, 0
	v_cmp_eq_u32_e64 s4, s4, v48
	s_and_saveexec_b32 s5, s4
	s_cbranch_execz .LBB5_356
; %bb.351:
	s_waitcnt vmcnt(0)
	v_mov_b32_e32 v2, 0
	s_mov_b32 s6, exec_lo
	global_load_dwordx2 v[5:6], v2, s[26:27] offset:24 glc dlc
	s_waitcnt vmcnt(0)
	buffer_gl1_inv
	buffer_gl0_inv
	s_clause 0x1
	global_load_dwordx2 v[3:4], v2, s[26:27] offset:40
	global_load_dwordx2 v[7:8], v2, s[26:27]
	s_waitcnt vmcnt(1)
	v_and_b32_e32 v4, v4, v6
	v_and_b32_e32 v3, v3, v5
	v_mul_lo_u32 v4, v4, 24
	v_mul_hi_u32 v9, v3, 24
	v_mul_lo_u32 v3, v3, 24
	v_add_nc_u32_e32 v4, v9, v4
	s_waitcnt vmcnt(0)
	v_add_co_u32 v3, vcc_lo, v7, v3
	v_add_co_ci_u32_e32 v4, vcc_lo, v8, v4, vcc_lo
	global_load_dwordx2 v[3:4], v[3:4], off glc dlc
	s_waitcnt vmcnt(0)
	global_atomic_cmpswap_x2 v[8:9], v2, v[3:6], s[26:27] offset:24 glc
	s_waitcnt vmcnt(0)
	buffer_gl1_inv
	buffer_gl0_inv
	v_cmpx_ne_u64_e64 v[8:9], v[5:6]
	s_cbranch_execz .LBB5_355
; %bb.352:
	s_mov_b32 s7, 0
	.p2align	6
.LBB5_353:                              ; =>This Inner Loop Header: Depth=1
	s_sleep 1
	s_clause 0x1
	global_load_dwordx2 v[3:4], v2, s[26:27] offset:40
	global_load_dwordx2 v[10:11], v2, s[26:27]
	v_mov_b32_e32 v5, v8
	v_mov_b32_e32 v6, v9
	s_waitcnt vmcnt(1)
	v_and_b32_e32 v3, v3, v5
	v_and_b32_e32 v4, v4, v6
	s_waitcnt vmcnt(0)
	v_mad_u64_u32 v[7:8], null, v3, 24, v[10:11]
	v_mov_b32_e32 v3, v8
	v_mad_u64_u32 v[3:4], null, v4, 24, v[3:4]
	v_mov_b32_e32 v8, v3
	global_load_dwordx2 v[3:4], v[7:8], off glc dlc
	s_waitcnt vmcnt(0)
	global_atomic_cmpswap_x2 v[8:9], v2, v[3:6], s[26:27] offset:24 glc
	s_waitcnt vmcnt(0)
	buffer_gl1_inv
	buffer_gl0_inv
	v_cmp_eq_u64_e32 vcc_lo, v[8:9], v[5:6]
	s_or_b32 s7, vcc_lo, s7
	s_andn2_b32 exec_lo, exec_lo, s7
	s_cbranch_execnz .LBB5_353
; %bb.354:
	s_or_b32 exec_lo, exec_lo, s7
.LBB5_355:
	s_or_b32 exec_lo, exec_lo, s6
.LBB5_356:
	s_or_b32 exec_lo, exec_lo, s5
	s_waitcnt vmcnt(0)
	v_mov_b32_e32 v2, 0
	v_readfirstlane_b32 s6, v8
	v_readfirstlane_b32 s7, v9
	s_mov_b32 s5, exec_lo
	s_clause 0x1
	global_load_dwordx2 v[10:11], v2, s[26:27] offset:40
	global_load_dwordx4 v[4:7], v2, s[26:27]
	s_waitcnt vmcnt(1)
	v_readfirstlane_b32 s10, v10
	v_readfirstlane_b32 s11, v11
	s_and_b64 s[10:11], s[6:7], s[10:11]
	s_mul_i32 s16, s11, 24
	s_mul_hi_u32 s17, s10, 24
	s_mul_i32 s18, s10, 24
	s_add_i32 s17, s17, s16
	s_waitcnt vmcnt(0)
	v_add_co_u32 v8, vcc_lo, v4, s18
	v_add_co_ci_u32_e32 v9, vcc_lo, s17, v5, vcc_lo
	s_and_saveexec_b32 s16, s4
	s_cbranch_execz .LBB5_358
; %bb.357:
	v_mov_b32_e32 v10, s5
	v_mov_b32_e32 v11, v2
	;; [unrolled: 1-line block ×4, first 2 shown]
	global_store_dwordx4 v[8:9], v[10:13], off offset:8
.LBB5_358:
	s_or_b32 exec_lo, exec_lo, s16
	s_lshl_b64 s[10:11], s[10:11], 12
	s_mov_b32 s16, 0
	v_add_co_u32 v6, vcc_lo, v6, s10
	v_add_co_ci_u32_e32 v7, vcc_lo, s11, v7, vcc_lo
	s_mov_b32 s17, s16
	v_readfirstlane_b32 s10, v6
	v_add_co_u32 v6, vcc_lo, v6, v39
	s_mov_b32 s18, s16
	s_mov_b32 s19, s16
	v_and_or_b32 v0, 0xffffff1f, v0, 32
	v_mov_b32_e32 v3, v2
	v_readfirstlane_b32 s11, v7
	v_mov_b32_e32 v10, s16
	v_add_co_ci_u32_e32 v7, vcc_lo, 0, v7, vcc_lo
	v_mov_b32_e32 v11, s17
	v_mov_b32_e32 v12, s18
	;; [unrolled: 1-line block ×3, first 2 shown]
	global_store_dwordx4 v39, v[0:3], s[10:11]
	global_store_dwordx4 v39, v[10:13], s[10:11] offset:16
	global_store_dwordx4 v39, v[10:13], s[10:11] offset:32
	;; [unrolled: 1-line block ×3, first 2 shown]
	s_and_saveexec_b32 s5, s4
	s_cbranch_execz .LBB5_366
; %bb.359:
	v_mov_b32_e32 v10, 0
	v_mov_b32_e32 v11, s6
	;; [unrolled: 1-line block ×3, first 2 shown]
	s_clause 0x1
	global_load_dwordx2 v[13:14], v10, s[26:27] offset:32 glc dlc
	global_load_dwordx2 v[0:1], v10, s[26:27] offset:40
	s_waitcnt vmcnt(0)
	v_readfirstlane_b32 s10, v0
	v_readfirstlane_b32 s11, v1
	s_and_b64 s[10:11], s[10:11], s[6:7]
	s_mul_i32 s11, s11, 24
	s_mul_hi_u32 s16, s10, 24
	s_mul_i32 s10, s10, 24
	s_add_i32 s16, s16, s11
	v_add_co_u32 v4, vcc_lo, v4, s10
	v_add_co_ci_u32_e32 v5, vcc_lo, s16, v5, vcc_lo
	s_mov_b32 s10, exec_lo
	global_store_dwordx2 v[4:5], v[13:14], off
	s_waitcnt_vscnt null, 0x0
	global_atomic_cmpswap_x2 v[2:3], v10, v[11:14], s[26:27] offset:32 glc
	s_waitcnt vmcnt(0)
	v_cmpx_ne_u64_e64 v[2:3], v[13:14]
	s_cbranch_execz .LBB5_362
; %bb.360:
	s_mov_b32 s11, 0
.LBB5_361:                              ; =>This Inner Loop Header: Depth=1
	v_mov_b32_e32 v0, s6
	v_mov_b32_e32 v1, s7
	s_sleep 1
	global_store_dwordx2 v[4:5], v[2:3], off
	s_waitcnt_vscnt null, 0x0
	global_atomic_cmpswap_x2 v[0:1], v10, v[0:3], s[26:27] offset:32 glc
	s_waitcnt vmcnt(0)
	v_cmp_eq_u64_e32 vcc_lo, v[0:1], v[2:3]
	v_mov_b32_e32 v3, v1
	v_mov_b32_e32 v2, v0
	s_or_b32 s11, vcc_lo, s11
	s_andn2_b32 exec_lo, exec_lo, s11
	s_cbranch_execnz .LBB5_361
.LBB5_362:
	s_or_b32 exec_lo, exec_lo, s10
	v_mov_b32_e32 v3, 0
	s_mov_b32 s11, exec_lo
	s_mov_b32 s10, exec_lo
	v_mbcnt_lo_u32_b32 v2, s11, 0
	global_load_dwordx2 v[0:1], v3, s[26:27] offset:16
	v_cmpx_eq_u32_e32 0, v2
	s_cbranch_execz .LBB5_364
; %bb.363:
	s_bcnt1_i32_b32 s11, s11
	v_mov_b32_e32 v2, s11
	s_waitcnt vmcnt(0)
	global_atomic_add_x2 v[0:1], v[2:3], off offset:8
.LBB5_364:
	s_or_b32 exec_lo, exec_lo, s10
	s_waitcnt vmcnt(0)
	global_load_dwordx2 v[2:3], v[0:1], off offset:16
	s_waitcnt vmcnt(0)
	v_cmp_eq_u64_e32 vcc_lo, 0, v[2:3]
	s_cbranch_vccnz .LBB5_366
; %bb.365:
	global_load_dword v0, v[0:1], off offset:24
	v_mov_b32_e32 v1, 0
	s_waitcnt vmcnt(0)
	v_and_b32_e32 v4, 0x7fffff, v0
	s_waitcnt_vscnt null, 0x0
	global_store_dwordx2 v[2:3], v[0:1], off
	v_readfirstlane_b32 m0, v4
	s_sendmsg sendmsg(MSG_INTERRUPT)
.LBB5_366:
	s_or_b32 exec_lo, exec_lo, s5
	s_branch .LBB5_370
	.p2align	6
.LBB5_367:                              ;   in Loop: Header=BB5_370 Depth=1
	s_or_b32 exec_lo, exec_lo, s5
	v_readfirstlane_b32 s5, v0
	s_cmp_eq_u32 s5, 0
	s_cbranch_scc1 .LBB5_369
; %bb.368:                              ;   in Loop: Header=BB5_370 Depth=1
	s_sleep 1
	s_cbranch_execnz .LBB5_370
	s_branch .LBB5_372
	.p2align	6
.LBB5_369:
	s_branch .LBB5_372
.LBB5_370:                              ; =>This Inner Loop Header: Depth=1
	v_mov_b32_e32 v0, 1
	s_and_saveexec_b32 s5, s4
	s_cbranch_execz .LBB5_367
; %bb.371:                              ;   in Loop: Header=BB5_370 Depth=1
	global_load_dword v0, v[8:9], off offset:20 glc dlc
	s_waitcnt vmcnt(0)
	buffer_gl1_inv
	buffer_gl0_inv
	v_and_b32_e32 v0, 1, v0
	s_branch .LBB5_367
.LBB5_372:
	global_load_dwordx2 v[2:3], v[6:7], off
	s_and_saveexec_b32 s5, s4
	s_cbranch_execz .LBB5_376
; %bb.373:
	v_mov_b32_e32 v8, 0
	s_clause 0x2
	global_load_dwordx2 v[0:1], v8, s[26:27] offset:40
	global_load_dwordx2 v[9:10], v8, s[26:27] offset:24 glc dlc
	global_load_dwordx2 v[6:7], v8, s[26:27]
	s_waitcnt vmcnt(2)
	v_add_co_u32 v11, vcc_lo, v0, 1
	v_add_co_ci_u32_e32 v12, vcc_lo, 0, v1, vcc_lo
	v_add_co_u32 v4, vcc_lo, v11, s6
	v_add_co_ci_u32_e32 v5, vcc_lo, s7, v12, vcc_lo
	v_cmp_eq_u64_e32 vcc_lo, 0, v[4:5]
	v_cndmask_b32_e32 v5, v5, v12, vcc_lo
	v_cndmask_b32_e32 v4, v4, v11, vcc_lo
	v_and_b32_e32 v1, v5, v1
	v_and_b32_e32 v0, v4, v0
	v_mul_lo_u32 v1, v1, 24
	v_mul_hi_u32 v11, v0, 24
	v_mul_lo_u32 v0, v0, 24
	v_add_nc_u32_e32 v1, v11, v1
	s_waitcnt vmcnt(0)
	v_add_co_u32 v0, vcc_lo, v6, v0
	v_mov_b32_e32 v6, v9
	v_add_co_ci_u32_e32 v1, vcc_lo, v7, v1, vcc_lo
	v_mov_b32_e32 v7, v10
	global_store_dwordx2 v[0:1], v[9:10], off
	s_waitcnt_vscnt null, 0x0
	global_atomic_cmpswap_x2 v[6:7], v8, v[4:7], s[26:27] offset:24 glc
	s_waitcnt vmcnt(0)
	v_cmp_ne_u64_e32 vcc_lo, v[6:7], v[9:10]
	s_and_b32 exec_lo, exec_lo, vcc_lo
	s_cbranch_execz .LBB5_376
; %bb.374:
	s_mov_b32 s4, 0
.LBB5_375:                              ; =>This Inner Loop Header: Depth=1
	s_sleep 1
	global_store_dwordx2 v[0:1], v[6:7], off
	s_waitcnt_vscnt null, 0x0
	global_atomic_cmpswap_x2 v[9:10], v8, v[4:7], s[26:27] offset:24 glc
	s_waitcnt vmcnt(0)
	v_cmp_eq_u64_e32 vcc_lo, v[9:10], v[6:7]
	v_mov_b32_e32 v6, v9
	v_mov_b32_e32 v7, v10
	s_or_b32 s4, vcc_lo, s4
	s_andn2_b32 exec_lo, exec_lo, s4
	s_cbranch_execnz .LBB5_375
.LBB5_376:
	s_or_b32 exec_lo, exec_lo, s5
.LBB5_377:
	v_readfirstlane_b32 s4, v48
	s_waitcnt vmcnt(0)
	v_mov_b32_e32 v0, 0
	v_mov_b32_e32 v1, 0
	v_cmp_eq_u32_e64 s4, s4, v48
	s_and_saveexec_b32 s5, s4
	s_cbranch_execz .LBB5_383
; %bb.378:
	v_mov_b32_e32 v4, 0
	s_mov_b32 s6, exec_lo
	global_load_dwordx2 v[7:8], v4, s[26:27] offset:24 glc dlc
	s_waitcnt vmcnt(0)
	buffer_gl1_inv
	buffer_gl0_inv
	s_clause 0x1
	global_load_dwordx2 v[0:1], v4, s[26:27] offset:40
	global_load_dwordx2 v[5:6], v4, s[26:27]
	s_waitcnt vmcnt(1)
	v_and_b32_e32 v1, v1, v8
	v_and_b32_e32 v0, v0, v7
	v_mul_lo_u32 v1, v1, 24
	v_mul_hi_u32 v9, v0, 24
	v_mul_lo_u32 v0, v0, 24
	v_add_nc_u32_e32 v1, v9, v1
	s_waitcnt vmcnt(0)
	v_add_co_u32 v0, vcc_lo, v5, v0
	v_add_co_ci_u32_e32 v1, vcc_lo, v6, v1, vcc_lo
	global_load_dwordx2 v[5:6], v[0:1], off glc dlc
	s_waitcnt vmcnt(0)
	global_atomic_cmpswap_x2 v[0:1], v4, v[5:8], s[26:27] offset:24 glc
	s_waitcnt vmcnt(0)
	buffer_gl1_inv
	buffer_gl0_inv
	v_cmpx_ne_u64_e64 v[0:1], v[7:8]
	s_cbranch_execz .LBB5_382
; %bb.379:
	s_mov_b32 s7, 0
	.p2align	6
.LBB5_380:                              ; =>This Inner Loop Header: Depth=1
	s_sleep 1
	s_clause 0x1
	global_load_dwordx2 v[5:6], v4, s[26:27] offset:40
	global_load_dwordx2 v[9:10], v4, s[26:27]
	v_mov_b32_e32 v8, v1
	v_mov_b32_e32 v7, v0
	s_waitcnt vmcnt(1)
	v_and_b32_e32 v0, v5, v7
	v_and_b32_e32 v5, v6, v8
	s_waitcnt vmcnt(0)
	v_mad_u64_u32 v[0:1], null, v0, 24, v[9:10]
	v_mad_u64_u32 v[5:6], null, v5, 24, v[1:2]
	v_mov_b32_e32 v1, v5
	global_load_dwordx2 v[5:6], v[0:1], off glc dlc
	s_waitcnt vmcnt(0)
	global_atomic_cmpswap_x2 v[0:1], v4, v[5:8], s[26:27] offset:24 glc
	s_waitcnt vmcnt(0)
	buffer_gl1_inv
	buffer_gl0_inv
	v_cmp_eq_u64_e32 vcc_lo, v[0:1], v[7:8]
	s_or_b32 s7, vcc_lo, s7
	s_andn2_b32 exec_lo, exec_lo, s7
	s_cbranch_execnz .LBB5_380
; %bb.381:
	s_or_b32 exec_lo, exec_lo, s7
.LBB5_382:
	s_or_b32 exec_lo, exec_lo, s6
.LBB5_383:
	s_or_b32 exec_lo, exec_lo, s5
	v_mov_b32_e32 v5, 0
	v_readfirstlane_b32 s6, v0
	v_readfirstlane_b32 s7, v1
	s_mov_b32 s5, exec_lo
	s_clause 0x1
	global_load_dwordx2 v[10:11], v5, s[26:27] offset:40
	global_load_dwordx4 v[6:9], v5, s[26:27]
	s_waitcnt vmcnt(1)
	v_readfirstlane_b32 s10, v10
	v_readfirstlane_b32 s11, v11
	s_and_b64 s[10:11], s[6:7], s[10:11]
	s_mul_i32 s16, s11, 24
	s_mul_hi_u32 s17, s10, 24
	s_mul_i32 s18, s10, 24
	s_add_i32 s17, s17, s16
	s_waitcnt vmcnt(0)
	v_add_co_u32 v10, vcc_lo, v6, s18
	v_add_co_ci_u32_e32 v11, vcc_lo, s17, v7, vcc_lo
	s_and_saveexec_b32 s16, s4
	s_cbranch_execz .LBB5_385
; %bb.384:
	v_mov_b32_e32 v4, s5
	v_mov_b32_e32 v13, v5
	;; [unrolled: 1-line block ×5, first 2 shown]
	global_store_dwordx4 v[10:11], v[12:15], off offset:8
.LBB5_385:
	s_or_b32 exec_lo, exec_lo, s16
	s_lshl_b64 s[10:11], s[10:11], 12
	s_mov_b32 s16, 0
	v_add_co_u32 v0, vcc_lo, v8, s10
	v_add_co_ci_u32_e32 v1, vcc_lo, s11, v9, vcc_lo
	s_mov_b32 s17, s16
	s_mov_b32 s18, s16
	;; [unrolled: 1-line block ×3, first 2 shown]
	v_and_or_b32 v2, 0xffffff1d, v2, 34
	v_mov_b32_e32 v4, 10
	v_readfirstlane_b32 s10, v0
	v_readfirstlane_b32 s11, v1
	v_mov_b32_e32 v12, s16
	v_mov_b32_e32 v13, s17
	;; [unrolled: 1-line block ×4, first 2 shown]
	global_store_dwordx4 v39, v[2:5], s[10:11]
	global_store_dwordx4 v39, v[12:15], s[10:11] offset:16
	global_store_dwordx4 v39, v[12:15], s[10:11] offset:32
	;; [unrolled: 1-line block ×3, first 2 shown]
	s_and_saveexec_b32 s5, s4
	s_cbranch_execz .LBB5_393
; %bb.386:
	v_mov_b32_e32 v8, 0
	v_mov_b32_e32 v12, s6
	;; [unrolled: 1-line block ×3, first 2 shown]
	s_clause 0x1
	global_load_dwordx2 v[14:15], v8, s[26:27] offset:32 glc dlc
	global_load_dwordx2 v[0:1], v8, s[26:27] offset:40
	s_waitcnt vmcnt(0)
	v_readfirstlane_b32 s10, v0
	v_readfirstlane_b32 s11, v1
	s_and_b64 s[10:11], s[10:11], s[6:7]
	s_mul_i32 s11, s11, 24
	s_mul_hi_u32 s16, s10, 24
	s_mul_i32 s10, s10, 24
	s_add_i32 s16, s16, s11
	v_add_co_u32 v4, vcc_lo, v6, s10
	v_add_co_ci_u32_e32 v5, vcc_lo, s16, v7, vcc_lo
	s_mov_b32 s10, exec_lo
	global_store_dwordx2 v[4:5], v[14:15], off
	s_waitcnt_vscnt null, 0x0
	global_atomic_cmpswap_x2 v[2:3], v8, v[12:15], s[26:27] offset:32 glc
	s_waitcnt vmcnt(0)
	v_cmpx_ne_u64_e64 v[2:3], v[14:15]
	s_cbranch_execz .LBB5_389
; %bb.387:
	s_mov_b32 s11, 0
.LBB5_388:                              ; =>This Inner Loop Header: Depth=1
	v_mov_b32_e32 v0, s6
	v_mov_b32_e32 v1, s7
	s_sleep 1
	global_store_dwordx2 v[4:5], v[2:3], off
	s_waitcnt_vscnt null, 0x0
	global_atomic_cmpswap_x2 v[0:1], v8, v[0:3], s[26:27] offset:32 glc
	s_waitcnt vmcnt(0)
	v_cmp_eq_u64_e32 vcc_lo, v[0:1], v[2:3]
	v_mov_b32_e32 v3, v1
	v_mov_b32_e32 v2, v0
	s_or_b32 s11, vcc_lo, s11
	s_andn2_b32 exec_lo, exec_lo, s11
	s_cbranch_execnz .LBB5_388
.LBB5_389:
	s_or_b32 exec_lo, exec_lo, s10
	v_mov_b32_e32 v3, 0
	s_mov_b32 s11, exec_lo
	s_mov_b32 s10, exec_lo
	v_mbcnt_lo_u32_b32 v2, s11, 0
	global_load_dwordx2 v[0:1], v3, s[26:27] offset:16
	v_cmpx_eq_u32_e32 0, v2
	s_cbranch_execz .LBB5_391
; %bb.390:
	s_bcnt1_i32_b32 s11, s11
	v_mov_b32_e32 v2, s11
	s_waitcnt vmcnt(0)
	global_atomic_add_x2 v[0:1], v[2:3], off offset:8
.LBB5_391:
	s_or_b32 exec_lo, exec_lo, s10
	s_waitcnt vmcnt(0)
	global_load_dwordx2 v[2:3], v[0:1], off offset:16
	s_waitcnt vmcnt(0)
	v_cmp_eq_u64_e32 vcc_lo, 0, v[2:3]
	s_cbranch_vccnz .LBB5_393
; %bb.392:
	global_load_dword v0, v[0:1], off offset:24
	v_mov_b32_e32 v1, 0
	s_waitcnt vmcnt(0)
	v_and_b32_e32 v4, 0x7fffff, v0
	s_waitcnt_vscnt null, 0x0
	global_store_dwordx2 v[2:3], v[0:1], off
	v_readfirstlane_b32 m0, v4
	s_sendmsg sendmsg(MSG_INTERRUPT)
.LBB5_393:
	s_or_b32 exec_lo, exec_lo, s5
	s_branch .LBB5_397
	.p2align	6
.LBB5_394:                              ;   in Loop: Header=BB5_397 Depth=1
	s_or_b32 exec_lo, exec_lo, s5
	v_readfirstlane_b32 s5, v0
	s_cmp_eq_u32 s5, 0
	s_cbranch_scc1 .LBB5_396
; %bb.395:                              ;   in Loop: Header=BB5_397 Depth=1
	s_sleep 1
	s_cbranch_execnz .LBB5_397
	s_branch .LBB5_399
	.p2align	6
.LBB5_396:
	s_branch .LBB5_399
.LBB5_397:                              ; =>This Inner Loop Header: Depth=1
	v_mov_b32_e32 v0, 1
	s_and_saveexec_b32 s5, s4
	s_cbranch_execz .LBB5_394
; %bb.398:                              ;   in Loop: Header=BB5_397 Depth=1
	global_load_dword v0, v[10:11], off offset:20 glc dlc
	s_waitcnt vmcnt(0)
	buffer_gl1_inv
	buffer_gl0_inv
	v_and_b32_e32 v0, 1, v0
	s_branch .LBB5_394
.LBB5_399:
	s_and_saveexec_b32 s5, s4
	s_cbranch_execz .LBB5_403
; %bb.400:
	v_mov_b32_e32 v6, 0
	s_clause 0x2
	global_load_dwordx2 v[2:3], v6, s[26:27] offset:40
	global_load_dwordx2 v[7:8], v6, s[26:27] offset:24 glc dlc
	global_load_dwordx2 v[4:5], v6, s[26:27]
	s_waitcnt vmcnt(2)
	v_add_co_u32 v9, vcc_lo, v2, 1
	v_add_co_ci_u32_e32 v10, vcc_lo, 0, v3, vcc_lo
	v_add_co_u32 v0, vcc_lo, v9, s6
	v_add_co_ci_u32_e32 v1, vcc_lo, s7, v10, vcc_lo
	v_cmp_eq_u64_e32 vcc_lo, 0, v[0:1]
	v_cndmask_b32_e32 v1, v1, v10, vcc_lo
	v_cndmask_b32_e32 v0, v0, v9, vcc_lo
	v_and_b32_e32 v3, v1, v3
	v_and_b32_e32 v2, v0, v2
	v_mul_lo_u32 v3, v3, 24
	v_mul_hi_u32 v9, v2, 24
	v_mul_lo_u32 v2, v2, 24
	v_add_nc_u32_e32 v3, v9, v3
	s_waitcnt vmcnt(0)
	v_add_co_u32 v4, vcc_lo, v4, v2
	v_mov_b32_e32 v2, v7
	v_add_co_ci_u32_e32 v5, vcc_lo, v5, v3, vcc_lo
	v_mov_b32_e32 v3, v8
	global_store_dwordx2 v[4:5], v[7:8], off
	s_waitcnt_vscnt null, 0x0
	global_atomic_cmpswap_x2 v[2:3], v6, v[0:3], s[26:27] offset:24 glc
	s_waitcnt vmcnt(0)
	v_cmp_ne_u64_e32 vcc_lo, v[2:3], v[7:8]
	s_and_b32 exec_lo, exec_lo, vcc_lo
	s_cbranch_execz .LBB5_403
; %bb.401:
	s_mov_b32 s4, 0
.LBB5_402:                              ; =>This Inner Loop Header: Depth=1
	s_sleep 1
	global_store_dwordx2 v[4:5], v[2:3], off
	s_waitcnt_vscnt null, 0x0
	global_atomic_cmpswap_x2 v[7:8], v6, v[0:3], s[26:27] offset:24 glc
	s_waitcnt vmcnt(0)
	v_cmp_eq_u64_e32 vcc_lo, v[7:8], v[2:3]
	v_mov_b32_e32 v2, v7
	v_mov_b32_e32 v3, v8
	s_or_b32 s4, vcc_lo, s4
	s_andn2_b32 exec_lo, exec_lo, s4
	s_cbranch_execnz .LBB5_402
.LBB5_403:
	s_or_b32 exec_lo, exec_lo, s5
	v_readfirstlane_b32 s4, v48
	v_mov_b32_e32 v6, 0
	v_mov_b32_e32 v7, 0
	v_cmp_eq_u32_e64 s4, s4, v48
	s_and_saveexec_b32 s5, s4
	s_cbranch_execz .LBB5_409
; %bb.404:
	v_mov_b32_e32 v0, 0
	s_mov_b32 s6, exec_lo
	global_load_dwordx2 v[3:4], v0, s[26:27] offset:24 glc dlc
	s_waitcnt vmcnt(0)
	buffer_gl1_inv
	buffer_gl0_inv
	s_clause 0x1
	global_load_dwordx2 v[1:2], v0, s[26:27] offset:40
	global_load_dwordx2 v[5:6], v0, s[26:27]
	s_waitcnt vmcnt(1)
	v_and_b32_e32 v2, v2, v4
	v_and_b32_e32 v1, v1, v3
	v_mul_lo_u32 v2, v2, 24
	v_mul_hi_u32 v7, v1, 24
	v_mul_lo_u32 v1, v1, 24
	v_add_nc_u32_e32 v2, v7, v2
	s_waitcnt vmcnt(0)
	v_add_co_u32 v1, vcc_lo, v5, v1
	v_add_co_ci_u32_e32 v2, vcc_lo, v6, v2, vcc_lo
	global_load_dwordx2 v[1:2], v[1:2], off glc dlc
	s_waitcnt vmcnt(0)
	global_atomic_cmpswap_x2 v[6:7], v0, v[1:4], s[26:27] offset:24 glc
	s_waitcnt vmcnt(0)
	buffer_gl1_inv
	buffer_gl0_inv
	v_cmpx_ne_u64_e64 v[6:7], v[3:4]
	s_cbranch_execz .LBB5_408
; %bb.405:
	s_mov_b32 s7, 0
	.p2align	6
.LBB5_406:                              ; =>This Inner Loop Header: Depth=1
	s_sleep 1
	s_clause 0x1
	global_load_dwordx2 v[1:2], v0, s[26:27] offset:40
	global_load_dwordx2 v[8:9], v0, s[26:27]
	v_mov_b32_e32 v3, v6
	v_mov_b32_e32 v4, v7
	s_waitcnt vmcnt(1)
	v_and_b32_e32 v1, v1, v3
	v_and_b32_e32 v2, v2, v4
	s_waitcnt vmcnt(0)
	v_mad_u64_u32 v[5:6], null, v1, 24, v[8:9]
	v_mov_b32_e32 v1, v6
	v_mad_u64_u32 v[1:2], null, v2, 24, v[1:2]
	v_mov_b32_e32 v6, v1
	global_load_dwordx2 v[1:2], v[5:6], off glc dlc
	s_waitcnt vmcnt(0)
	global_atomic_cmpswap_x2 v[6:7], v0, v[1:4], s[26:27] offset:24 glc
	s_waitcnt vmcnt(0)
	buffer_gl1_inv
	buffer_gl0_inv
	v_cmp_eq_u64_e32 vcc_lo, v[6:7], v[3:4]
	s_or_b32 s7, vcc_lo, s7
	s_andn2_b32 exec_lo, exec_lo, s7
	s_cbranch_execnz .LBB5_406
; %bb.407:
	s_or_b32 exec_lo, exec_lo, s7
.LBB5_408:
	s_or_b32 exec_lo, exec_lo, s6
.LBB5_409:
	s_or_b32 exec_lo, exec_lo, s5
	v_mov_b32_e32 v5, 0
	v_readfirstlane_b32 s6, v6
	v_readfirstlane_b32 s7, v7
	s_mov_b32 s5, exec_lo
	s_clause 0x1
	global_load_dwordx2 v[8:9], v5, s[26:27] offset:40
	global_load_dwordx4 v[0:3], v5, s[26:27]
	s_waitcnt vmcnt(1)
	v_readfirstlane_b32 s10, v8
	v_readfirstlane_b32 s11, v9
	s_and_b64 s[10:11], s[6:7], s[10:11]
	s_mul_i32 s16, s11, 24
	s_mul_hi_u32 s17, s10, 24
	s_mul_i32 s18, s10, 24
	s_add_i32 s17, s17, s16
	s_waitcnt vmcnt(0)
	v_add_co_u32 v8, vcc_lo, v0, s18
	v_add_co_ci_u32_e32 v9, vcc_lo, s17, v1, vcc_lo
	s_and_saveexec_b32 s16, s4
	s_cbranch_execz .LBB5_411
; %bb.410:
	v_mov_b32_e32 v4, s5
	v_mov_b32_e32 v6, 2
	;; [unrolled: 1-line block ×3, first 2 shown]
	global_store_dwordx4 v[8:9], v[4:7], off offset:8
.LBB5_411:
	s_or_b32 exec_lo, exec_lo, s16
	s_lshl_b64 s[10:11], s[10:11], 12
	s_mov_b32 s16, 0
	v_add_co_u32 v2, vcc_lo, v2, s10
	v_add_co_ci_u32_e32 v3, vcc_lo, s11, v3, vcc_lo
	s_mov_b32 s17, s16
	v_add_co_u32 v10, vcc_lo, v2, v39
	s_mov_b32 s18, s16
	s_mov_b32 s19, s16
	v_mov_b32_e32 v4, 33
	v_mov_b32_e32 v6, v5
	;; [unrolled: 1-line block ×3, first 2 shown]
	v_readfirstlane_b32 s10, v2
	v_readfirstlane_b32 s11, v3
	v_mov_b32_e32 v12, s16
	v_add_co_ci_u32_e32 v11, vcc_lo, 0, v3, vcc_lo
	v_mov_b32_e32 v13, s17
	v_mov_b32_e32 v14, s18
	;; [unrolled: 1-line block ×3, first 2 shown]
	global_store_dwordx4 v39, v[4:7], s[10:11]
	global_store_dwordx4 v39, v[12:15], s[10:11] offset:16
	global_store_dwordx4 v39, v[12:15], s[10:11] offset:32
	global_store_dwordx4 v39, v[12:15], s[10:11] offset:48
	s_and_saveexec_b32 s5, s4
	s_cbranch_execz .LBB5_419
; %bb.412:
	v_mov_b32_e32 v6, 0
	v_mov_b32_e32 v12, s6
	;; [unrolled: 1-line block ×3, first 2 shown]
	s_clause 0x1
	global_load_dwordx2 v[14:15], v6, s[26:27] offset:32 glc dlc
	global_load_dwordx2 v[2:3], v6, s[26:27] offset:40
	s_waitcnt vmcnt(0)
	v_readfirstlane_b32 s10, v2
	v_readfirstlane_b32 s11, v3
	s_and_b64 s[10:11], s[10:11], s[6:7]
	s_mul_i32 s11, s11, 24
	s_mul_hi_u32 s16, s10, 24
	s_mul_i32 s10, s10, 24
	s_add_i32 s16, s16, s11
	v_add_co_u32 v4, vcc_lo, v0, s10
	v_add_co_ci_u32_e32 v5, vcc_lo, s16, v1, vcc_lo
	s_mov_b32 s10, exec_lo
	global_store_dwordx2 v[4:5], v[14:15], off
	s_waitcnt_vscnt null, 0x0
	global_atomic_cmpswap_x2 v[2:3], v6, v[12:15], s[26:27] offset:32 glc
	s_waitcnt vmcnt(0)
	v_cmpx_ne_u64_e64 v[2:3], v[14:15]
	s_cbranch_execz .LBB5_415
; %bb.413:
	s_mov_b32 s11, 0
.LBB5_414:                              ; =>This Inner Loop Header: Depth=1
	v_mov_b32_e32 v0, s6
	v_mov_b32_e32 v1, s7
	s_sleep 1
	global_store_dwordx2 v[4:5], v[2:3], off
	s_waitcnt_vscnt null, 0x0
	global_atomic_cmpswap_x2 v[0:1], v6, v[0:3], s[26:27] offset:32 glc
	s_waitcnt vmcnt(0)
	v_cmp_eq_u64_e32 vcc_lo, v[0:1], v[2:3]
	v_mov_b32_e32 v3, v1
	v_mov_b32_e32 v2, v0
	s_or_b32 s11, vcc_lo, s11
	s_andn2_b32 exec_lo, exec_lo, s11
	s_cbranch_execnz .LBB5_414
.LBB5_415:
	s_or_b32 exec_lo, exec_lo, s10
	v_mov_b32_e32 v3, 0
	s_mov_b32 s11, exec_lo
	s_mov_b32 s10, exec_lo
	v_mbcnt_lo_u32_b32 v2, s11, 0
	global_load_dwordx2 v[0:1], v3, s[26:27] offset:16
	v_cmpx_eq_u32_e32 0, v2
	s_cbranch_execz .LBB5_417
; %bb.416:
	s_bcnt1_i32_b32 s11, s11
	v_mov_b32_e32 v2, s11
	s_waitcnt vmcnt(0)
	global_atomic_add_x2 v[0:1], v[2:3], off offset:8
.LBB5_417:
	s_or_b32 exec_lo, exec_lo, s10
	s_waitcnt vmcnt(0)
	global_load_dwordx2 v[2:3], v[0:1], off offset:16
	s_waitcnt vmcnt(0)
	v_cmp_eq_u64_e32 vcc_lo, 0, v[2:3]
	s_cbranch_vccnz .LBB5_419
; %bb.418:
	global_load_dword v0, v[0:1], off offset:24
	v_mov_b32_e32 v1, 0
	s_waitcnt vmcnt(0)
	v_and_b32_e32 v4, 0x7fffff, v0
	s_waitcnt_vscnt null, 0x0
	global_store_dwordx2 v[2:3], v[0:1], off
	v_readfirstlane_b32 m0, v4
	s_sendmsg sendmsg(MSG_INTERRUPT)
.LBB5_419:
	s_or_b32 exec_lo, exec_lo, s5
	s_branch .LBB5_423
	.p2align	6
.LBB5_420:                              ;   in Loop: Header=BB5_423 Depth=1
	s_or_b32 exec_lo, exec_lo, s5
	v_readfirstlane_b32 s5, v0
	s_cmp_eq_u32 s5, 0
	s_cbranch_scc1 .LBB5_422
; %bb.421:                              ;   in Loop: Header=BB5_423 Depth=1
	s_sleep 1
	s_cbranch_execnz .LBB5_423
	s_branch .LBB5_425
	.p2align	6
.LBB5_422:
	s_branch .LBB5_425
.LBB5_423:                              ; =>This Inner Loop Header: Depth=1
	v_mov_b32_e32 v0, 1
	s_and_saveexec_b32 s5, s4
	s_cbranch_execz .LBB5_420
; %bb.424:                              ;   in Loop: Header=BB5_423 Depth=1
	global_load_dword v0, v[8:9], off offset:20 glc dlc
	s_waitcnt vmcnt(0)
	buffer_gl1_inv
	buffer_gl0_inv
	v_and_b32_e32 v0, 1, v0
	s_branch .LBB5_420
.LBB5_425:
	global_load_dwordx2 v[4:5], v[10:11], off
	s_and_saveexec_b32 s5, s4
	s_cbranch_execz .LBB5_429
; %bb.426:
	v_mov_b32_e32 v8, 0
	s_clause 0x2
	global_load_dwordx2 v[2:3], v8, s[26:27] offset:40
	global_load_dwordx2 v[9:10], v8, s[26:27] offset:24 glc dlc
	global_load_dwordx2 v[6:7], v8, s[26:27]
	s_waitcnt vmcnt(2)
	v_add_co_u32 v11, vcc_lo, v2, 1
	v_add_co_ci_u32_e32 v12, vcc_lo, 0, v3, vcc_lo
	v_add_co_u32 v0, vcc_lo, v11, s6
	v_add_co_ci_u32_e32 v1, vcc_lo, s7, v12, vcc_lo
	v_cmp_eq_u64_e32 vcc_lo, 0, v[0:1]
	v_cndmask_b32_e32 v1, v1, v12, vcc_lo
	v_cndmask_b32_e32 v0, v0, v11, vcc_lo
	v_and_b32_e32 v3, v1, v3
	v_and_b32_e32 v2, v0, v2
	v_mul_lo_u32 v3, v3, 24
	v_mul_hi_u32 v11, v2, 24
	v_mul_lo_u32 v2, v2, 24
	v_add_nc_u32_e32 v3, v11, v3
	s_waitcnt vmcnt(0)
	v_add_co_u32 v6, vcc_lo, v6, v2
	v_mov_b32_e32 v2, v9
	v_add_co_ci_u32_e32 v7, vcc_lo, v7, v3, vcc_lo
	v_mov_b32_e32 v3, v10
	global_store_dwordx2 v[6:7], v[9:10], off
	s_waitcnt_vscnt null, 0x0
	global_atomic_cmpswap_x2 v[2:3], v8, v[0:3], s[26:27] offset:24 glc
	s_waitcnt vmcnt(0)
	v_cmp_ne_u64_e32 vcc_lo, v[2:3], v[9:10]
	s_and_b32 exec_lo, exec_lo, vcc_lo
	s_cbranch_execz .LBB5_429
; %bb.427:
	s_mov_b32 s4, 0
.LBB5_428:                              ; =>This Inner Loop Header: Depth=1
	s_sleep 1
	global_store_dwordx2 v[6:7], v[2:3], off
	s_waitcnt_vscnt null, 0x0
	global_atomic_cmpswap_x2 v[9:10], v8, v[0:3], s[26:27] offset:24 glc
	s_waitcnt vmcnt(0)
	v_cmp_eq_u64_e32 vcc_lo, v[9:10], v[2:3]
	v_mov_b32_e32 v2, v9
	v_mov_b32_e32 v3, v10
	s_or_b32 s4, vcc_lo, s4
	s_andn2_b32 exec_lo, exec_lo, s4
	s_cbranch_execnz .LBB5_428
.LBB5_429:
	s_or_b32 exec_lo, exec_lo, s5
	s_and_b32 vcc_lo, exec_lo, s15
	s_cbranch_vccz .LBB5_508
; %bb.430:
	s_waitcnt vmcnt(0)
	v_and_b32_e32 v28, 2, v4
	v_mov_b32_e32 v7, 0
	v_and_b32_e32 v0, -3, v4
	v_mov_b32_e32 v1, v5
	v_mov_b32_e32 v8, 2
	;; [unrolled: 1-line block ×3, first 2 shown]
	s_mov_b64 s[10:11], 3
	s_getpc_b64 s[6:7]
	s_add_u32 s6, s6, .str.5@rel32@lo+4
	s_addc_u32 s7, s7, .str.5@rel32@hi+12
	s_branch .LBB5_432
.LBB5_431:                              ;   in Loop: Header=BB5_432 Depth=1
	s_or_b32 exec_lo, exec_lo, s5
	s_sub_u32 s10, s10, s16
	s_subb_u32 s11, s11, s17
	s_add_u32 s6, s6, s16
	s_addc_u32 s7, s7, s17
	s_cmp_lg_u64 s[10:11], 0
	s_cbranch_scc0 .LBB5_507
.LBB5_432:                              ; =>This Loop Header: Depth=1
                                        ;     Child Loop BB5_441 Depth 2
                                        ;     Child Loop BB5_437 Depth 2
	;; [unrolled: 1-line block ×11, first 2 shown]
	v_cmp_lt_u64_e64 s4, s[10:11], 56
	v_cmp_gt_u64_e64 s5, s[10:11], 7
                                        ; implicit-def: $vgpr2_vgpr3
                                        ; implicit-def: $sgpr22
	s_and_b32 s4, s4, exec_lo
	s_cselect_b32 s17, s11, 0
	s_cselect_b32 s16, s10, 56
	s_and_b32 vcc_lo, exec_lo, s5
	s_mov_b32 s4, -1
	s_cbranch_vccz .LBB5_439
; %bb.433:                              ;   in Loop: Header=BB5_432 Depth=1
	s_andn2_b32 vcc_lo, exec_lo, s4
	s_mov_b64 s[4:5], s[6:7]
	s_cbranch_vccz .LBB5_443
.LBB5_434:                              ;   in Loop: Header=BB5_432 Depth=1
	s_cmp_gt_u32 s22, 7
	s_cbranch_scc1 .LBB5_444
.LBB5_435:                              ;   in Loop: Header=BB5_432 Depth=1
	v_mov_b32_e32 v10, 0
	v_mov_b32_e32 v11, 0
	s_cmp_eq_u32 s22, 0
	s_cbranch_scc1 .LBB5_438
; %bb.436:                              ;   in Loop: Header=BB5_432 Depth=1
	s_mov_b64 s[18:19], 0
	s_mov_b64 s[20:21], 0
.LBB5_437:                              ;   Parent Loop BB5_432 Depth=1
                                        ; =>  This Inner Loop Header: Depth=2
	s_add_u32 s24, s4, s20
	s_addc_u32 s25, s5, s21
	s_add_u32 s20, s20, 1
	global_load_ubyte v6, v7, s[24:25]
	s_addc_u32 s21, s21, 0
	s_waitcnt vmcnt(0)
	v_and_b32_e32 v6, 0xffff, v6
	v_lshlrev_b64 v[12:13], s18, v[6:7]
	s_add_u32 s18, s18, 8
	s_addc_u32 s19, s19, 0
	s_cmp_lg_u32 s22, s20
	v_or_b32_e32 v10, v12, v10
	v_or_b32_e32 v11, v13, v11
	s_cbranch_scc1 .LBB5_437
.LBB5_438:                              ;   in Loop: Header=BB5_432 Depth=1
	s_mov_b32 s23, 0
	s_cbranch_execz .LBB5_445
	s_branch .LBB5_446
.LBB5_439:                              ;   in Loop: Header=BB5_432 Depth=1
	s_waitcnt vmcnt(0)
	v_mov_b32_e32 v2, 0
	v_mov_b32_e32 v3, 0
	s_cmp_eq_u64 s[10:11], 0
	s_mov_b64 s[4:5], 0
	s_cbranch_scc1 .LBB5_442
; %bb.440:                              ;   in Loop: Header=BB5_432 Depth=1
	v_mov_b32_e32 v2, 0
	v_mov_b32_e32 v3, 0
	s_lshl_b64 s[18:19], s[16:17], 3
	s_mov_b64 s[20:21], s[6:7]
.LBB5_441:                              ;   Parent Loop BB5_432 Depth=1
                                        ; =>  This Inner Loop Header: Depth=2
	global_load_ubyte v6, v7, s[20:21]
	s_waitcnt vmcnt(0)
	v_and_b32_e32 v6, 0xffff, v6
	v_lshlrev_b64 v[10:11], s4, v[6:7]
	s_add_u32 s4, s4, 8
	s_addc_u32 s5, s5, 0
	s_add_u32 s20, s20, 1
	s_addc_u32 s21, s21, 0
	s_cmp_lg_u32 s18, s4
	v_or_b32_e32 v2, v10, v2
	v_or_b32_e32 v3, v11, v3
	s_cbranch_scc1 .LBB5_441
.LBB5_442:                              ;   in Loop: Header=BB5_432 Depth=1
	s_mov_b32 s22, 0
	s_mov_b64 s[4:5], s[6:7]
	s_cbranch_execnz .LBB5_434
.LBB5_443:                              ;   in Loop: Header=BB5_432 Depth=1
	global_load_dwordx2 v[2:3], v7, s[6:7]
	s_add_i32 s22, s16, -8
	s_add_u32 s4, s6, 8
	s_addc_u32 s5, s7, 0
	s_cmp_gt_u32 s22, 7
	s_cbranch_scc0 .LBB5_435
.LBB5_444:                              ;   in Loop: Header=BB5_432 Depth=1
                                        ; implicit-def: $vgpr10_vgpr11
                                        ; implicit-def: $sgpr23
.LBB5_445:                              ;   in Loop: Header=BB5_432 Depth=1
	global_load_dwordx2 v[10:11], v7, s[4:5]
	s_add_i32 s23, s22, -8
	s_add_u32 s4, s4, 8
	s_addc_u32 s5, s5, 0
.LBB5_446:                              ;   in Loop: Header=BB5_432 Depth=1
	s_cmp_gt_u32 s23, 7
	s_cbranch_scc1 .LBB5_451
; %bb.447:                              ;   in Loop: Header=BB5_432 Depth=1
	v_mov_b32_e32 v12, 0
	v_mov_b32_e32 v13, 0
	s_cmp_eq_u32 s23, 0
	s_cbranch_scc1 .LBB5_450
; %bb.448:                              ;   in Loop: Header=BB5_432 Depth=1
	s_mov_b64 s[18:19], 0
	s_mov_b64 s[20:21], 0
.LBB5_449:                              ;   Parent Loop BB5_432 Depth=1
                                        ; =>  This Inner Loop Header: Depth=2
	s_add_u32 s24, s4, s20
	s_addc_u32 s25, s5, s21
	s_add_u32 s20, s20, 1
	global_load_ubyte v6, v7, s[24:25]
	s_addc_u32 s21, s21, 0
	s_waitcnt vmcnt(0)
	v_and_b32_e32 v6, 0xffff, v6
	v_lshlrev_b64 v[14:15], s18, v[6:7]
	s_add_u32 s18, s18, 8
	s_addc_u32 s19, s19, 0
	s_cmp_lg_u32 s23, s20
	v_or_b32_e32 v12, v14, v12
	v_or_b32_e32 v13, v15, v13
	s_cbranch_scc1 .LBB5_449
.LBB5_450:                              ;   in Loop: Header=BB5_432 Depth=1
	s_mov_b32 s22, 0
	s_cbranch_execz .LBB5_452
	s_branch .LBB5_453
.LBB5_451:                              ;   in Loop: Header=BB5_432 Depth=1
                                        ; implicit-def: $sgpr22
.LBB5_452:                              ;   in Loop: Header=BB5_432 Depth=1
	global_load_dwordx2 v[12:13], v7, s[4:5]
	s_add_i32 s22, s23, -8
	s_add_u32 s4, s4, 8
	s_addc_u32 s5, s5, 0
.LBB5_453:                              ;   in Loop: Header=BB5_432 Depth=1
	s_cmp_gt_u32 s22, 7
	s_cbranch_scc1 .LBB5_458
; %bb.454:                              ;   in Loop: Header=BB5_432 Depth=1
	v_mov_b32_e32 v14, 0
	v_mov_b32_e32 v15, 0
	s_cmp_eq_u32 s22, 0
	s_cbranch_scc1 .LBB5_457
; %bb.455:                              ;   in Loop: Header=BB5_432 Depth=1
	s_mov_b64 s[18:19], 0
	s_mov_b64 s[20:21], 0
.LBB5_456:                              ;   Parent Loop BB5_432 Depth=1
                                        ; =>  This Inner Loop Header: Depth=2
	s_add_u32 s24, s4, s20
	s_addc_u32 s25, s5, s21
	s_add_u32 s20, s20, 1
	global_load_ubyte v6, v7, s[24:25]
	s_addc_u32 s21, s21, 0
	s_waitcnt vmcnt(0)
	v_and_b32_e32 v6, 0xffff, v6
	v_lshlrev_b64 v[16:17], s18, v[6:7]
	s_add_u32 s18, s18, 8
	s_addc_u32 s19, s19, 0
	s_cmp_lg_u32 s22, s20
	v_or_b32_e32 v14, v16, v14
	v_or_b32_e32 v15, v17, v15
	s_cbranch_scc1 .LBB5_456
.LBB5_457:                              ;   in Loop: Header=BB5_432 Depth=1
	s_mov_b32 s23, 0
	s_cbranch_execz .LBB5_459
	s_branch .LBB5_460
.LBB5_458:                              ;   in Loop: Header=BB5_432 Depth=1
                                        ; implicit-def: $vgpr14_vgpr15
                                        ; implicit-def: $sgpr23
.LBB5_459:                              ;   in Loop: Header=BB5_432 Depth=1
	global_load_dwordx2 v[14:15], v7, s[4:5]
	s_add_i32 s23, s22, -8
	s_add_u32 s4, s4, 8
	s_addc_u32 s5, s5, 0
.LBB5_460:                              ;   in Loop: Header=BB5_432 Depth=1
	s_cmp_gt_u32 s23, 7
	s_cbranch_scc1 .LBB5_465
; %bb.461:                              ;   in Loop: Header=BB5_432 Depth=1
	v_mov_b32_e32 v16, 0
	v_mov_b32_e32 v17, 0
	s_cmp_eq_u32 s23, 0
	s_cbranch_scc1 .LBB5_464
; %bb.462:                              ;   in Loop: Header=BB5_432 Depth=1
	s_mov_b64 s[18:19], 0
	s_mov_b64 s[20:21], 0
.LBB5_463:                              ;   Parent Loop BB5_432 Depth=1
                                        ; =>  This Inner Loop Header: Depth=2
	s_add_u32 s24, s4, s20
	s_addc_u32 s25, s5, s21
	s_add_u32 s20, s20, 1
	global_load_ubyte v6, v7, s[24:25]
	s_addc_u32 s21, s21, 0
	s_waitcnt vmcnt(0)
	v_and_b32_e32 v6, 0xffff, v6
	v_lshlrev_b64 v[18:19], s18, v[6:7]
	s_add_u32 s18, s18, 8
	s_addc_u32 s19, s19, 0
	s_cmp_lg_u32 s23, s20
	v_or_b32_e32 v16, v18, v16
	v_or_b32_e32 v17, v19, v17
	s_cbranch_scc1 .LBB5_463
.LBB5_464:                              ;   in Loop: Header=BB5_432 Depth=1
	s_mov_b32 s22, 0
	s_cbranch_execz .LBB5_466
	s_branch .LBB5_467
.LBB5_465:                              ;   in Loop: Header=BB5_432 Depth=1
                                        ; implicit-def: $sgpr22
.LBB5_466:                              ;   in Loop: Header=BB5_432 Depth=1
	global_load_dwordx2 v[16:17], v7, s[4:5]
	s_add_i32 s22, s23, -8
	s_add_u32 s4, s4, 8
	s_addc_u32 s5, s5, 0
.LBB5_467:                              ;   in Loop: Header=BB5_432 Depth=1
	s_cmp_gt_u32 s22, 7
	s_cbranch_scc1 .LBB5_472
; %bb.468:                              ;   in Loop: Header=BB5_432 Depth=1
	v_mov_b32_e32 v18, 0
	v_mov_b32_e32 v19, 0
	s_cmp_eq_u32 s22, 0
	s_cbranch_scc1 .LBB5_471
; %bb.469:                              ;   in Loop: Header=BB5_432 Depth=1
	s_mov_b64 s[18:19], 0
	s_mov_b64 s[20:21], 0
.LBB5_470:                              ;   Parent Loop BB5_432 Depth=1
                                        ; =>  This Inner Loop Header: Depth=2
	s_add_u32 s24, s4, s20
	s_addc_u32 s25, s5, s21
	s_add_u32 s20, s20, 1
	global_load_ubyte v6, v7, s[24:25]
	s_addc_u32 s21, s21, 0
	s_waitcnt vmcnt(0)
	v_and_b32_e32 v6, 0xffff, v6
	v_lshlrev_b64 v[20:21], s18, v[6:7]
	s_add_u32 s18, s18, 8
	s_addc_u32 s19, s19, 0
	s_cmp_lg_u32 s22, s20
	v_or_b32_e32 v18, v20, v18
	v_or_b32_e32 v19, v21, v19
	s_cbranch_scc1 .LBB5_470
.LBB5_471:                              ;   in Loop: Header=BB5_432 Depth=1
	s_mov_b32 s23, 0
	s_cbranch_execz .LBB5_473
	s_branch .LBB5_474
.LBB5_472:                              ;   in Loop: Header=BB5_432 Depth=1
                                        ; implicit-def: $vgpr18_vgpr19
                                        ; implicit-def: $sgpr23
.LBB5_473:                              ;   in Loop: Header=BB5_432 Depth=1
	global_load_dwordx2 v[18:19], v7, s[4:5]
	s_add_i32 s23, s22, -8
	s_add_u32 s4, s4, 8
	s_addc_u32 s5, s5, 0
.LBB5_474:                              ;   in Loop: Header=BB5_432 Depth=1
	s_cmp_gt_u32 s23, 7
	s_cbranch_scc1 .LBB5_479
; %bb.475:                              ;   in Loop: Header=BB5_432 Depth=1
	v_mov_b32_e32 v20, 0
	v_mov_b32_e32 v21, 0
	s_cmp_eq_u32 s23, 0
	s_cbranch_scc1 .LBB5_478
; %bb.476:                              ;   in Loop: Header=BB5_432 Depth=1
	s_mov_b64 s[18:19], 0
	s_mov_b64 s[20:21], s[4:5]
.LBB5_477:                              ;   Parent Loop BB5_432 Depth=1
                                        ; =>  This Inner Loop Header: Depth=2
	global_load_ubyte v6, v7, s[20:21]
	s_add_i32 s23, s23, -1
	s_waitcnt vmcnt(0)
	v_and_b32_e32 v6, 0xffff, v6
	v_lshlrev_b64 v[22:23], s18, v[6:7]
	s_add_u32 s18, s18, 8
	s_addc_u32 s19, s19, 0
	s_add_u32 s20, s20, 1
	s_addc_u32 s21, s21, 0
	s_cmp_lg_u32 s23, 0
	v_or_b32_e32 v20, v22, v20
	v_or_b32_e32 v21, v23, v21
	s_cbranch_scc1 .LBB5_477
.LBB5_478:                              ;   in Loop: Header=BB5_432 Depth=1
	s_cbranch_execz .LBB5_480
	s_branch .LBB5_481
.LBB5_479:                              ;   in Loop: Header=BB5_432 Depth=1
.LBB5_480:                              ;   in Loop: Header=BB5_432 Depth=1
	global_load_dwordx2 v[20:21], v7, s[4:5]
.LBB5_481:                              ;   in Loop: Header=BB5_432 Depth=1
	v_readfirstlane_b32 s4, v48
	v_mov_b32_e32 v26, 0
	v_mov_b32_e32 v27, 0
	v_cmp_eq_u32_e64 s4, s4, v48
	s_and_saveexec_b32 s5, s4
	s_cbranch_execz .LBB5_487
; %bb.482:                              ;   in Loop: Header=BB5_432 Depth=1
	global_load_dwordx2 v[24:25], v7, s[26:27] offset:24 glc dlc
	s_waitcnt vmcnt(0)
	buffer_gl1_inv
	buffer_gl0_inv
	s_clause 0x1
	global_load_dwordx2 v[22:23], v7, s[26:27] offset:40
	global_load_dwordx2 v[26:27], v7, s[26:27]
	s_mov_b32 s18, exec_lo
	s_waitcnt vmcnt(1)
	v_and_b32_e32 v6, v23, v25
	v_and_b32_e32 v22, v22, v24
	v_mul_lo_u32 v6, v6, 24
	v_mul_hi_u32 v23, v22, 24
	v_mul_lo_u32 v22, v22, 24
	v_add_nc_u32_e32 v6, v23, v6
	s_waitcnt vmcnt(0)
	v_add_co_u32 v22, vcc_lo, v26, v22
	v_add_co_ci_u32_e32 v23, vcc_lo, v27, v6, vcc_lo
	global_load_dwordx2 v[22:23], v[22:23], off glc dlc
	s_waitcnt vmcnt(0)
	global_atomic_cmpswap_x2 v[26:27], v7, v[22:25], s[26:27] offset:24 glc
	s_waitcnt vmcnt(0)
	buffer_gl1_inv
	buffer_gl0_inv
	v_cmpx_ne_u64_e64 v[26:27], v[24:25]
	s_cbranch_execz .LBB5_486
; %bb.483:                              ;   in Loop: Header=BB5_432 Depth=1
	s_mov_b32 s19, 0
	.p2align	6
.LBB5_484:                              ;   Parent Loop BB5_432 Depth=1
                                        ; =>  This Inner Loop Header: Depth=2
	s_sleep 1
	s_clause 0x1
	global_load_dwordx2 v[22:23], v7, s[26:27] offset:40
	global_load_dwordx2 v[29:30], v7, s[26:27]
	v_mov_b32_e32 v24, v26
	v_mov_b32_e32 v25, v27
	s_waitcnt vmcnt(1)
	v_and_b32_e32 v6, v22, v24
	v_and_b32_e32 v22, v23, v25
	s_waitcnt vmcnt(0)
	v_mad_u64_u32 v[26:27], null, v6, 24, v[29:30]
	v_mov_b32_e32 v6, v27
	v_mad_u64_u32 v[22:23], null, v22, 24, v[6:7]
	v_mov_b32_e32 v27, v22
	global_load_dwordx2 v[22:23], v[26:27], off glc dlc
	s_waitcnt vmcnt(0)
	global_atomic_cmpswap_x2 v[26:27], v7, v[22:25], s[26:27] offset:24 glc
	s_waitcnt vmcnt(0)
	buffer_gl1_inv
	buffer_gl0_inv
	v_cmp_eq_u64_e32 vcc_lo, v[26:27], v[24:25]
	s_or_b32 s19, vcc_lo, s19
	s_andn2_b32 exec_lo, exec_lo, s19
	s_cbranch_execnz .LBB5_484
; %bb.485:                              ;   in Loop: Header=BB5_432 Depth=1
	s_or_b32 exec_lo, exec_lo, s19
.LBB5_486:                              ;   in Loop: Header=BB5_432 Depth=1
	s_or_b32 exec_lo, exec_lo, s18
.LBB5_487:                              ;   in Loop: Header=BB5_432 Depth=1
	s_or_b32 exec_lo, exec_lo, s5
	s_clause 0x1
	global_load_dwordx2 v[29:30], v7, s[26:27] offset:40
	global_load_dwordx4 v[22:25], v7, s[26:27]
	v_readfirstlane_b32 s18, v26
	v_readfirstlane_b32 s19, v27
	s_mov_b32 s5, exec_lo
	s_waitcnt vmcnt(1)
	v_readfirstlane_b32 s20, v29
	v_readfirstlane_b32 s21, v30
	s_and_b64 s[20:21], s[18:19], s[20:21]
	s_mul_i32 s22, s21, 24
	s_mul_hi_u32 s23, s20, 24
	s_mul_i32 s24, s20, 24
	s_add_i32 s23, s23, s22
	s_waitcnt vmcnt(0)
	v_add_co_u32 v26, vcc_lo, v22, s24
	v_add_co_ci_u32_e32 v27, vcc_lo, s23, v23, vcc_lo
	s_and_saveexec_b32 s22, s4
	s_cbranch_execz .LBB5_489
; %bb.488:                              ;   in Loop: Header=BB5_432 Depth=1
	v_mov_b32_e32 v6, s5
	global_store_dwordx4 v[26:27], v[6:9], off offset:8
.LBB5_489:                              ;   in Loop: Header=BB5_432 Depth=1
	s_or_b32 exec_lo, exec_lo, s22
	s_lshl_b64 s[20:21], s[20:21], 12
	v_cmp_gt_u64_e64 vcc_lo, s[10:11], 56
	v_or_b32_e32 v29, v0, v28
	v_add_co_u32 v24, s5, v24, s20
	v_add_co_ci_u32_e64 v25, s5, s21, v25, s5
	s_lshl_b32 s5, s16, 2
	v_or_b32_e32 v6, 0, v1
	v_cndmask_b32_e32 v0, v29, v0, vcc_lo
	s_add_i32 s5, s5, 28
	v_readfirstlane_b32 s20, v24
	s_and_b32 s5, s5, 0x1e0
	v_cndmask_b32_e32 v1, v6, v1, vcc_lo
	v_readfirstlane_b32 s21, v25
	v_and_or_b32 v0, 0xffffff1f, v0, s5
	global_store_dwordx4 v39, v[0:3], s[20:21]
	global_store_dwordx4 v39, v[10:13], s[20:21] offset:16
	global_store_dwordx4 v39, v[14:17], s[20:21] offset:32
	;; [unrolled: 1-line block ×3, first 2 shown]
	s_and_saveexec_b32 s5, s4
	s_cbranch_execz .LBB5_497
; %bb.490:                              ;   in Loop: Header=BB5_432 Depth=1
	s_clause 0x1
	global_load_dwordx2 v[14:15], v7, s[26:27] offset:32 glc dlc
	global_load_dwordx2 v[0:1], v7, s[26:27] offset:40
	v_mov_b32_e32 v12, s18
	v_mov_b32_e32 v13, s19
	s_waitcnt vmcnt(0)
	v_readfirstlane_b32 s20, v0
	v_readfirstlane_b32 s21, v1
	s_and_b64 s[20:21], s[20:21], s[18:19]
	s_mul_i32 s21, s21, 24
	s_mul_hi_u32 s22, s20, 24
	s_mul_i32 s20, s20, 24
	s_add_i32 s22, s22, s21
	v_add_co_u32 v10, vcc_lo, v22, s20
	v_add_co_ci_u32_e32 v11, vcc_lo, s22, v23, vcc_lo
	s_mov_b32 s20, exec_lo
	global_store_dwordx2 v[10:11], v[14:15], off
	s_waitcnt_vscnt null, 0x0
	global_atomic_cmpswap_x2 v[2:3], v7, v[12:15], s[26:27] offset:32 glc
	s_waitcnt vmcnt(0)
	v_cmpx_ne_u64_e64 v[2:3], v[14:15]
	s_cbranch_execz .LBB5_493
; %bb.491:                              ;   in Loop: Header=BB5_432 Depth=1
	s_mov_b32 s21, 0
.LBB5_492:                              ;   Parent Loop BB5_432 Depth=1
                                        ; =>  This Inner Loop Header: Depth=2
	v_mov_b32_e32 v0, s18
	v_mov_b32_e32 v1, s19
	s_sleep 1
	global_store_dwordx2 v[10:11], v[2:3], off
	s_waitcnt_vscnt null, 0x0
	global_atomic_cmpswap_x2 v[0:1], v7, v[0:3], s[26:27] offset:32 glc
	s_waitcnt vmcnt(0)
	v_cmp_eq_u64_e32 vcc_lo, v[0:1], v[2:3]
	v_mov_b32_e32 v3, v1
	v_mov_b32_e32 v2, v0
	s_or_b32 s21, vcc_lo, s21
	s_andn2_b32 exec_lo, exec_lo, s21
	s_cbranch_execnz .LBB5_492
.LBB5_493:                              ;   in Loop: Header=BB5_432 Depth=1
	s_or_b32 exec_lo, exec_lo, s20
	global_load_dwordx2 v[0:1], v7, s[26:27] offset:16
	s_mov_b32 s21, exec_lo
	s_mov_b32 s20, exec_lo
	v_mbcnt_lo_u32_b32 v2, s21, 0
	v_cmpx_eq_u32_e32 0, v2
	s_cbranch_execz .LBB5_495
; %bb.494:                              ;   in Loop: Header=BB5_432 Depth=1
	s_bcnt1_i32_b32 s21, s21
	v_mov_b32_e32 v6, s21
	s_waitcnt vmcnt(0)
	global_atomic_add_x2 v[0:1], v[6:7], off offset:8
.LBB5_495:                              ;   in Loop: Header=BB5_432 Depth=1
	s_or_b32 exec_lo, exec_lo, s20
	s_waitcnt vmcnt(0)
	global_load_dwordx2 v[2:3], v[0:1], off offset:16
	s_waitcnt vmcnt(0)
	v_cmp_eq_u64_e32 vcc_lo, 0, v[2:3]
	s_cbranch_vccnz .LBB5_497
; %bb.496:                              ;   in Loop: Header=BB5_432 Depth=1
	global_load_dword v6, v[0:1], off offset:24
	s_waitcnt vmcnt(0)
	v_and_b32_e32 v0, 0x7fffff, v6
	s_waitcnt_vscnt null, 0x0
	global_store_dwordx2 v[2:3], v[6:7], off
	v_readfirstlane_b32 m0, v0
	s_sendmsg sendmsg(MSG_INTERRUPT)
.LBB5_497:                              ;   in Loop: Header=BB5_432 Depth=1
	s_or_b32 exec_lo, exec_lo, s5
	v_add_co_u32 v0, vcc_lo, v24, v39
	v_add_co_ci_u32_e32 v1, vcc_lo, 0, v25, vcc_lo
	s_branch .LBB5_501
	.p2align	6
.LBB5_498:                              ;   in Loop: Header=BB5_501 Depth=2
	s_or_b32 exec_lo, exec_lo, s5
	v_readfirstlane_b32 s5, v2
	s_cmp_eq_u32 s5, 0
	s_cbranch_scc1 .LBB5_500
; %bb.499:                              ;   in Loop: Header=BB5_501 Depth=2
	s_sleep 1
	s_cbranch_execnz .LBB5_501
	s_branch .LBB5_503
	.p2align	6
.LBB5_500:                              ;   in Loop: Header=BB5_432 Depth=1
	s_branch .LBB5_503
.LBB5_501:                              ;   Parent Loop BB5_432 Depth=1
                                        ; =>  This Inner Loop Header: Depth=2
	v_mov_b32_e32 v2, 1
	s_and_saveexec_b32 s5, s4
	s_cbranch_execz .LBB5_498
; %bb.502:                              ;   in Loop: Header=BB5_501 Depth=2
	global_load_dword v2, v[26:27], off offset:20 glc dlc
	s_waitcnt vmcnt(0)
	buffer_gl1_inv
	buffer_gl0_inv
	v_and_b32_e32 v2, 1, v2
	s_branch .LBB5_498
.LBB5_503:                              ;   in Loop: Header=BB5_432 Depth=1
	global_load_dwordx4 v[0:3], v[0:1], off
	s_and_saveexec_b32 s5, s4
	s_cbranch_execz .LBB5_431
; %bb.504:                              ;   in Loop: Header=BB5_432 Depth=1
	s_clause 0x2
	global_load_dwordx2 v[2:3], v7, s[26:27] offset:40
	global_load_dwordx2 v[14:15], v7, s[26:27] offset:24 glc dlc
	global_load_dwordx2 v[12:13], v7, s[26:27]
	s_waitcnt vmcnt(2)
	v_add_co_u32 v6, vcc_lo, v2, 1
	v_add_co_ci_u32_e32 v16, vcc_lo, 0, v3, vcc_lo
	v_add_co_u32 v10, vcc_lo, v6, s18
	v_add_co_ci_u32_e32 v11, vcc_lo, s19, v16, vcc_lo
	v_cmp_eq_u64_e32 vcc_lo, 0, v[10:11]
	v_cndmask_b32_e32 v11, v11, v16, vcc_lo
	v_cndmask_b32_e32 v10, v10, v6, vcc_lo
	v_and_b32_e32 v3, v11, v3
	v_and_b32_e32 v2, v10, v2
	v_mul_lo_u32 v3, v3, 24
	v_mul_hi_u32 v6, v2, 24
	v_mul_lo_u32 v2, v2, 24
	v_add_nc_u32_e32 v3, v6, v3
	s_waitcnt vmcnt(0)
	v_add_co_u32 v2, vcc_lo, v12, v2
	v_mov_b32_e32 v12, v14
	v_add_co_ci_u32_e32 v3, vcc_lo, v13, v3, vcc_lo
	v_mov_b32_e32 v13, v15
	global_store_dwordx2 v[2:3], v[14:15], off
	s_waitcnt_vscnt null, 0x0
	global_atomic_cmpswap_x2 v[12:13], v7, v[10:13], s[26:27] offset:24 glc
	s_waitcnt vmcnt(0)
	v_cmp_ne_u64_e32 vcc_lo, v[12:13], v[14:15]
	s_and_b32 exec_lo, exec_lo, vcc_lo
	s_cbranch_execz .LBB5_431
; %bb.505:                              ;   in Loop: Header=BB5_432 Depth=1
	s_mov_b32 s4, 0
.LBB5_506:                              ;   Parent Loop BB5_432 Depth=1
                                        ; =>  This Inner Loop Header: Depth=2
	s_sleep 1
	global_store_dwordx2 v[2:3], v[12:13], off
	s_waitcnt_vscnt null, 0x0
	global_atomic_cmpswap_x2 v[14:15], v7, v[10:13], s[26:27] offset:24 glc
	s_waitcnt vmcnt(0)
	v_cmp_eq_u64_e32 vcc_lo, v[14:15], v[12:13]
	v_mov_b32_e32 v12, v14
	v_mov_b32_e32 v13, v15
	s_or_b32 s4, vcc_lo, s4
	s_andn2_b32 exec_lo, exec_lo, s4
	s_cbranch_execnz .LBB5_506
	s_branch .LBB5_431
.LBB5_507:
	s_branch .LBB5_536
.LBB5_508:
                                        ; implicit-def: $vgpr0_vgpr1
	s_cbranch_execz .LBB5_536
; %bb.509:
	v_readfirstlane_b32 s4, v48
	v_mov_b32_e32 v7, 0
	v_mov_b32_e32 v8, 0
	v_cmp_eq_u32_e64 s4, s4, v48
	s_and_saveexec_b32 s5, s4
	s_cbranch_execz .LBB5_515
; %bb.510:
	s_waitcnt vmcnt(0)
	v_mov_b32_e32 v0, 0
	s_mov_b32 s6, exec_lo
	global_load_dwordx2 v[9:10], v0, s[26:27] offset:24 glc dlc
	s_waitcnt vmcnt(0)
	buffer_gl1_inv
	buffer_gl0_inv
	s_clause 0x1
	global_load_dwordx2 v[1:2], v0, s[26:27] offset:40
	global_load_dwordx2 v[6:7], v0, s[26:27]
	s_waitcnt vmcnt(1)
	v_and_b32_e32 v2, v2, v10
	v_and_b32_e32 v1, v1, v9
	v_mul_lo_u32 v2, v2, 24
	v_mul_hi_u32 v3, v1, 24
	v_mul_lo_u32 v1, v1, 24
	v_add_nc_u32_e32 v2, v3, v2
	s_waitcnt vmcnt(0)
	v_add_co_u32 v1, vcc_lo, v6, v1
	v_add_co_ci_u32_e32 v2, vcc_lo, v7, v2, vcc_lo
	global_load_dwordx2 v[7:8], v[1:2], off glc dlc
	s_waitcnt vmcnt(0)
	global_atomic_cmpswap_x2 v[7:8], v0, v[7:10], s[26:27] offset:24 glc
	s_waitcnt vmcnt(0)
	buffer_gl1_inv
	buffer_gl0_inv
	v_cmpx_ne_u64_e64 v[7:8], v[9:10]
	s_cbranch_execz .LBB5_514
; %bb.511:
	s_mov_b32 s7, 0
	.p2align	6
.LBB5_512:                              ; =>This Inner Loop Header: Depth=1
	s_sleep 1
	s_clause 0x1
	global_load_dwordx2 v[1:2], v0, s[26:27] offset:40
	global_load_dwordx2 v[11:12], v0, s[26:27]
	v_mov_b32_e32 v10, v8
	v_mov_b32_e32 v9, v7
	s_waitcnt vmcnt(1)
	v_and_b32_e32 v1, v1, v9
	v_and_b32_e32 v2, v2, v10
	s_waitcnt vmcnt(0)
	v_mad_u64_u32 v[6:7], null, v1, 24, v[11:12]
	v_mov_b32_e32 v1, v7
	v_mad_u64_u32 v[1:2], null, v2, 24, v[1:2]
	v_mov_b32_e32 v7, v1
	global_load_dwordx2 v[7:8], v[6:7], off glc dlc
	s_waitcnt vmcnt(0)
	global_atomic_cmpswap_x2 v[7:8], v0, v[7:10], s[26:27] offset:24 glc
	s_waitcnt vmcnt(0)
	buffer_gl1_inv
	buffer_gl0_inv
	v_cmp_eq_u64_e32 vcc_lo, v[7:8], v[9:10]
	s_or_b32 s7, vcc_lo, s7
	s_andn2_b32 exec_lo, exec_lo, s7
	s_cbranch_execnz .LBB5_512
; %bb.513:
	s_or_b32 exec_lo, exec_lo, s7
.LBB5_514:
	s_or_b32 exec_lo, exec_lo, s6
.LBB5_515:
	s_or_b32 exec_lo, exec_lo, s5
	v_mov_b32_e32 v6, 0
	v_readfirstlane_b32 s6, v7
	v_readfirstlane_b32 s7, v8
	s_mov_b32 s5, exec_lo
	s_clause 0x1
	global_load_dwordx2 v[9:10], v6, s[26:27] offset:40
	global_load_dwordx4 v[0:3], v6, s[26:27]
	s_waitcnt vmcnt(1)
	v_readfirstlane_b32 s10, v9
	v_readfirstlane_b32 s11, v10
	s_and_b64 s[10:11], s[6:7], s[10:11]
	s_mul_i32 s16, s11, 24
	s_mul_hi_u32 s17, s10, 24
	s_mul_i32 s18, s10, 24
	s_add_i32 s17, s17, s16
	s_waitcnt vmcnt(0)
	v_add_co_u32 v8, vcc_lo, v0, s18
	v_add_co_ci_u32_e32 v9, vcc_lo, s17, v1, vcc_lo
	s_and_saveexec_b32 s16, s4
	s_cbranch_execz .LBB5_517
; %bb.516:
	v_mov_b32_e32 v10, s5
	v_mov_b32_e32 v11, v6
	;; [unrolled: 1-line block ×4, first 2 shown]
	global_store_dwordx4 v[8:9], v[10:13], off offset:8
.LBB5_517:
	s_or_b32 exec_lo, exec_lo, s16
	s_lshl_b64 s[10:11], s[10:11], 12
	s_mov_b32 s16, 0
	v_add_co_u32 v2, vcc_lo, v2, s10
	v_add_co_ci_u32_e32 v3, vcc_lo, s11, v3, vcc_lo
	s_mov_b32 s17, s16
	v_add_co_u32 v10, vcc_lo, v2, v39
	s_mov_b32 s18, s16
	s_mov_b32 s19, s16
	v_and_or_b32 v4, 0xffffff1f, v4, 32
	v_mov_b32_e32 v7, v6
	v_readfirstlane_b32 s10, v2
	v_readfirstlane_b32 s11, v3
	v_mov_b32_e32 v12, s16
	v_add_co_ci_u32_e32 v11, vcc_lo, 0, v3, vcc_lo
	v_mov_b32_e32 v13, s17
	v_mov_b32_e32 v14, s18
	;; [unrolled: 1-line block ×3, first 2 shown]
	global_store_dwordx4 v39, v[4:7], s[10:11]
	global_store_dwordx4 v39, v[12:15], s[10:11] offset:16
	global_store_dwordx4 v39, v[12:15], s[10:11] offset:32
	;; [unrolled: 1-line block ×3, first 2 shown]
	s_and_saveexec_b32 s5, s4
	s_cbranch_execz .LBB5_525
; %bb.518:
	v_mov_b32_e32 v6, 0
	v_mov_b32_e32 v12, s6
	v_mov_b32_e32 v13, s7
	s_clause 0x1
	global_load_dwordx2 v[14:15], v6, s[26:27] offset:32 glc dlc
	global_load_dwordx2 v[2:3], v6, s[26:27] offset:40
	s_waitcnt vmcnt(0)
	v_readfirstlane_b32 s10, v2
	v_readfirstlane_b32 s11, v3
	s_and_b64 s[10:11], s[10:11], s[6:7]
	s_mul_i32 s11, s11, 24
	s_mul_hi_u32 s16, s10, 24
	s_mul_i32 s10, s10, 24
	s_add_i32 s16, s16, s11
	v_add_co_u32 v4, vcc_lo, v0, s10
	v_add_co_ci_u32_e32 v5, vcc_lo, s16, v1, vcc_lo
	s_mov_b32 s10, exec_lo
	global_store_dwordx2 v[4:5], v[14:15], off
	s_waitcnt_vscnt null, 0x0
	global_atomic_cmpswap_x2 v[2:3], v6, v[12:15], s[26:27] offset:32 glc
	s_waitcnt vmcnt(0)
	v_cmpx_ne_u64_e64 v[2:3], v[14:15]
	s_cbranch_execz .LBB5_521
; %bb.519:
	s_mov_b32 s11, 0
.LBB5_520:                              ; =>This Inner Loop Header: Depth=1
	v_mov_b32_e32 v0, s6
	v_mov_b32_e32 v1, s7
	s_sleep 1
	global_store_dwordx2 v[4:5], v[2:3], off
	s_waitcnt_vscnt null, 0x0
	global_atomic_cmpswap_x2 v[0:1], v6, v[0:3], s[26:27] offset:32 glc
	s_waitcnt vmcnt(0)
	v_cmp_eq_u64_e32 vcc_lo, v[0:1], v[2:3]
	v_mov_b32_e32 v3, v1
	v_mov_b32_e32 v2, v0
	s_or_b32 s11, vcc_lo, s11
	s_andn2_b32 exec_lo, exec_lo, s11
	s_cbranch_execnz .LBB5_520
.LBB5_521:
	s_or_b32 exec_lo, exec_lo, s10
	v_mov_b32_e32 v3, 0
	s_mov_b32 s11, exec_lo
	s_mov_b32 s10, exec_lo
	v_mbcnt_lo_u32_b32 v2, s11, 0
	global_load_dwordx2 v[0:1], v3, s[26:27] offset:16
	v_cmpx_eq_u32_e32 0, v2
	s_cbranch_execz .LBB5_523
; %bb.522:
	s_bcnt1_i32_b32 s11, s11
	v_mov_b32_e32 v2, s11
	s_waitcnt vmcnt(0)
	global_atomic_add_x2 v[0:1], v[2:3], off offset:8
.LBB5_523:
	s_or_b32 exec_lo, exec_lo, s10
	s_waitcnt vmcnt(0)
	global_load_dwordx2 v[2:3], v[0:1], off offset:16
	s_waitcnt vmcnt(0)
	v_cmp_eq_u64_e32 vcc_lo, 0, v[2:3]
	s_cbranch_vccnz .LBB5_525
; %bb.524:
	global_load_dword v0, v[0:1], off offset:24
	v_mov_b32_e32 v1, 0
	s_waitcnt vmcnt(0)
	v_and_b32_e32 v4, 0x7fffff, v0
	s_waitcnt_vscnt null, 0x0
	global_store_dwordx2 v[2:3], v[0:1], off
	v_readfirstlane_b32 m0, v4
	s_sendmsg sendmsg(MSG_INTERRUPT)
.LBB5_525:
	s_or_b32 exec_lo, exec_lo, s5
	s_branch .LBB5_529
	.p2align	6
.LBB5_526:                              ;   in Loop: Header=BB5_529 Depth=1
	s_or_b32 exec_lo, exec_lo, s5
	v_readfirstlane_b32 s5, v0
	s_cmp_eq_u32 s5, 0
	s_cbranch_scc1 .LBB5_528
; %bb.527:                              ;   in Loop: Header=BB5_529 Depth=1
	s_sleep 1
	s_cbranch_execnz .LBB5_529
	s_branch .LBB5_531
	.p2align	6
.LBB5_528:
	s_branch .LBB5_531
.LBB5_529:                              ; =>This Inner Loop Header: Depth=1
	v_mov_b32_e32 v0, 1
	s_and_saveexec_b32 s5, s4
	s_cbranch_execz .LBB5_526
; %bb.530:                              ;   in Loop: Header=BB5_529 Depth=1
	global_load_dword v0, v[8:9], off offset:20 glc dlc
	s_waitcnt vmcnt(0)
	buffer_gl1_inv
	buffer_gl0_inv
	v_and_b32_e32 v0, 1, v0
	s_branch .LBB5_526
.LBB5_531:
	global_load_dwordx2 v[0:1], v[10:11], off
	s_and_saveexec_b32 s5, s4
	s_cbranch_execz .LBB5_535
; %bb.532:
	v_mov_b32_e32 v8, 0
	s_clause 0x2
	global_load_dwordx2 v[4:5], v8, s[26:27] offset:40
	global_load_dwordx2 v[9:10], v8, s[26:27] offset:24 glc dlc
	global_load_dwordx2 v[6:7], v8, s[26:27]
	s_waitcnt vmcnt(2)
	v_add_co_u32 v11, vcc_lo, v4, 1
	v_add_co_ci_u32_e32 v12, vcc_lo, 0, v5, vcc_lo
	v_add_co_u32 v2, vcc_lo, v11, s6
	v_add_co_ci_u32_e32 v3, vcc_lo, s7, v12, vcc_lo
	v_cmp_eq_u64_e32 vcc_lo, 0, v[2:3]
	v_cndmask_b32_e32 v3, v3, v12, vcc_lo
	v_cndmask_b32_e32 v2, v2, v11, vcc_lo
	v_and_b32_e32 v5, v3, v5
	v_and_b32_e32 v4, v2, v4
	v_mul_lo_u32 v5, v5, 24
	v_mul_hi_u32 v11, v4, 24
	v_mul_lo_u32 v4, v4, 24
	v_add_nc_u32_e32 v5, v11, v5
	s_waitcnt vmcnt(0)
	v_add_co_u32 v6, vcc_lo, v6, v4
	v_mov_b32_e32 v4, v9
	v_add_co_ci_u32_e32 v7, vcc_lo, v7, v5, vcc_lo
	v_mov_b32_e32 v5, v10
	global_store_dwordx2 v[6:7], v[9:10], off
	s_waitcnt_vscnt null, 0x0
	global_atomic_cmpswap_x2 v[4:5], v8, v[2:5], s[26:27] offset:24 glc
	s_waitcnt vmcnt(0)
	v_cmp_ne_u64_e32 vcc_lo, v[4:5], v[9:10]
	s_and_b32 exec_lo, exec_lo, vcc_lo
	s_cbranch_execz .LBB5_535
; %bb.533:
	s_mov_b32 s4, 0
.LBB5_534:                              ; =>This Inner Loop Header: Depth=1
	s_sleep 1
	global_store_dwordx2 v[6:7], v[4:5], off
	s_waitcnt_vscnt null, 0x0
	global_atomic_cmpswap_x2 v[9:10], v8, v[2:5], s[26:27] offset:24 glc
	s_waitcnt vmcnt(0)
	v_cmp_eq_u64_e32 vcc_lo, v[9:10], v[4:5]
	v_mov_b32_e32 v4, v9
	v_mov_b32_e32 v5, v10
	s_or_b32 s4, vcc_lo, s4
	s_andn2_b32 exec_lo, exec_lo, s4
	s_cbranch_execnz .LBB5_534
.LBB5_535:
	s_or_b32 exec_lo, exec_lo, s5
.LBB5_536:
	s_getpc_b64 s[6:7]
	s_add_u32 s6, s6, .str.1@rel32@lo+4
	s_addc_u32 s7, s7, .str.1@rel32@hi+12
	s_cmp_lg_u64 s[6:7], 0
	s_cbranch_scc0 .LBB5_615
; %bb.537:
	s_waitcnt vmcnt(0)
	v_and_b32_e32 v6, -3, v0
	v_mov_b32_e32 v7, v1
	v_mov_b32_e32 v3, 0
	;; [unrolled: 1-line block ×4, first 2 shown]
	s_mov_b64 s[10:11], 0x53
	s_branch .LBB5_539
.LBB5_538:                              ;   in Loop: Header=BB5_539 Depth=1
	s_or_b32 exec_lo, exec_lo, s5
	s_sub_u32 s10, s10, s16
	s_subb_u32 s11, s11, s17
	s_add_u32 s6, s6, s16
	s_addc_u32 s7, s7, s17
	s_cmp_lg_u64 s[10:11], 0
	s_cbranch_scc0 .LBB5_614
.LBB5_539:                              ; =>This Loop Header: Depth=1
                                        ;     Child Loop BB5_548 Depth 2
                                        ;     Child Loop BB5_544 Depth 2
	;; [unrolled: 1-line block ×11, first 2 shown]
	v_cmp_lt_u64_e64 s4, s[10:11], 56
	v_cmp_gt_u64_e64 s5, s[10:11], 7
                                        ; implicit-def: $sgpr22
	s_and_b32 s4, s4, exec_lo
	s_cselect_b32 s17, s11, 0
	s_cselect_b32 s16, s10, 56
	s_and_b32 vcc_lo, exec_lo, s5
	s_mov_b32 s4, -1
	s_cbranch_vccz .LBB5_546
; %bb.540:                              ;   in Loop: Header=BB5_539 Depth=1
	s_andn2_b32 vcc_lo, exec_lo, s4
	s_mov_b64 s[4:5], s[6:7]
	s_cbranch_vccz .LBB5_550
.LBB5_541:                              ;   in Loop: Header=BB5_539 Depth=1
	s_cmp_gt_u32 s22, 7
	s_cbranch_scc1 .LBB5_551
.LBB5_542:                              ;   in Loop: Header=BB5_539 Depth=1
	v_mov_b32_e32 v10, 0
	v_mov_b32_e32 v11, 0
	s_cmp_eq_u32 s22, 0
	s_cbranch_scc1 .LBB5_545
; %bb.543:                              ;   in Loop: Header=BB5_539 Depth=1
	s_mov_b64 s[18:19], 0
	s_mov_b64 s[20:21], 0
.LBB5_544:                              ;   Parent Loop BB5_539 Depth=1
                                        ; =>  This Inner Loop Header: Depth=2
	s_add_u32 s24, s4, s20
	s_addc_u32 s25, s5, s21
	s_add_u32 s20, s20, 1
	global_load_ubyte v2, v3, s[24:25]
	s_addc_u32 s21, s21, 0
	s_waitcnt vmcnt(0)
	v_and_b32_e32 v2, 0xffff, v2
	v_lshlrev_b64 v[12:13], s18, v[2:3]
	s_add_u32 s18, s18, 8
	s_addc_u32 s19, s19, 0
	s_cmp_lg_u32 s22, s20
	v_or_b32_e32 v10, v12, v10
	v_or_b32_e32 v11, v13, v11
	s_cbranch_scc1 .LBB5_544
.LBB5_545:                              ;   in Loop: Header=BB5_539 Depth=1
	s_mov_b32 s23, 0
	s_cbranch_execz .LBB5_552
	s_branch .LBB5_553
.LBB5_546:                              ;   in Loop: Header=BB5_539 Depth=1
	s_waitcnt vmcnt(0)
	v_mov_b32_e32 v8, 0
	v_mov_b32_e32 v9, 0
	s_cmp_eq_u64 s[10:11], 0
	s_mov_b64 s[4:5], 0
	s_cbranch_scc1 .LBB5_549
; %bb.547:                              ;   in Loop: Header=BB5_539 Depth=1
	v_mov_b32_e32 v8, 0
	v_mov_b32_e32 v9, 0
	s_lshl_b64 s[18:19], s[16:17], 3
	s_mov_b64 s[20:21], s[6:7]
.LBB5_548:                              ;   Parent Loop BB5_539 Depth=1
                                        ; =>  This Inner Loop Header: Depth=2
	global_load_ubyte v2, v3, s[20:21]
	s_waitcnt vmcnt(0)
	v_and_b32_e32 v2, 0xffff, v2
	v_lshlrev_b64 v[10:11], s4, v[2:3]
	s_add_u32 s4, s4, 8
	s_addc_u32 s5, s5, 0
	s_add_u32 s20, s20, 1
	s_addc_u32 s21, s21, 0
	s_cmp_lg_u32 s18, s4
	v_or_b32_e32 v8, v10, v8
	v_or_b32_e32 v9, v11, v9
	s_cbranch_scc1 .LBB5_548
.LBB5_549:                              ;   in Loop: Header=BB5_539 Depth=1
	s_mov_b32 s22, 0
	s_mov_b64 s[4:5], s[6:7]
	s_cbranch_execnz .LBB5_541
.LBB5_550:                              ;   in Loop: Header=BB5_539 Depth=1
	global_load_dwordx2 v[8:9], v3, s[6:7]
	s_add_i32 s22, s16, -8
	s_add_u32 s4, s6, 8
	s_addc_u32 s5, s7, 0
	s_cmp_gt_u32 s22, 7
	s_cbranch_scc0 .LBB5_542
.LBB5_551:                              ;   in Loop: Header=BB5_539 Depth=1
                                        ; implicit-def: $vgpr10_vgpr11
                                        ; implicit-def: $sgpr23
.LBB5_552:                              ;   in Loop: Header=BB5_539 Depth=1
	global_load_dwordx2 v[10:11], v3, s[4:5]
	s_add_i32 s23, s22, -8
	s_add_u32 s4, s4, 8
	s_addc_u32 s5, s5, 0
.LBB5_553:                              ;   in Loop: Header=BB5_539 Depth=1
	s_cmp_gt_u32 s23, 7
	s_cbranch_scc1 .LBB5_558
; %bb.554:                              ;   in Loop: Header=BB5_539 Depth=1
	v_mov_b32_e32 v12, 0
	v_mov_b32_e32 v13, 0
	s_cmp_eq_u32 s23, 0
	s_cbranch_scc1 .LBB5_557
; %bb.555:                              ;   in Loop: Header=BB5_539 Depth=1
	s_mov_b64 s[18:19], 0
	s_mov_b64 s[20:21], 0
.LBB5_556:                              ;   Parent Loop BB5_539 Depth=1
                                        ; =>  This Inner Loop Header: Depth=2
	s_add_u32 s24, s4, s20
	s_addc_u32 s25, s5, s21
	s_add_u32 s20, s20, 1
	global_load_ubyte v2, v3, s[24:25]
	s_addc_u32 s21, s21, 0
	s_waitcnt vmcnt(0)
	v_and_b32_e32 v2, 0xffff, v2
	v_lshlrev_b64 v[14:15], s18, v[2:3]
	s_add_u32 s18, s18, 8
	s_addc_u32 s19, s19, 0
	s_cmp_lg_u32 s23, s20
	v_or_b32_e32 v12, v14, v12
	v_or_b32_e32 v13, v15, v13
	s_cbranch_scc1 .LBB5_556
.LBB5_557:                              ;   in Loop: Header=BB5_539 Depth=1
	s_mov_b32 s22, 0
	s_cbranch_execz .LBB5_559
	s_branch .LBB5_560
.LBB5_558:                              ;   in Loop: Header=BB5_539 Depth=1
                                        ; implicit-def: $sgpr22
.LBB5_559:                              ;   in Loop: Header=BB5_539 Depth=1
	global_load_dwordx2 v[12:13], v3, s[4:5]
	s_add_i32 s22, s23, -8
	s_add_u32 s4, s4, 8
	s_addc_u32 s5, s5, 0
.LBB5_560:                              ;   in Loop: Header=BB5_539 Depth=1
	s_cmp_gt_u32 s22, 7
	s_cbranch_scc1 .LBB5_565
; %bb.561:                              ;   in Loop: Header=BB5_539 Depth=1
	v_mov_b32_e32 v14, 0
	v_mov_b32_e32 v15, 0
	s_cmp_eq_u32 s22, 0
	s_cbranch_scc1 .LBB5_564
; %bb.562:                              ;   in Loop: Header=BB5_539 Depth=1
	s_mov_b64 s[18:19], 0
	s_mov_b64 s[20:21], 0
.LBB5_563:                              ;   Parent Loop BB5_539 Depth=1
                                        ; =>  This Inner Loop Header: Depth=2
	s_add_u32 s24, s4, s20
	s_addc_u32 s25, s5, s21
	s_add_u32 s20, s20, 1
	global_load_ubyte v2, v3, s[24:25]
	s_addc_u32 s21, s21, 0
	s_waitcnt vmcnt(0)
	v_and_b32_e32 v2, 0xffff, v2
	v_lshlrev_b64 v[16:17], s18, v[2:3]
	s_add_u32 s18, s18, 8
	s_addc_u32 s19, s19, 0
	s_cmp_lg_u32 s22, s20
	v_or_b32_e32 v14, v16, v14
	v_or_b32_e32 v15, v17, v15
	s_cbranch_scc1 .LBB5_563
.LBB5_564:                              ;   in Loop: Header=BB5_539 Depth=1
	s_mov_b32 s23, 0
	s_cbranch_execz .LBB5_566
	s_branch .LBB5_567
.LBB5_565:                              ;   in Loop: Header=BB5_539 Depth=1
                                        ; implicit-def: $vgpr14_vgpr15
                                        ; implicit-def: $sgpr23
.LBB5_566:                              ;   in Loop: Header=BB5_539 Depth=1
	global_load_dwordx2 v[14:15], v3, s[4:5]
	s_add_i32 s23, s22, -8
	s_add_u32 s4, s4, 8
	s_addc_u32 s5, s5, 0
.LBB5_567:                              ;   in Loop: Header=BB5_539 Depth=1
	s_cmp_gt_u32 s23, 7
	s_cbranch_scc1 .LBB5_572
; %bb.568:                              ;   in Loop: Header=BB5_539 Depth=1
	v_mov_b32_e32 v16, 0
	v_mov_b32_e32 v17, 0
	s_cmp_eq_u32 s23, 0
	s_cbranch_scc1 .LBB5_571
; %bb.569:                              ;   in Loop: Header=BB5_539 Depth=1
	s_mov_b64 s[18:19], 0
	s_mov_b64 s[20:21], 0
.LBB5_570:                              ;   Parent Loop BB5_539 Depth=1
                                        ; =>  This Inner Loop Header: Depth=2
	s_add_u32 s24, s4, s20
	s_addc_u32 s25, s5, s21
	s_add_u32 s20, s20, 1
	global_load_ubyte v2, v3, s[24:25]
	s_addc_u32 s21, s21, 0
	s_waitcnt vmcnt(0)
	v_and_b32_e32 v2, 0xffff, v2
	v_lshlrev_b64 v[18:19], s18, v[2:3]
	s_add_u32 s18, s18, 8
	s_addc_u32 s19, s19, 0
	s_cmp_lg_u32 s23, s20
	v_or_b32_e32 v16, v18, v16
	v_or_b32_e32 v17, v19, v17
	s_cbranch_scc1 .LBB5_570
.LBB5_571:                              ;   in Loop: Header=BB5_539 Depth=1
	s_mov_b32 s22, 0
	s_cbranch_execz .LBB5_573
	s_branch .LBB5_574
.LBB5_572:                              ;   in Loop: Header=BB5_539 Depth=1
                                        ; implicit-def: $sgpr22
.LBB5_573:                              ;   in Loop: Header=BB5_539 Depth=1
	global_load_dwordx2 v[16:17], v3, s[4:5]
	s_add_i32 s22, s23, -8
	s_add_u32 s4, s4, 8
	s_addc_u32 s5, s5, 0
.LBB5_574:                              ;   in Loop: Header=BB5_539 Depth=1
	s_cmp_gt_u32 s22, 7
	s_cbranch_scc1 .LBB5_579
; %bb.575:                              ;   in Loop: Header=BB5_539 Depth=1
	v_mov_b32_e32 v18, 0
	v_mov_b32_e32 v19, 0
	s_cmp_eq_u32 s22, 0
	s_cbranch_scc1 .LBB5_578
; %bb.576:                              ;   in Loop: Header=BB5_539 Depth=1
	s_mov_b64 s[18:19], 0
	s_mov_b64 s[20:21], 0
.LBB5_577:                              ;   Parent Loop BB5_539 Depth=1
                                        ; =>  This Inner Loop Header: Depth=2
	s_add_u32 s24, s4, s20
	s_addc_u32 s25, s5, s21
	s_add_u32 s20, s20, 1
	global_load_ubyte v2, v3, s[24:25]
	s_addc_u32 s21, s21, 0
	s_waitcnt vmcnt(0)
	v_and_b32_e32 v2, 0xffff, v2
	v_lshlrev_b64 v[20:21], s18, v[2:3]
	s_add_u32 s18, s18, 8
	s_addc_u32 s19, s19, 0
	s_cmp_lg_u32 s22, s20
	v_or_b32_e32 v18, v20, v18
	v_or_b32_e32 v19, v21, v19
	s_cbranch_scc1 .LBB5_577
.LBB5_578:                              ;   in Loop: Header=BB5_539 Depth=1
	s_mov_b32 s23, 0
	s_cbranch_execz .LBB5_580
	s_branch .LBB5_581
.LBB5_579:                              ;   in Loop: Header=BB5_539 Depth=1
                                        ; implicit-def: $vgpr18_vgpr19
                                        ; implicit-def: $sgpr23
.LBB5_580:                              ;   in Loop: Header=BB5_539 Depth=1
	global_load_dwordx2 v[18:19], v3, s[4:5]
	s_add_i32 s23, s22, -8
	s_add_u32 s4, s4, 8
	s_addc_u32 s5, s5, 0
.LBB5_581:                              ;   in Loop: Header=BB5_539 Depth=1
	s_cmp_gt_u32 s23, 7
	s_cbranch_scc1 .LBB5_586
; %bb.582:                              ;   in Loop: Header=BB5_539 Depth=1
	v_mov_b32_e32 v20, 0
	v_mov_b32_e32 v21, 0
	s_cmp_eq_u32 s23, 0
	s_cbranch_scc1 .LBB5_585
; %bb.583:                              ;   in Loop: Header=BB5_539 Depth=1
	s_mov_b64 s[18:19], 0
	s_mov_b64 s[20:21], s[4:5]
.LBB5_584:                              ;   Parent Loop BB5_539 Depth=1
                                        ; =>  This Inner Loop Header: Depth=2
	global_load_ubyte v2, v3, s[20:21]
	s_add_i32 s23, s23, -1
	s_waitcnt vmcnt(0)
	v_and_b32_e32 v2, 0xffff, v2
	v_lshlrev_b64 v[22:23], s18, v[2:3]
	s_add_u32 s18, s18, 8
	s_addc_u32 s19, s19, 0
	s_add_u32 s20, s20, 1
	s_addc_u32 s21, s21, 0
	s_cmp_lg_u32 s23, 0
	v_or_b32_e32 v20, v22, v20
	v_or_b32_e32 v21, v23, v21
	s_cbranch_scc1 .LBB5_584
.LBB5_585:                              ;   in Loop: Header=BB5_539 Depth=1
	s_cbranch_execz .LBB5_587
	s_branch .LBB5_588
.LBB5_586:                              ;   in Loop: Header=BB5_539 Depth=1
.LBB5_587:                              ;   in Loop: Header=BB5_539 Depth=1
	global_load_dwordx2 v[20:21], v3, s[4:5]
.LBB5_588:                              ;   in Loop: Header=BB5_539 Depth=1
	v_readfirstlane_b32 s4, v48
	v_mov_b32_e32 v26, 0
	v_mov_b32_e32 v27, 0
	v_cmp_eq_u32_e64 s4, s4, v48
	s_and_saveexec_b32 s5, s4
	s_cbranch_execz .LBB5_594
; %bb.589:                              ;   in Loop: Header=BB5_539 Depth=1
	global_load_dwordx2 v[24:25], v3, s[26:27] offset:24 glc dlc
	s_waitcnt vmcnt(0)
	buffer_gl1_inv
	buffer_gl0_inv
	s_clause 0x1
	global_load_dwordx2 v[22:23], v3, s[26:27] offset:40
	global_load_dwordx2 v[26:27], v3, s[26:27]
	s_mov_b32 s18, exec_lo
	s_waitcnt vmcnt(1)
	v_and_b32_e32 v2, v23, v25
	v_and_b32_e32 v22, v22, v24
	v_mul_lo_u32 v2, v2, 24
	v_mul_hi_u32 v23, v22, 24
	v_mul_lo_u32 v22, v22, 24
	v_add_nc_u32_e32 v2, v23, v2
	s_waitcnt vmcnt(0)
	v_add_co_u32 v22, vcc_lo, v26, v22
	v_add_co_ci_u32_e32 v23, vcc_lo, v27, v2, vcc_lo
	global_load_dwordx2 v[22:23], v[22:23], off glc dlc
	s_waitcnt vmcnt(0)
	global_atomic_cmpswap_x2 v[26:27], v3, v[22:25], s[26:27] offset:24 glc
	s_waitcnt vmcnt(0)
	buffer_gl1_inv
	buffer_gl0_inv
	v_cmpx_ne_u64_e64 v[26:27], v[24:25]
	s_cbranch_execz .LBB5_593
; %bb.590:                              ;   in Loop: Header=BB5_539 Depth=1
	s_mov_b32 s19, 0
	.p2align	6
.LBB5_591:                              ;   Parent Loop BB5_539 Depth=1
                                        ; =>  This Inner Loop Header: Depth=2
	s_sleep 1
	s_clause 0x1
	global_load_dwordx2 v[22:23], v3, s[26:27] offset:40
	global_load_dwordx2 v[28:29], v3, s[26:27]
	v_mov_b32_e32 v24, v26
	v_mov_b32_e32 v25, v27
	s_waitcnt vmcnt(1)
	v_and_b32_e32 v2, v22, v24
	v_and_b32_e32 v22, v23, v25
	s_waitcnt vmcnt(0)
	v_mad_u64_u32 v[26:27], null, v2, 24, v[28:29]
	v_mov_b32_e32 v2, v27
	v_mad_u64_u32 v[22:23], null, v22, 24, v[2:3]
	v_mov_b32_e32 v27, v22
	global_load_dwordx2 v[22:23], v[26:27], off glc dlc
	s_waitcnt vmcnt(0)
	global_atomic_cmpswap_x2 v[26:27], v3, v[22:25], s[26:27] offset:24 glc
	s_waitcnt vmcnt(0)
	buffer_gl1_inv
	buffer_gl0_inv
	v_cmp_eq_u64_e32 vcc_lo, v[26:27], v[24:25]
	s_or_b32 s19, vcc_lo, s19
	s_andn2_b32 exec_lo, exec_lo, s19
	s_cbranch_execnz .LBB5_591
; %bb.592:                              ;   in Loop: Header=BB5_539 Depth=1
	s_or_b32 exec_lo, exec_lo, s19
.LBB5_593:                              ;   in Loop: Header=BB5_539 Depth=1
	s_or_b32 exec_lo, exec_lo, s18
.LBB5_594:                              ;   in Loop: Header=BB5_539 Depth=1
	s_or_b32 exec_lo, exec_lo, s5
	s_clause 0x1
	global_load_dwordx2 v[28:29], v3, s[26:27] offset:40
	global_load_dwordx4 v[22:25], v3, s[26:27]
	v_readfirstlane_b32 s18, v26
	v_readfirstlane_b32 s19, v27
	s_mov_b32 s5, exec_lo
	s_waitcnt vmcnt(1)
	v_readfirstlane_b32 s20, v28
	v_readfirstlane_b32 s21, v29
	s_and_b64 s[20:21], s[18:19], s[20:21]
	s_mul_i32 s22, s21, 24
	s_mul_hi_u32 s23, s20, 24
	s_mul_i32 s24, s20, 24
	s_add_i32 s23, s23, s22
	s_waitcnt vmcnt(0)
	v_add_co_u32 v26, vcc_lo, v22, s24
	v_add_co_ci_u32_e32 v27, vcc_lo, s23, v23, vcc_lo
	s_and_saveexec_b32 s22, s4
	s_cbranch_execz .LBB5_596
; %bb.595:                              ;   in Loop: Header=BB5_539 Depth=1
	v_mov_b32_e32 v2, s5
	global_store_dwordx4 v[26:27], v[2:5], off offset:8
.LBB5_596:                              ;   in Loop: Header=BB5_539 Depth=1
	s_or_b32 exec_lo, exec_lo, s22
	s_lshl_b64 s[20:21], s[20:21], 12
	v_or_b32_e32 v2, 2, v6
	v_add_co_u32 v24, vcc_lo, v24, s20
	v_add_co_ci_u32_e32 v25, vcc_lo, s21, v25, vcc_lo
	v_cmp_gt_u64_e64 vcc_lo, s[10:11], 56
	s_lshl_b32 s5, s16, 2
	v_readfirstlane_b32 s20, v24
	s_add_i32 s5, s5, 28
	v_readfirstlane_b32 s21, v25
	s_and_b32 s5, s5, 0x1e0
	v_cndmask_b32_e32 v2, v2, v6, vcc_lo
	v_and_or_b32 v6, 0xffffff1f, v2, s5
	global_store_dwordx4 v39, v[10:13], s[20:21] offset:16
	global_store_dwordx4 v39, v[6:9], s[20:21]
	global_store_dwordx4 v39, v[14:17], s[20:21] offset:32
	global_store_dwordx4 v39, v[18:21], s[20:21] offset:48
	s_and_saveexec_b32 s5, s4
	s_cbranch_execz .LBB5_604
; %bb.597:                              ;   in Loop: Header=BB5_539 Depth=1
	s_clause 0x1
	global_load_dwordx2 v[14:15], v3, s[26:27] offset:32 glc dlc
	global_load_dwordx2 v[6:7], v3, s[26:27] offset:40
	v_mov_b32_e32 v12, s18
	v_mov_b32_e32 v13, s19
	s_waitcnt vmcnt(0)
	v_readfirstlane_b32 s20, v6
	v_readfirstlane_b32 s21, v7
	s_and_b64 s[20:21], s[20:21], s[18:19]
	s_mul_i32 s21, s21, 24
	s_mul_hi_u32 s22, s20, 24
	s_mul_i32 s20, s20, 24
	s_add_i32 s22, s22, s21
	v_add_co_u32 v10, vcc_lo, v22, s20
	v_add_co_ci_u32_e32 v11, vcc_lo, s22, v23, vcc_lo
	s_mov_b32 s20, exec_lo
	global_store_dwordx2 v[10:11], v[14:15], off
	s_waitcnt_vscnt null, 0x0
	global_atomic_cmpswap_x2 v[8:9], v3, v[12:15], s[26:27] offset:32 glc
	s_waitcnt vmcnt(0)
	v_cmpx_ne_u64_e64 v[8:9], v[14:15]
	s_cbranch_execz .LBB5_600
; %bb.598:                              ;   in Loop: Header=BB5_539 Depth=1
	s_mov_b32 s21, 0
.LBB5_599:                              ;   Parent Loop BB5_539 Depth=1
                                        ; =>  This Inner Loop Header: Depth=2
	v_mov_b32_e32 v6, s18
	v_mov_b32_e32 v7, s19
	s_sleep 1
	global_store_dwordx2 v[10:11], v[8:9], off
	s_waitcnt_vscnt null, 0x0
	global_atomic_cmpswap_x2 v[6:7], v3, v[6:9], s[26:27] offset:32 glc
	s_waitcnt vmcnt(0)
	v_cmp_eq_u64_e32 vcc_lo, v[6:7], v[8:9]
	v_mov_b32_e32 v9, v7
	v_mov_b32_e32 v8, v6
	s_or_b32 s21, vcc_lo, s21
	s_andn2_b32 exec_lo, exec_lo, s21
	s_cbranch_execnz .LBB5_599
.LBB5_600:                              ;   in Loop: Header=BB5_539 Depth=1
	s_or_b32 exec_lo, exec_lo, s20
	global_load_dwordx2 v[6:7], v3, s[26:27] offset:16
	s_mov_b32 s21, exec_lo
	s_mov_b32 s20, exec_lo
	v_mbcnt_lo_u32_b32 v2, s21, 0
	v_cmpx_eq_u32_e32 0, v2
	s_cbranch_execz .LBB5_602
; %bb.601:                              ;   in Loop: Header=BB5_539 Depth=1
	s_bcnt1_i32_b32 s21, s21
	v_mov_b32_e32 v2, s21
	s_waitcnt vmcnt(0)
	global_atomic_add_x2 v[6:7], v[2:3], off offset:8
.LBB5_602:                              ;   in Loop: Header=BB5_539 Depth=1
	s_or_b32 exec_lo, exec_lo, s20
	s_waitcnt vmcnt(0)
	global_load_dwordx2 v[8:9], v[6:7], off offset:16
	s_waitcnt vmcnt(0)
	v_cmp_eq_u64_e32 vcc_lo, 0, v[8:9]
	s_cbranch_vccnz .LBB5_604
; %bb.603:                              ;   in Loop: Header=BB5_539 Depth=1
	global_load_dword v2, v[6:7], off offset:24
	s_waitcnt vmcnt(0)
	v_and_b32_e32 v6, 0x7fffff, v2
	s_waitcnt_vscnt null, 0x0
	global_store_dwordx2 v[8:9], v[2:3], off
	v_readfirstlane_b32 m0, v6
	s_sendmsg sendmsg(MSG_INTERRUPT)
.LBB5_604:                              ;   in Loop: Header=BB5_539 Depth=1
	s_or_b32 exec_lo, exec_lo, s5
	v_add_co_u32 v6, vcc_lo, v24, v39
	v_add_co_ci_u32_e32 v7, vcc_lo, 0, v25, vcc_lo
	s_branch .LBB5_608
	.p2align	6
.LBB5_605:                              ;   in Loop: Header=BB5_608 Depth=2
	s_or_b32 exec_lo, exec_lo, s5
	v_readfirstlane_b32 s5, v2
	s_cmp_eq_u32 s5, 0
	s_cbranch_scc1 .LBB5_607
; %bb.606:                              ;   in Loop: Header=BB5_608 Depth=2
	s_sleep 1
	s_cbranch_execnz .LBB5_608
	s_branch .LBB5_610
	.p2align	6
.LBB5_607:                              ;   in Loop: Header=BB5_539 Depth=1
	s_branch .LBB5_610
.LBB5_608:                              ;   Parent Loop BB5_539 Depth=1
                                        ; =>  This Inner Loop Header: Depth=2
	v_mov_b32_e32 v2, 1
	s_and_saveexec_b32 s5, s4
	s_cbranch_execz .LBB5_605
; %bb.609:                              ;   in Loop: Header=BB5_608 Depth=2
	global_load_dword v2, v[26:27], off offset:20 glc dlc
	s_waitcnt vmcnt(0)
	buffer_gl1_inv
	buffer_gl0_inv
	v_and_b32_e32 v2, 1, v2
	s_branch .LBB5_605
.LBB5_610:                              ;   in Loop: Header=BB5_539 Depth=1
	global_load_dwordx4 v[6:9], v[6:7], off
	s_and_saveexec_b32 s5, s4
	s_cbranch_execz .LBB5_538
; %bb.611:                              ;   in Loop: Header=BB5_539 Depth=1
	s_clause 0x2
	global_load_dwordx2 v[10:11], v3, s[26:27] offset:40
	global_load_dwordx2 v[14:15], v3, s[26:27] offset:24 glc dlc
	global_load_dwordx2 v[12:13], v3, s[26:27]
	s_waitcnt vmcnt(2)
	v_add_co_u32 v2, vcc_lo, v10, 1
	v_add_co_ci_u32_e32 v16, vcc_lo, 0, v11, vcc_lo
	v_add_co_u32 v8, vcc_lo, v2, s18
	v_add_co_ci_u32_e32 v9, vcc_lo, s19, v16, vcc_lo
	v_cmp_eq_u64_e32 vcc_lo, 0, v[8:9]
	v_cndmask_b32_e32 v9, v9, v16, vcc_lo
	v_cndmask_b32_e32 v8, v8, v2, vcc_lo
	v_and_b32_e32 v2, v9, v11
	v_and_b32_e32 v10, v8, v10
	v_mul_lo_u32 v2, v2, 24
	v_mul_hi_u32 v11, v10, 24
	v_mul_lo_u32 v10, v10, 24
	v_add_nc_u32_e32 v2, v11, v2
	s_waitcnt vmcnt(0)
	v_add_co_u32 v12, vcc_lo, v12, v10
	v_mov_b32_e32 v10, v14
	v_mov_b32_e32 v11, v15
	v_add_co_ci_u32_e32 v13, vcc_lo, v13, v2, vcc_lo
	global_store_dwordx2 v[12:13], v[14:15], off
	s_waitcnt_vscnt null, 0x0
	global_atomic_cmpswap_x2 v[10:11], v3, v[8:11], s[26:27] offset:24 glc
	s_waitcnt vmcnt(0)
	v_cmp_ne_u64_e32 vcc_lo, v[10:11], v[14:15]
	s_and_b32 exec_lo, exec_lo, vcc_lo
	s_cbranch_execz .LBB5_538
; %bb.612:                              ;   in Loop: Header=BB5_539 Depth=1
	s_mov_b32 s4, 0
.LBB5_613:                              ;   Parent Loop BB5_539 Depth=1
                                        ; =>  This Inner Loop Header: Depth=2
	s_sleep 1
	global_store_dwordx2 v[12:13], v[10:11], off
	s_waitcnt_vscnt null, 0x0
	global_atomic_cmpswap_x2 v[14:15], v3, v[8:11], s[26:27] offset:24 glc
	s_waitcnt vmcnt(0)
	v_cmp_eq_u64_e32 vcc_lo, v[14:15], v[10:11]
	v_mov_b32_e32 v10, v14
	v_mov_b32_e32 v11, v15
	s_or_b32 s4, vcc_lo, s4
	s_andn2_b32 exec_lo, exec_lo, s4
	s_cbranch_execnz .LBB5_613
	s_branch .LBB5_538
.LBB5_614:
	s_branch .LBB5_643
.LBB5_615:
	s_cbranch_execz .LBB5_643
; %bb.616:
	v_readfirstlane_b32 s4, v48
	s_waitcnt vmcnt(0)
	v_mov_b32_e32 v8, 0
	v_mov_b32_e32 v9, 0
	v_cmp_eq_u32_e64 s4, s4, v48
	s_and_saveexec_b32 s5, s4
	s_cbranch_execz .LBB5_622
; %bb.617:
	v_mov_b32_e32 v2, 0
	s_mov_b32 s6, exec_lo
	global_load_dwordx2 v[5:6], v2, s[26:27] offset:24 glc dlc
	s_waitcnt vmcnt(0)
	buffer_gl1_inv
	buffer_gl0_inv
	s_clause 0x1
	global_load_dwordx2 v[3:4], v2, s[26:27] offset:40
	global_load_dwordx2 v[7:8], v2, s[26:27]
	s_waitcnt vmcnt(1)
	v_and_b32_e32 v4, v4, v6
	v_and_b32_e32 v3, v3, v5
	v_mul_lo_u32 v4, v4, 24
	v_mul_hi_u32 v9, v3, 24
	v_mul_lo_u32 v3, v3, 24
	v_add_nc_u32_e32 v4, v9, v4
	s_waitcnt vmcnt(0)
	v_add_co_u32 v3, vcc_lo, v7, v3
	v_add_co_ci_u32_e32 v4, vcc_lo, v8, v4, vcc_lo
	global_load_dwordx2 v[3:4], v[3:4], off glc dlc
	s_waitcnt vmcnt(0)
	global_atomic_cmpswap_x2 v[8:9], v2, v[3:6], s[26:27] offset:24 glc
	s_waitcnt vmcnt(0)
	buffer_gl1_inv
	buffer_gl0_inv
	v_cmpx_ne_u64_e64 v[8:9], v[5:6]
	s_cbranch_execz .LBB5_621
; %bb.618:
	s_mov_b32 s7, 0
	.p2align	6
.LBB5_619:                              ; =>This Inner Loop Header: Depth=1
	s_sleep 1
	s_clause 0x1
	global_load_dwordx2 v[3:4], v2, s[26:27] offset:40
	global_load_dwordx2 v[10:11], v2, s[26:27]
	v_mov_b32_e32 v5, v8
	v_mov_b32_e32 v6, v9
	s_waitcnt vmcnt(1)
	v_and_b32_e32 v3, v3, v5
	v_and_b32_e32 v4, v4, v6
	s_waitcnt vmcnt(0)
	v_mad_u64_u32 v[7:8], null, v3, 24, v[10:11]
	v_mov_b32_e32 v3, v8
	v_mad_u64_u32 v[3:4], null, v4, 24, v[3:4]
	v_mov_b32_e32 v8, v3
	global_load_dwordx2 v[3:4], v[7:8], off glc dlc
	s_waitcnt vmcnt(0)
	global_atomic_cmpswap_x2 v[8:9], v2, v[3:6], s[26:27] offset:24 glc
	s_waitcnt vmcnt(0)
	buffer_gl1_inv
	buffer_gl0_inv
	v_cmp_eq_u64_e32 vcc_lo, v[8:9], v[5:6]
	s_or_b32 s7, vcc_lo, s7
	s_andn2_b32 exec_lo, exec_lo, s7
	s_cbranch_execnz .LBB5_619
; %bb.620:
	s_or_b32 exec_lo, exec_lo, s7
.LBB5_621:
	s_or_b32 exec_lo, exec_lo, s6
.LBB5_622:
	s_or_b32 exec_lo, exec_lo, s5
	v_mov_b32_e32 v2, 0
	v_readfirstlane_b32 s6, v8
	v_readfirstlane_b32 s7, v9
	s_mov_b32 s5, exec_lo
	s_clause 0x1
	global_load_dwordx2 v[10:11], v2, s[26:27] offset:40
	global_load_dwordx4 v[4:7], v2, s[26:27]
	s_waitcnt vmcnt(1)
	v_readfirstlane_b32 s10, v10
	v_readfirstlane_b32 s11, v11
	s_and_b64 s[10:11], s[6:7], s[10:11]
	s_mul_i32 s16, s11, 24
	s_mul_hi_u32 s17, s10, 24
	s_mul_i32 s18, s10, 24
	s_add_i32 s17, s17, s16
	s_waitcnt vmcnt(0)
	v_add_co_u32 v8, vcc_lo, v4, s18
	v_add_co_ci_u32_e32 v9, vcc_lo, s17, v5, vcc_lo
	s_and_saveexec_b32 s16, s4
	s_cbranch_execz .LBB5_624
; %bb.623:
	v_mov_b32_e32 v10, s5
	v_mov_b32_e32 v11, v2
	;; [unrolled: 1-line block ×4, first 2 shown]
	global_store_dwordx4 v[8:9], v[10:13], off offset:8
.LBB5_624:
	s_or_b32 exec_lo, exec_lo, s16
	s_lshl_b64 s[10:11], s[10:11], 12
	s_mov_b32 s16, 0
	v_add_co_u32 v6, vcc_lo, v6, s10
	v_add_co_ci_u32_e32 v7, vcc_lo, s11, v7, vcc_lo
	s_mov_b32 s17, s16
	s_mov_b32 s18, s16
	;; [unrolled: 1-line block ×3, first 2 shown]
	v_and_or_b32 v0, 0xffffff1d, v0, 34
	v_mov_b32_e32 v3, v2
	v_readfirstlane_b32 s10, v6
	v_readfirstlane_b32 s11, v7
	v_mov_b32_e32 v10, s16
	v_mov_b32_e32 v11, s17
	;; [unrolled: 1-line block ×4, first 2 shown]
	global_store_dwordx4 v39, v[0:3], s[10:11]
	global_store_dwordx4 v39, v[10:13], s[10:11] offset:16
	global_store_dwordx4 v39, v[10:13], s[10:11] offset:32
	;; [unrolled: 1-line block ×3, first 2 shown]
	s_and_saveexec_b32 s5, s4
	s_cbranch_execz .LBB5_632
; %bb.625:
	v_mov_b32_e32 v6, 0
	v_mov_b32_e32 v10, s6
	;; [unrolled: 1-line block ×3, first 2 shown]
	s_clause 0x1
	global_load_dwordx2 v[12:13], v6, s[26:27] offset:32 glc dlc
	global_load_dwordx2 v[0:1], v6, s[26:27] offset:40
	s_waitcnt vmcnt(0)
	v_readfirstlane_b32 s10, v0
	v_readfirstlane_b32 s11, v1
	s_and_b64 s[10:11], s[10:11], s[6:7]
	s_mul_i32 s11, s11, 24
	s_mul_hi_u32 s16, s10, 24
	s_mul_i32 s10, s10, 24
	s_add_i32 s16, s16, s11
	v_add_co_u32 v4, vcc_lo, v4, s10
	v_add_co_ci_u32_e32 v5, vcc_lo, s16, v5, vcc_lo
	s_mov_b32 s10, exec_lo
	global_store_dwordx2 v[4:5], v[12:13], off
	s_waitcnt_vscnt null, 0x0
	global_atomic_cmpswap_x2 v[2:3], v6, v[10:13], s[26:27] offset:32 glc
	s_waitcnt vmcnt(0)
	v_cmpx_ne_u64_e64 v[2:3], v[12:13]
	s_cbranch_execz .LBB5_628
; %bb.626:
	s_mov_b32 s11, 0
.LBB5_627:                              ; =>This Inner Loop Header: Depth=1
	v_mov_b32_e32 v0, s6
	v_mov_b32_e32 v1, s7
	s_sleep 1
	global_store_dwordx2 v[4:5], v[2:3], off
	s_waitcnt_vscnt null, 0x0
	global_atomic_cmpswap_x2 v[0:1], v6, v[0:3], s[26:27] offset:32 glc
	s_waitcnt vmcnt(0)
	v_cmp_eq_u64_e32 vcc_lo, v[0:1], v[2:3]
	v_mov_b32_e32 v3, v1
	v_mov_b32_e32 v2, v0
	s_or_b32 s11, vcc_lo, s11
	s_andn2_b32 exec_lo, exec_lo, s11
	s_cbranch_execnz .LBB5_627
.LBB5_628:
	s_or_b32 exec_lo, exec_lo, s10
	v_mov_b32_e32 v3, 0
	s_mov_b32 s11, exec_lo
	s_mov_b32 s10, exec_lo
	v_mbcnt_lo_u32_b32 v2, s11, 0
	global_load_dwordx2 v[0:1], v3, s[26:27] offset:16
	v_cmpx_eq_u32_e32 0, v2
	s_cbranch_execz .LBB5_630
; %bb.629:
	s_bcnt1_i32_b32 s11, s11
	v_mov_b32_e32 v2, s11
	s_waitcnt vmcnt(0)
	global_atomic_add_x2 v[0:1], v[2:3], off offset:8
.LBB5_630:
	s_or_b32 exec_lo, exec_lo, s10
	s_waitcnt vmcnt(0)
	global_load_dwordx2 v[2:3], v[0:1], off offset:16
	s_waitcnt vmcnt(0)
	v_cmp_eq_u64_e32 vcc_lo, 0, v[2:3]
	s_cbranch_vccnz .LBB5_632
; %bb.631:
	global_load_dword v0, v[0:1], off offset:24
	v_mov_b32_e32 v1, 0
	s_waitcnt vmcnt(0)
	v_and_b32_e32 v4, 0x7fffff, v0
	s_waitcnt_vscnt null, 0x0
	global_store_dwordx2 v[2:3], v[0:1], off
	v_readfirstlane_b32 m0, v4
	s_sendmsg sendmsg(MSG_INTERRUPT)
.LBB5_632:
	s_or_b32 exec_lo, exec_lo, s5
	s_branch .LBB5_636
	.p2align	6
.LBB5_633:                              ;   in Loop: Header=BB5_636 Depth=1
	s_or_b32 exec_lo, exec_lo, s5
	v_readfirstlane_b32 s5, v0
	s_cmp_eq_u32 s5, 0
	s_cbranch_scc1 .LBB5_635
; %bb.634:                              ;   in Loop: Header=BB5_636 Depth=1
	s_sleep 1
	s_cbranch_execnz .LBB5_636
	s_branch .LBB5_638
	.p2align	6
.LBB5_635:
	s_branch .LBB5_638
.LBB5_636:                              ; =>This Inner Loop Header: Depth=1
	v_mov_b32_e32 v0, 1
	s_and_saveexec_b32 s5, s4
	s_cbranch_execz .LBB5_633
; %bb.637:                              ;   in Loop: Header=BB5_636 Depth=1
	global_load_dword v0, v[8:9], off offset:20 glc dlc
	s_waitcnt vmcnt(0)
	buffer_gl1_inv
	buffer_gl0_inv
	v_and_b32_e32 v0, 1, v0
	s_branch .LBB5_633
.LBB5_638:
	s_and_saveexec_b32 s5, s4
	s_cbranch_execz .LBB5_642
; %bb.639:
	v_mov_b32_e32 v6, 0
	s_clause 0x2
	global_load_dwordx2 v[2:3], v6, s[26:27] offset:40
	global_load_dwordx2 v[7:8], v6, s[26:27] offset:24 glc dlc
	global_load_dwordx2 v[4:5], v6, s[26:27]
	s_waitcnt vmcnt(2)
	v_add_co_u32 v9, vcc_lo, v2, 1
	v_add_co_ci_u32_e32 v10, vcc_lo, 0, v3, vcc_lo
	v_add_co_u32 v0, vcc_lo, v9, s6
	v_add_co_ci_u32_e32 v1, vcc_lo, s7, v10, vcc_lo
	v_cmp_eq_u64_e32 vcc_lo, 0, v[0:1]
	v_cndmask_b32_e32 v1, v1, v10, vcc_lo
	v_cndmask_b32_e32 v0, v0, v9, vcc_lo
	v_and_b32_e32 v3, v1, v3
	v_and_b32_e32 v2, v0, v2
	v_mul_lo_u32 v3, v3, 24
	v_mul_hi_u32 v9, v2, 24
	v_mul_lo_u32 v2, v2, 24
	v_add_nc_u32_e32 v3, v9, v3
	s_waitcnt vmcnt(0)
	v_add_co_u32 v4, vcc_lo, v4, v2
	v_mov_b32_e32 v2, v7
	v_add_co_ci_u32_e32 v5, vcc_lo, v5, v3, vcc_lo
	v_mov_b32_e32 v3, v8
	global_store_dwordx2 v[4:5], v[7:8], off
	s_waitcnt_vscnt null, 0x0
	global_atomic_cmpswap_x2 v[2:3], v6, v[0:3], s[26:27] offset:24 glc
	s_waitcnt vmcnt(0)
	v_cmp_ne_u64_e32 vcc_lo, v[2:3], v[7:8]
	s_and_b32 exec_lo, exec_lo, vcc_lo
	s_cbranch_execz .LBB5_642
; %bb.640:
	s_mov_b32 s4, 0
.LBB5_641:                              ; =>This Inner Loop Header: Depth=1
	s_sleep 1
	global_store_dwordx2 v[4:5], v[2:3], off
	s_waitcnt_vscnt null, 0x0
	global_atomic_cmpswap_x2 v[7:8], v6, v[0:3], s[26:27] offset:24 glc
	s_waitcnt vmcnt(0)
	v_cmp_eq_u64_e32 vcc_lo, v[7:8], v[2:3]
	v_mov_b32_e32 v2, v7
	v_mov_b32_e32 v3, v8
	s_or_b32 s4, vcc_lo, s4
	s_andn2_b32 exec_lo, exec_lo, s4
	s_cbranch_execnz .LBB5_641
.LBB5_642:
	s_or_b32 exec_lo, exec_lo, s5
.LBB5_643:
	v_readfirstlane_b32 s4, v48
	s_waitcnt vmcnt(0)
	v_mov_b32_e32 v6, 0
	v_mov_b32_e32 v7, 0
	v_cmp_eq_u32_e64 s4, s4, v48
	s_and_saveexec_b32 s5, s4
	s_cbranch_execz .LBB5_649
; %bb.644:
	v_mov_b32_e32 v0, 0
	s_mov_b32 s6, exec_lo
	global_load_dwordx2 v[3:4], v0, s[26:27] offset:24 glc dlc
	s_waitcnt vmcnt(0)
	buffer_gl1_inv
	buffer_gl0_inv
	s_clause 0x1
	global_load_dwordx2 v[1:2], v0, s[26:27] offset:40
	global_load_dwordx2 v[5:6], v0, s[26:27]
	s_waitcnt vmcnt(1)
	v_and_b32_e32 v2, v2, v4
	v_and_b32_e32 v1, v1, v3
	v_mul_lo_u32 v2, v2, 24
	v_mul_hi_u32 v7, v1, 24
	v_mul_lo_u32 v1, v1, 24
	v_add_nc_u32_e32 v2, v7, v2
	s_waitcnt vmcnt(0)
	v_add_co_u32 v1, vcc_lo, v5, v1
	v_add_co_ci_u32_e32 v2, vcc_lo, v6, v2, vcc_lo
	global_load_dwordx2 v[1:2], v[1:2], off glc dlc
	s_waitcnt vmcnt(0)
	global_atomic_cmpswap_x2 v[6:7], v0, v[1:4], s[26:27] offset:24 glc
	s_waitcnt vmcnt(0)
	buffer_gl1_inv
	buffer_gl0_inv
	v_cmpx_ne_u64_e64 v[6:7], v[3:4]
	s_cbranch_execz .LBB5_648
; %bb.645:
	s_mov_b32 s7, 0
	.p2align	6
.LBB5_646:                              ; =>This Inner Loop Header: Depth=1
	s_sleep 1
	s_clause 0x1
	global_load_dwordx2 v[1:2], v0, s[26:27] offset:40
	global_load_dwordx2 v[8:9], v0, s[26:27]
	v_mov_b32_e32 v3, v6
	v_mov_b32_e32 v4, v7
	s_waitcnt vmcnt(1)
	v_and_b32_e32 v1, v1, v3
	v_and_b32_e32 v2, v2, v4
	s_waitcnt vmcnt(0)
	v_mad_u64_u32 v[5:6], null, v1, 24, v[8:9]
	v_mov_b32_e32 v1, v6
	v_mad_u64_u32 v[1:2], null, v2, 24, v[1:2]
	v_mov_b32_e32 v6, v1
	global_load_dwordx2 v[1:2], v[5:6], off glc dlc
	s_waitcnt vmcnt(0)
	global_atomic_cmpswap_x2 v[6:7], v0, v[1:4], s[26:27] offset:24 glc
	s_waitcnt vmcnt(0)
	buffer_gl1_inv
	buffer_gl0_inv
	v_cmp_eq_u64_e32 vcc_lo, v[6:7], v[3:4]
	s_or_b32 s7, vcc_lo, s7
	s_andn2_b32 exec_lo, exec_lo, s7
	s_cbranch_execnz .LBB5_646
; %bb.647:
	s_or_b32 exec_lo, exec_lo, s7
.LBB5_648:
	s_or_b32 exec_lo, exec_lo, s6
.LBB5_649:
	s_or_b32 exec_lo, exec_lo, s5
	v_mov_b32_e32 v5, 0
	v_readfirstlane_b32 s6, v6
	v_readfirstlane_b32 s7, v7
	s_mov_b32 s5, exec_lo
	s_clause 0x1
	global_load_dwordx2 v[8:9], v5, s[26:27] offset:40
	global_load_dwordx4 v[0:3], v5, s[26:27]
	s_waitcnt vmcnt(1)
	v_readfirstlane_b32 s10, v8
	v_readfirstlane_b32 s11, v9
	s_and_b64 s[10:11], s[6:7], s[10:11]
	s_mul_i32 s16, s11, 24
	s_mul_hi_u32 s17, s10, 24
	s_mul_i32 s18, s10, 24
	s_add_i32 s17, s17, s16
	s_waitcnt vmcnt(0)
	v_add_co_u32 v8, vcc_lo, v0, s18
	v_add_co_ci_u32_e32 v9, vcc_lo, s17, v1, vcc_lo
	s_and_saveexec_b32 s16, s4
	s_cbranch_execz .LBB5_651
; %bb.650:
	v_mov_b32_e32 v4, s5
	v_mov_b32_e32 v6, 2
	v_mov_b32_e32 v7, 1
	global_store_dwordx4 v[8:9], v[4:7], off offset:8
.LBB5_651:
	s_or_b32 exec_lo, exec_lo, s16
	s_lshl_b64 s[10:11], s[10:11], 12
	s_mov_b32 s16, 0
	v_add_co_u32 v2, vcc_lo, v2, s10
	v_add_co_ci_u32_e32 v3, vcc_lo, s11, v3, vcc_lo
	s_mov_b32 s17, s16
	v_add_co_u32 v10, vcc_lo, v2, v39
	s_mov_b32 s18, s16
	s_mov_b32 s19, s16
	v_mov_b32_e32 v4, 33
	v_mov_b32_e32 v6, v5
	;; [unrolled: 1-line block ×3, first 2 shown]
	v_readfirstlane_b32 s10, v2
	v_readfirstlane_b32 s11, v3
	v_mov_b32_e32 v12, s16
	v_add_co_ci_u32_e32 v11, vcc_lo, 0, v3, vcc_lo
	v_mov_b32_e32 v13, s17
	v_mov_b32_e32 v14, s18
	;; [unrolled: 1-line block ×3, first 2 shown]
	global_store_dwordx4 v39, v[4:7], s[10:11]
	global_store_dwordx4 v39, v[12:15], s[10:11] offset:16
	global_store_dwordx4 v39, v[12:15], s[10:11] offset:32
	;; [unrolled: 1-line block ×3, first 2 shown]
	s_and_saveexec_b32 s5, s4
	s_cbranch_execz .LBB5_659
; %bb.652:
	v_mov_b32_e32 v6, 0
	v_mov_b32_e32 v12, s6
	;; [unrolled: 1-line block ×3, first 2 shown]
	s_clause 0x1
	global_load_dwordx2 v[14:15], v6, s[26:27] offset:32 glc dlc
	global_load_dwordx2 v[2:3], v6, s[26:27] offset:40
	s_waitcnt vmcnt(0)
	v_readfirstlane_b32 s10, v2
	v_readfirstlane_b32 s11, v3
	s_and_b64 s[10:11], s[10:11], s[6:7]
	s_mul_i32 s11, s11, 24
	s_mul_hi_u32 s16, s10, 24
	s_mul_i32 s10, s10, 24
	s_add_i32 s16, s16, s11
	v_add_co_u32 v4, vcc_lo, v0, s10
	v_add_co_ci_u32_e32 v5, vcc_lo, s16, v1, vcc_lo
	s_mov_b32 s10, exec_lo
	global_store_dwordx2 v[4:5], v[14:15], off
	s_waitcnt_vscnt null, 0x0
	global_atomic_cmpswap_x2 v[2:3], v6, v[12:15], s[26:27] offset:32 glc
	s_waitcnt vmcnt(0)
	v_cmpx_ne_u64_e64 v[2:3], v[14:15]
	s_cbranch_execz .LBB5_655
; %bb.653:
	s_mov_b32 s11, 0
.LBB5_654:                              ; =>This Inner Loop Header: Depth=1
	v_mov_b32_e32 v0, s6
	v_mov_b32_e32 v1, s7
	s_sleep 1
	global_store_dwordx2 v[4:5], v[2:3], off
	s_waitcnt_vscnt null, 0x0
	global_atomic_cmpswap_x2 v[0:1], v6, v[0:3], s[26:27] offset:32 glc
	s_waitcnt vmcnt(0)
	v_cmp_eq_u64_e32 vcc_lo, v[0:1], v[2:3]
	v_mov_b32_e32 v3, v1
	v_mov_b32_e32 v2, v0
	s_or_b32 s11, vcc_lo, s11
	s_andn2_b32 exec_lo, exec_lo, s11
	s_cbranch_execnz .LBB5_654
.LBB5_655:
	s_or_b32 exec_lo, exec_lo, s10
	v_mov_b32_e32 v3, 0
	s_mov_b32 s11, exec_lo
	s_mov_b32 s10, exec_lo
	v_mbcnt_lo_u32_b32 v2, s11, 0
	global_load_dwordx2 v[0:1], v3, s[26:27] offset:16
	v_cmpx_eq_u32_e32 0, v2
	s_cbranch_execz .LBB5_657
; %bb.656:
	s_bcnt1_i32_b32 s11, s11
	v_mov_b32_e32 v2, s11
	s_waitcnt vmcnt(0)
	global_atomic_add_x2 v[0:1], v[2:3], off offset:8
.LBB5_657:
	s_or_b32 exec_lo, exec_lo, s10
	s_waitcnt vmcnt(0)
	global_load_dwordx2 v[2:3], v[0:1], off offset:16
	s_waitcnt vmcnt(0)
	v_cmp_eq_u64_e32 vcc_lo, 0, v[2:3]
	s_cbranch_vccnz .LBB5_659
; %bb.658:
	global_load_dword v0, v[0:1], off offset:24
	v_mov_b32_e32 v1, 0
	s_waitcnt vmcnt(0)
	v_and_b32_e32 v4, 0x7fffff, v0
	s_waitcnt_vscnt null, 0x0
	global_store_dwordx2 v[2:3], v[0:1], off
	v_readfirstlane_b32 m0, v4
	s_sendmsg sendmsg(MSG_INTERRUPT)
.LBB5_659:
	s_or_b32 exec_lo, exec_lo, s5
	s_branch .LBB5_663
	.p2align	6
.LBB5_660:                              ;   in Loop: Header=BB5_663 Depth=1
	s_or_b32 exec_lo, exec_lo, s5
	v_readfirstlane_b32 s5, v0
	s_cmp_eq_u32 s5, 0
	s_cbranch_scc1 .LBB5_662
; %bb.661:                              ;   in Loop: Header=BB5_663 Depth=1
	s_sleep 1
	s_cbranch_execnz .LBB5_663
	s_branch .LBB5_665
	.p2align	6
.LBB5_662:
	s_branch .LBB5_665
.LBB5_663:                              ; =>This Inner Loop Header: Depth=1
	v_mov_b32_e32 v0, 1
	s_and_saveexec_b32 s5, s4
	s_cbranch_execz .LBB5_660
; %bb.664:                              ;   in Loop: Header=BB5_663 Depth=1
	global_load_dword v0, v[8:9], off offset:20 glc dlc
	s_waitcnt vmcnt(0)
	buffer_gl1_inv
	buffer_gl0_inv
	v_and_b32_e32 v0, 1, v0
	s_branch .LBB5_660
.LBB5_665:
	global_load_dwordx2 v[0:1], v[10:11], off
	s_and_saveexec_b32 s5, s4
	s_cbranch_execz .LBB5_669
; %bb.666:
	v_mov_b32_e32 v8, 0
	s_clause 0x2
	global_load_dwordx2 v[4:5], v8, s[26:27] offset:40
	global_load_dwordx2 v[9:10], v8, s[26:27] offset:24 glc dlc
	global_load_dwordx2 v[6:7], v8, s[26:27]
	s_waitcnt vmcnt(2)
	v_add_co_u32 v11, vcc_lo, v4, 1
	v_add_co_ci_u32_e32 v12, vcc_lo, 0, v5, vcc_lo
	v_add_co_u32 v2, vcc_lo, v11, s6
	v_add_co_ci_u32_e32 v3, vcc_lo, s7, v12, vcc_lo
	v_cmp_eq_u64_e32 vcc_lo, 0, v[2:3]
	v_cndmask_b32_e32 v3, v3, v12, vcc_lo
	v_cndmask_b32_e32 v2, v2, v11, vcc_lo
	v_and_b32_e32 v5, v3, v5
	v_and_b32_e32 v4, v2, v4
	v_mul_lo_u32 v5, v5, 24
	v_mul_hi_u32 v11, v4, 24
	v_mul_lo_u32 v4, v4, 24
	v_add_nc_u32_e32 v5, v11, v5
	s_waitcnt vmcnt(0)
	v_add_co_u32 v6, vcc_lo, v6, v4
	v_mov_b32_e32 v4, v9
	v_add_co_ci_u32_e32 v7, vcc_lo, v7, v5, vcc_lo
	v_mov_b32_e32 v5, v10
	global_store_dwordx2 v[6:7], v[9:10], off
	s_waitcnt_vscnt null, 0x0
	global_atomic_cmpswap_x2 v[4:5], v8, v[2:5], s[26:27] offset:24 glc
	s_waitcnt vmcnt(0)
	v_cmp_ne_u64_e32 vcc_lo, v[4:5], v[9:10]
	s_and_b32 exec_lo, exec_lo, vcc_lo
	s_cbranch_execz .LBB5_669
; %bb.667:
	s_mov_b32 s4, 0
.LBB5_668:                              ; =>This Inner Loop Header: Depth=1
	s_sleep 1
	global_store_dwordx2 v[6:7], v[4:5], off
	s_waitcnt_vscnt null, 0x0
	global_atomic_cmpswap_x2 v[9:10], v8, v[2:5], s[26:27] offset:24 glc
	s_waitcnt vmcnt(0)
	v_cmp_eq_u64_e32 vcc_lo, v[9:10], v[4:5]
	v_mov_b32_e32 v4, v9
	v_mov_b32_e32 v5, v10
	s_or_b32 s4, vcc_lo, s4
	s_andn2_b32 exec_lo, exec_lo, s4
	s_cbranch_execnz .LBB5_668
.LBB5_669:
	s_or_b32 exec_lo, exec_lo, s5
	s_and_b32 vcc_lo, exec_lo, s34
	s_cbranch_vccz .LBB5_748
; %bb.670:
	s_waitcnt vmcnt(0)
	v_and_b32_e32 v31, 2, v0
	v_mov_b32_e32 v6, 0
	v_and_b32_e32 v2, -3, v0
	v_mov_b32_e32 v3, v1
	v_mov_b32_e32 v7, 2
	;; [unrolled: 1-line block ×3, first 2 shown]
	s_mov_b64 s[10:11], 3
	s_getpc_b64 s[6:7]
	s_add_u32 s6, s6, .str.6@rel32@lo+4
	s_addc_u32 s7, s7, .str.6@rel32@hi+12
	s_branch .LBB5_672
.LBB5_671:                              ;   in Loop: Header=BB5_672 Depth=1
	s_or_b32 exec_lo, exec_lo, s5
	s_sub_u32 s10, s10, s16
	s_subb_u32 s11, s11, s17
	s_add_u32 s6, s6, s16
	s_addc_u32 s7, s7, s17
	s_cmp_lg_u64 s[10:11], 0
	s_cbranch_scc0 .LBB5_747
.LBB5_672:                              ; =>This Loop Header: Depth=1
                                        ;     Child Loop BB5_681 Depth 2
                                        ;     Child Loop BB5_677 Depth 2
	;; [unrolled: 1-line block ×11, first 2 shown]
	v_cmp_lt_u64_e64 s4, s[10:11], 56
	v_cmp_gt_u64_e64 s5, s[10:11], 7
                                        ; implicit-def: $vgpr11_vgpr12
                                        ; implicit-def: $sgpr22
	s_and_b32 s4, s4, exec_lo
	s_cselect_b32 s17, s11, 0
	s_cselect_b32 s16, s10, 56
	s_and_b32 vcc_lo, exec_lo, s5
	s_mov_b32 s4, -1
	s_cbranch_vccz .LBB5_679
; %bb.673:                              ;   in Loop: Header=BB5_672 Depth=1
	s_andn2_b32 vcc_lo, exec_lo, s4
	s_mov_b64 s[4:5], s[6:7]
	s_cbranch_vccz .LBB5_683
.LBB5_674:                              ;   in Loop: Header=BB5_672 Depth=1
	s_cmp_gt_u32 s22, 7
	s_cbranch_scc1 .LBB5_684
.LBB5_675:                              ;   in Loop: Header=BB5_672 Depth=1
	v_mov_b32_e32 v13, 0
	v_mov_b32_e32 v14, 0
	s_cmp_eq_u32 s22, 0
	s_cbranch_scc1 .LBB5_678
; %bb.676:                              ;   in Loop: Header=BB5_672 Depth=1
	s_mov_b64 s[18:19], 0
	s_mov_b64 s[20:21], 0
.LBB5_677:                              ;   Parent Loop BB5_672 Depth=1
                                        ; =>  This Inner Loop Header: Depth=2
	s_add_u32 s24, s4, s20
	s_addc_u32 s25, s5, s21
	s_add_u32 s20, s20, 1
	global_load_ubyte v4, v6, s[24:25]
	s_addc_u32 s21, s21, 0
	s_waitcnt vmcnt(0)
	v_and_b32_e32 v5, 0xffff, v4
	v_lshlrev_b64 v[4:5], s18, v[5:6]
	s_add_u32 s18, s18, 8
	s_addc_u32 s19, s19, 0
	s_cmp_lg_u32 s22, s20
	v_or_b32_e32 v13, v4, v13
	v_or_b32_e32 v14, v5, v14
	s_cbranch_scc1 .LBB5_677
.LBB5_678:                              ;   in Loop: Header=BB5_672 Depth=1
	s_mov_b32 s23, 0
	s_cbranch_execz .LBB5_685
	s_branch .LBB5_686
.LBB5_679:                              ;   in Loop: Header=BB5_672 Depth=1
	v_mov_b32_e32 v11, 0
	v_mov_b32_e32 v12, 0
	s_cmp_eq_u64 s[10:11], 0
	s_mov_b64 s[4:5], 0
	s_cbranch_scc1 .LBB5_682
; %bb.680:                              ;   in Loop: Header=BB5_672 Depth=1
	v_mov_b32_e32 v11, 0
	v_mov_b32_e32 v12, 0
	s_lshl_b64 s[18:19], s[16:17], 3
	s_mov_b64 s[20:21], s[6:7]
.LBB5_681:                              ;   Parent Loop BB5_672 Depth=1
                                        ; =>  This Inner Loop Header: Depth=2
	global_load_ubyte v4, v6, s[20:21]
	s_waitcnt vmcnt(0)
	v_and_b32_e32 v5, 0xffff, v4
	v_lshlrev_b64 v[4:5], s4, v[5:6]
	s_add_u32 s4, s4, 8
	s_addc_u32 s5, s5, 0
	s_add_u32 s20, s20, 1
	s_addc_u32 s21, s21, 0
	s_cmp_lg_u32 s18, s4
	v_or_b32_e32 v11, v4, v11
	v_or_b32_e32 v12, v5, v12
	s_cbranch_scc1 .LBB5_681
.LBB5_682:                              ;   in Loop: Header=BB5_672 Depth=1
	s_mov_b32 s22, 0
	s_mov_b64 s[4:5], s[6:7]
	s_cbranch_execnz .LBB5_674
.LBB5_683:                              ;   in Loop: Header=BB5_672 Depth=1
	global_load_dwordx2 v[11:12], v6, s[6:7]
	s_add_i32 s22, s16, -8
	s_add_u32 s4, s6, 8
	s_addc_u32 s5, s7, 0
	s_cmp_gt_u32 s22, 7
	s_cbranch_scc0 .LBB5_675
.LBB5_684:                              ;   in Loop: Header=BB5_672 Depth=1
                                        ; implicit-def: $vgpr13_vgpr14
                                        ; implicit-def: $sgpr23
.LBB5_685:                              ;   in Loop: Header=BB5_672 Depth=1
	global_load_dwordx2 v[13:14], v6, s[4:5]
	s_add_i32 s23, s22, -8
	s_add_u32 s4, s4, 8
	s_addc_u32 s5, s5, 0
.LBB5_686:                              ;   in Loop: Header=BB5_672 Depth=1
	s_cmp_gt_u32 s23, 7
	s_cbranch_scc1 .LBB5_691
; %bb.687:                              ;   in Loop: Header=BB5_672 Depth=1
	v_mov_b32_e32 v15, 0
	v_mov_b32_e32 v16, 0
	s_cmp_eq_u32 s23, 0
	s_cbranch_scc1 .LBB5_690
; %bb.688:                              ;   in Loop: Header=BB5_672 Depth=1
	s_mov_b64 s[18:19], 0
	s_mov_b64 s[20:21], 0
.LBB5_689:                              ;   Parent Loop BB5_672 Depth=1
                                        ; =>  This Inner Loop Header: Depth=2
	s_add_u32 s24, s4, s20
	s_addc_u32 s25, s5, s21
	s_add_u32 s20, s20, 1
	global_load_ubyte v4, v6, s[24:25]
	s_addc_u32 s21, s21, 0
	s_waitcnt vmcnt(0)
	v_and_b32_e32 v5, 0xffff, v4
	v_lshlrev_b64 v[4:5], s18, v[5:6]
	s_add_u32 s18, s18, 8
	s_addc_u32 s19, s19, 0
	s_cmp_lg_u32 s23, s20
	v_or_b32_e32 v15, v4, v15
	v_or_b32_e32 v16, v5, v16
	s_cbranch_scc1 .LBB5_689
.LBB5_690:                              ;   in Loop: Header=BB5_672 Depth=1
	s_mov_b32 s22, 0
	s_cbranch_execz .LBB5_692
	s_branch .LBB5_693
.LBB5_691:                              ;   in Loop: Header=BB5_672 Depth=1
                                        ; implicit-def: $sgpr22
.LBB5_692:                              ;   in Loop: Header=BB5_672 Depth=1
	global_load_dwordx2 v[15:16], v6, s[4:5]
	s_add_i32 s22, s23, -8
	s_add_u32 s4, s4, 8
	s_addc_u32 s5, s5, 0
.LBB5_693:                              ;   in Loop: Header=BB5_672 Depth=1
	s_cmp_gt_u32 s22, 7
	s_cbranch_scc1 .LBB5_698
; %bb.694:                              ;   in Loop: Header=BB5_672 Depth=1
	v_mov_b32_e32 v17, 0
	v_mov_b32_e32 v18, 0
	s_cmp_eq_u32 s22, 0
	s_cbranch_scc1 .LBB5_697
; %bb.695:                              ;   in Loop: Header=BB5_672 Depth=1
	s_mov_b64 s[18:19], 0
	s_mov_b64 s[20:21], 0
.LBB5_696:                              ;   Parent Loop BB5_672 Depth=1
                                        ; =>  This Inner Loop Header: Depth=2
	s_add_u32 s24, s4, s20
	s_addc_u32 s25, s5, s21
	s_add_u32 s20, s20, 1
	global_load_ubyte v4, v6, s[24:25]
	s_addc_u32 s21, s21, 0
	s_waitcnt vmcnt(0)
	v_and_b32_e32 v5, 0xffff, v4
	v_lshlrev_b64 v[4:5], s18, v[5:6]
	s_add_u32 s18, s18, 8
	s_addc_u32 s19, s19, 0
	s_cmp_lg_u32 s22, s20
	v_or_b32_e32 v17, v4, v17
	v_or_b32_e32 v18, v5, v18
	s_cbranch_scc1 .LBB5_696
.LBB5_697:                              ;   in Loop: Header=BB5_672 Depth=1
	s_mov_b32 s23, 0
	s_cbranch_execz .LBB5_699
	s_branch .LBB5_700
.LBB5_698:                              ;   in Loop: Header=BB5_672 Depth=1
                                        ; implicit-def: $vgpr17_vgpr18
                                        ; implicit-def: $sgpr23
.LBB5_699:                              ;   in Loop: Header=BB5_672 Depth=1
	global_load_dwordx2 v[17:18], v6, s[4:5]
	s_add_i32 s23, s22, -8
	s_add_u32 s4, s4, 8
	s_addc_u32 s5, s5, 0
.LBB5_700:                              ;   in Loop: Header=BB5_672 Depth=1
	s_cmp_gt_u32 s23, 7
	s_cbranch_scc1 .LBB5_705
; %bb.701:                              ;   in Loop: Header=BB5_672 Depth=1
	v_mov_b32_e32 v19, 0
	v_mov_b32_e32 v20, 0
	s_cmp_eq_u32 s23, 0
	s_cbranch_scc1 .LBB5_704
; %bb.702:                              ;   in Loop: Header=BB5_672 Depth=1
	s_mov_b64 s[18:19], 0
	s_mov_b64 s[20:21], 0
.LBB5_703:                              ;   Parent Loop BB5_672 Depth=1
                                        ; =>  This Inner Loop Header: Depth=2
	s_add_u32 s24, s4, s20
	s_addc_u32 s25, s5, s21
	s_add_u32 s20, s20, 1
	global_load_ubyte v4, v6, s[24:25]
	s_addc_u32 s21, s21, 0
	s_waitcnt vmcnt(0)
	v_and_b32_e32 v5, 0xffff, v4
	v_lshlrev_b64 v[4:5], s18, v[5:6]
	s_add_u32 s18, s18, 8
	s_addc_u32 s19, s19, 0
	s_cmp_lg_u32 s23, s20
	v_or_b32_e32 v19, v4, v19
	v_or_b32_e32 v20, v5, v20
	s_cbranch_scc1 .LBB5_703
.LBB5_704:                              ;   in Loop: Header=BB5_672 Depth=1
	s_mov_b32 s22, 0
	s_cbranch_execz .LBB5_706
	s_branch .LBB5_707
.LBB5_705:                              ;   in Loop: Header=BB5_672 Depth=1
                                        ; implicit-def: $sgpr22
.LBB5_706:                              ;   in Loop: Header=BB5_672 Depth=1
	global_load_dwordx2 v[19:20], v6, s[4:5]
	s_add_i32 s22, s23, -8
	s_add_u32 s4, s4, 8
	s_addc_u32 s5, s5, 0
.LBB5_707:                              ;   in Loop: Header=BB5_672 Depth=1
	s_cmp_gt_u32 s22, 7
	s_cbranch_scc1 .LBB5_712
; %bb.708:                              ;   in Loop: Header=BB5_672 Depth=1
	v_mov_b32_e32 v21, 0
	v_mov_b32_e32 v22, 0
	s_cmp_eq_u32 s22, 0
	s_cbranch_scc1 .LBB5_711
; %bb.709:                              ;   in Loop: Header=BB5_672 Depth=1
	s_mov_b64 s[18:19], 0
	s_mov_b64 s[20:21], 0
.LBB5_710:                              ;   Parent Loop BB5_672 Depth=1
                                        ; =>  This Inner Loop Header: Depth=2
	s_add_u32 s24, s4, s20
	s_addc_u32 s25, s5, s21
	s_add_u32 s20, s20, 1
	global_load_ubyte v4, v6, s[24:25]
	s_addc_u32 s21, s21, 0
	s_waitcnt vmcnt(0)
	v_and_b32_e32 v5, 0xffff, v4
	v_lshlrev_b64 v[4:5], s18, v[5:6]
	s_add_u32 s18, s18, 8
	s_addc_u32 s19, s19, 0
	s_cmp_lg_u32 s22, s20
	v_or_b32_e32 v21, v4, v21
	v_or_b32_e32 v22, v5, v22
	s_cbranch_scc1 .LBB5_710
.LBB5_711:                              ;   in Loop: Header=BB5_672 Depth=1
	s_mov_b32 s23, 0
	s_cbranch_execz .LBB5_713
	s_branch .LBB5_714
.LBB5_712:                              ;   in Loop: Header=BB5_672 Depth=1
                                        ; implicit-def: $vgpr21_vgpr22
                                        ; implicit-def: $sgpr23
.LBB5_713:                              ;   in Loop: Header=BB5_672 Depth=1
	global_load_dwordx2 v[21:22], v6, s[4:5]
	s_add_i32 s23, s22, -8
	s_add_u32 s4, s4, 8
	s_addc_u32 s5, s5, 0
.LBB5_714:                              ;   in Loop: Header=BB5_672 Depth=1
	s_cmp_gt_u32 s23, 7
	s_cbranch_scc1 .LBB5_719
; %bb.715:                              ;   in Loop: Header=BB5_672 Depth=1
	v_mov_b32_e32 v23, 0
	v_mov_b32_e32 v24, 0
	s_cmp_eq_u32 s23, 0
	s_cbranch_scc1 .LBB5_718
; %bb.716:                              ;   in Loop: Header=BB5_672 Depth=1
	s_mov_b64 s[18:19], 0
	s_mov_b64 s[20:21], s[4:5]
.LBB5_717:                              ;   Parent Loop BB5_672 Depth=1
                                        ; =>  This Inner Loop Header: Depth=2
	global_load_ubyte v4, v6, s[20:21]
	s_add_i32 s23, s23, -1
	s_waitcnt vmcnt(0)
	v_and_b32_e32 v5, 0xffff, v4
	v_lshlrev_b64 v[4:5], s18, v[5:6]
	s_add_u32 s18, s18, 8
	s_addc_u32 s19, s19, 0
	s_add_u32 s20, s20, 1
	s_addc_u32 s21, s21, 0
	s_cmp_lg_u32 s23, 0
	v_or_b32_e32 v23, v4, v23
	v_or_b32_e32 v24, v5, v24
	s_cbranch_scc1 .LBB5_717
.LBB5_718:                              ;   in Loop: Header=BB5_672 Depth=1
	s_cbranch_execz .LBB5_720
	s_branch .LBB5_721
.LBB5_719:                              ;   in Loop: Header=BB5_672 Depth=1
.LBB5_720:                              ;   in Loop: Header=BB5_672 Depth=1
	global_load_dwordx2 v[23:24], v6, s[4:5]
.LBB5_721:                              ;   in Loop: Header=BB5_672 Depth=1
	v_readfirstlane_b32 s4, v48
	s_waitcnt vmcnt(0)
	v_mov_b32_e32 v4, 0
	v_mov_b32_e32 v5, 0
	v_cmp_eq_u32_e64 s4, s4, v48
	s_and_saveexec_b32 s5, s4
	s_cbranch_execz .LBB5_727
; %bb.722:                              ;   in Loop: Header=BB5_672 Depth=1
	global_load_dwordx2 v[27:28], v6, s[26:27] offset:24 glc dlc
	s_waitcnt vmcnt(0)
	buffer_gl1_inv
	buffer_gl0_inv
	s_clause 0x1
	global_load_dwordx2 v[4:5], v6, s[26:27] offset:40
	global_load_dwordx2 v[9:10], v6, s[26:27]
	s_mov_b32 s18, exec_lo
	s_waitcnt vmcnt(1)
	v_and_b32_e32 v5, v5, v28
	v_and_b32_e32 v4, v4, v27
	v_mul_lo_u32 v5, v5, 24
	v_mul_hi_u32 v25, v4, 24
	v_mul_lo_u32 v4, v4, 24
	v_add_nc_u32_e32 v5, v25, v5
	s_waitcnt vmcnt(0)
	v_add_co_u32 v4, vcc_lo, v9, v4
	v_add_co_ci_u32_e32 v5, vcc_lo, v10, v5, vcc_lo
	global_load_dwordx2 v[25:26], v[4:5], off glc dlc
	s_waitcnt vmcnt(0)
	global_atomic_cmpswap_x2 v[4:5], v6, v[25:28], s[26:27] offset:24 glc
	s_waitcnt vmcnt(0)
	buffer_gl1_inv
	buffer_gl0_inv
	v_cmpx_ne_u64_e64 v[4:5], v[27:28]
	s_cbranch_execz .LBB5_726
; %bb.723:                              ;   in Loop: Header=BB5_672 Depth=1
	s_mov_b32 s19, 0
	.p2align	6
.LBB5_724:                              ;   Parent Loop BB5_672 Depth=1
                                        ; =>  This Inner Loop Header: Depth=2
	s_sleep 1
	s_clause 0x1
	global_load_dwordx2 v[9:10], v6, s[26:27] offset:40
	global_load_dwordx2 v[25:26], v6, s[26:27]
	v_mov_b32_e32 v28, v5
	v_mov_b32_e32 v27, v4
	s_waitcnt vmcnt(1)
	v_and_b32_e32 v4, v9, v27
	v_and_b32_e32 v9, v10, v28
	s_waitcnt vmcnt(0)
	v_mad_u64_u32 v[4:5], null, v4, 24, v[25:26]
	v_mad_u64_u32 v[9:10], null, v9, 24, v[5:6]
	v_mov_b32_e32 v5, v9
	global_load_dwordx2 v[25:26], v[4:5], off glc dlc
	s_waitcnt vmcnt(0)
	global_atomic_cmpswap_x2 v[4:5], v6, v[25:28], s[26:27] offset:24 glc
	s_waitcnt vmcnt(0)
	buffer_gl1_inv
	buffer_gl0_inv
	v_cmp_eq_u64_e32 vcc_lo, v[4:5], v[27:28]
	s_or_b32 s19, vcc_lo, s19
	s_andn2_b32 exec_lo, exec_lo, s19
	s_cbranch_execnz .LBB5_724
; %bb.725:                              ;   in Loop: Header=BB5_672 Depth=1
	s_or_b32 exec_lo, exec_lo, s19
.LBB5_726:                              ;   in Loop: Header=BB5_672 Depth=1
	s_or_b32 exec_lo, exec_lo, s18
.LBB5_727:                              ;   in Loop: Header=BB5_672 Depth=1
	s_or_b32 exec_lo, exec_lo, s5
	s_clause 0x1
	global_load_dwordx2 v[9:10], v6, s[26:27] offset:40
	global_load_dwordx4 v[25:28], v6, s[26:27]
	v_readfirstlane_b32 s18, v4
	v_readfirstlane_b32 s19, v5
	s_mov_b32 s5, exec_lo
	s_waitcnt vmcnt(1)
	v_readfirstlane_b32 s20, v9
	v_readfirstlane_b32 s21, v10
	s_and_b64 s[20:21], s[18:19], s[20:21]
	s_mul_i32 s22, s21, 24
	s_mul_hi_u32 s23, s20, 24
	s_mul_i32 s24, s20, 24
	s_add_i32 s23, s23, s22
	s_waitcnt vmcnt(0)
	v_add_co_u32 v29, vcc_lo, v25, s24
	v_add_co_ci_u32_e32 v30, vcc_lo, s23, v26, vcc_lo
	s_and_saveexec_b32 s22, s4
	s_cbranch_execz .LBB5_729
; %bb.728:                              ;   in Loop: Header=BB5_672 Depth=1
	v_mov_b32_e32 v5, s5
	global_store_dwordx4 v[29:30], v[5:8], off offset:8
.LBB5_729:                              ;   in Loop: Header=BB5_672 Depth=1
	s_or_b32 exec_lo, exec_lo, s22
	s_lshl_b64 s[20:21], s[20:21], 12
	v_cmp_gt_u64_e64 vcc_lo, s[10:11], 56
	v_or_b32_e32 v5, v2, v31
	v_add_co_u32 v27, s5, v27, s20
	v_add_co_ci_u32_e64 v28, s5, s21, v28, s5
	s_lshl_b32 s5, s16, 2
	v_or_b32_e32 v4, 0, v3
	v_cndmask_b32_e32 v2, v5, v2, vcc_lo
	s_add_i32 s5, s5, 28
	v_readfirstlane_b32 s20, v27
	s_and_b32 s5, s5, 0x1e0
	v_cndmask_b32_e32 v10, v4, v3, vcc_lo
	v_readfirstlane_b32 s21, v28
	v_and_or_b32 v9, 0xffffff1f, v2, s5
	global_store_dwordx4 v39, v[9:12], s[20:21]
	global_store_dwordx4 v39, v[13:16], s[20:21] offset:16
	global_store_dwordx4 v39, v[17:20], s[20:21] offset:32
	;; [unrolled: 1-line block ×3, first 2 shown]
	s_and_saveexec_b32 s5, s4
	s_cbranch_execz .LBB5_737
; %bb.730:                              ;   in Loop: Header=BB5_672 Depth=1
	s_clause 0x1
	global_load_dwordx2 v[13:14], v6, s[26:27] offset:32 glc dlc
	global_load_dwordx2 v[2:3], v6, s[26:27] offset:40
	v_mov_b32_e32 v11, s18
	v_mov_b32_e32 v12, s19
	s_waitcnt vmcnt(0)
	v_readfirstlane_b32 s20, v2
	v_readfirstlane_b32 s21, v3
	s_and_b64 s[20:21], s[20:21], s[18:19]
	s_mul_i32 s21, s21, 24
	s_mul_hi_u32 s22, s20, 24
	s_mul_i32 s20, s20, 24
	s_add_i32 s22, s22, s21
	v_add_co_u32 v9, vcc_lo, v25, s20
	v_add_co_ci_u32_e32 v10, vcc_lo, s22, v26, vcc_lo
	s_mov_b32 s20, exec_lo
	global_store_dwordx2 v[9:10], v[13:14], off
	s_waitcnt_vscnt null, 0x0
	global_atomic_cmpswap_x2 v[4:5], v6, v[11:14], s[26:27] offset:32 glc
	s_waitcnt vmcnt(0)
	v_cmpx_ne_u64_e64 v[4:5], v[13:14]
	s_cbranch_execz .LBB5_733
; %bb.731:                              ;   in Loop: Header=BB5_672 Depth=1
	s_mov_b32 s21, 0
.LBB5_732:                              ;   Parent Loop BB5_672 Depth=1
                                        ; =>  This Inner Loop Header: Depth=2
	v_mov_b32_e32 v2, s18
	v_mov_b32_e32 v3, s19
	s_sleep 1
	global_store_dwordx2 v[9:10], v[4:5], off
	s_waitcnt_vscnt null, 0x0
	global_atomic_cmpswap_x2 v[2:3], v6, v[2:5], s[26:27] offset:32 glc
	s_waitcnt vmcnt(0)
	v_cmp_eq_u64_e32 vcc_lo, v[2:3], v[4:5]
	v_mov_b32_e32 v5, v3
	v_mov_b32_e32 v4, v2
	s_or_b32 s21, vcc_lo, s21
	s_andn2_b32 exec_lo, exec_lo, s21
	s_cbranch_execnz .LBB5_732
.LBB5_733:                              ;   in Loop: Header=BB5_672 Depth=1
	s_or_b32 exec_lo, exec_lo, s20
	global_load_dwordx2 v[2:3], v6, s[26:27] offset:16
	s_mov_b32 s21, exec_lo
	s_mov_b32 s20, exec_lo
	v_mbcnt_lo_u32_b32 v4, s21, 0
	v_cmpx_eq_u32_e32 0, v4
	s_cbranch_execz .LBB5_735
; %bb.734:                              ;   in Loop: Header=BB5_672 Depth=1
	s_bcnt1_i32_b32 s21, s21
	v_mov_b32_e32 v5, s21
	s_waitcnt vmcnt(0)
	global_atomic_add_x2 v[2:3], v[5:6], off offset:8
.LBB5_735:                              ;   in Loop: Header=BB5_672 Depth=1
	s_or_b32 exec_lo, exec_lo, s20
	s_waitcnt vmcnt(0)
	global_load_dwordx2 v[9:10], v[2:3], off offset:16
	s_waitcnt vmcnt(0)
	v_cmp_eq_u64_e32 vcc_lo, 0, v[9:10]
	s_cbranch_vccnz .LBB5_737
; %bb.736:                              ;   in Loop: Header=BB5_672 Depth=1
	global_load_dword v5, v[2:3], off offset:24
	s_waitcnt vmcnt(0)
	v_and_b32_e32 v2, 0x7fffff, v5
	s_waitcnt_vscnt null, 0x0
	global_store_dwordx2 v[9:10], v[5:6], off
	v_readfirstlane_b32 m0, v2
	s_sendmsg sendmsg(MSG_INTERRUPT)
.LBB5_737:                              ;   in Loop: Header=BB5_672 Depth=1
	s_or_b32 exec_lo, exec_lo, s5
	v_add_co_u32 v2, vcc_lo, v27, v39
	v_add_co_ci_u32_e32 v3, vcc_lo, 0, v28, vcc_lo
	s_branch .LBB5_741
	.p2align	6
.LBB5_738:                              ;   in Loop: Header=BB5_741 Depth=2
	s_or_b32 exec_lo, exec_lo, s5
	v_readfirstlane_b32 s5, v4
	s_cmp_eq_u32 s5, 0
	s_cbranch_scc1 .LBB5_740
; %bb.739:                              ;   in Loop: Header=BB5_741 Depth=2
	s_sleep 1
	s_cbranch_execnz .LBB5_741
	s_branch .LBB5_743
	.p2align	6
.LBB5_740:                              ;   in Loop: Header=BB5_672 Depth=1
	s_branch .LBB5_743
.LBB5_741:                              ;   Parent Loop BB5_672 Depth=1
                                        ; =>  This Inner Loop Header: Depth=2
	v_mov_b32_e32 v4, 1
	s_and_saveexec_b32 s5, s4
	s_cbranch_execz .LBB5_738
; %bb.742:                              ;   in Loop: Header=BB5_741 Depth=2
	global_load_dword v4, v[29:30], off offset:20 glc dlc
	s_waitcnt vmcnt(0)
	buffer_gl1_inv
	buffer_gl0_inv
	v_and_b32_e32 v4, 1, v4
	s_branch .LBB5_738
.LBB5_743:                              ;   in Loop: Header=BB5_672 Depth=1
	global_load_dwordx4 v[2:5], v[2:3], off
	s_and_saveexec_b32 s5, s4
	s_cbranch_execz .LBB5_671
; %bb.744:                              ;   in Loop: Header=BB5_672 Depth=1
	s_clause 0x2
	global_load_dwordx2 v[4:5], v6, s[26:27] offset:40
	global_load_dwordx2 v[13:14], v6, s[26:27] offset:24 glc dlc
	global_load_dwordx2 v[11:12], v6, s[26:27]
	s_waitcnt vmcnt(2)
	v_add_co_u32 v15, vcc_lo, v4, 1
	v_add_co_ci_u32_e32 v16, vcc_lo, 0, v5, vcc_lo
	v_add_co_u32 v9, vcc_lo, v15, s18
	v_add_co_ci_u32_e32 v10, vcc_lo, s19, v16, vcc_lo
	v_cmp_eq_u64_e32 vcc_lo, 0, v[9:10]
	v_cndmask_b32_e32 v10, v10, v16, vcc_lo
	v_cndmask_b32_e32 v9, v9, v15, vcc_lo
	v_and_b32_e32 v5, v10, v5
	v_and_b32_e32 v4, v9, v4
	v_mul_lo_u32 v5, v5, 24
	v_mul_hi_u32 v15, v4, 24
	v_mul_lo_u32 v4, v4, 24
	v_add_nc_u32_e32 v5, v15, v5
	s_waitcnt vmcnt(0)
	v_add_co_u32 v4, vcc_lo, v11, v4
	v_mov_b32_e32 v11, v13
	v_add_co_ci_u32_e32 v5, vcc_lo, v12, v5, vcc_lo
	v_mov_b32_e32 v12, v14
	global_store_dwordx2 v[4:5], v[13:14], off
	s_waitcnt_vscnt null, 0x0
	global_atomic_cmpswap_x2 v[11:12], v6, v[9:12], s[26:27] offset:24 glc
	s_waitcnt vmcnt(0)
	v_cmp_ne_u64_e32 vcc_lo, v[11:12], v[13:14]
	s_and_b32 exec_lo, exec_lo, vcc_lo
	s_cbranch_execz .LBB5_671
; %bb.745:                              ;   in Loop: Header=BB5_672 Depth=1
	s_mov_b32 s4, 0
.LBB5_746:                              ;   Parent Loop BB5_672 Depth=1
                                        ; =>  This Inner Loop Header: Depth=2
	s_sleep 1
	global_store_dwordx2 v[4:5], v[11:12], off
	s_waitcnt_vscnt null, 0x0
	global_atomic_cmpswap_x2 v[13:14], v6, v[9:12], s[26:27] offset:24 glc
	s_waitcnt vmcnt(0)
	v_cmp_eq_u64_e32 vcc_lo, v[13:14], v[11:12]
	v_mov_b32_e32 v11, v13
	v_mov_b32_e32 v12, v14
	s_or_b32 s4, vcc_lo, s4
	s_andn2_b32 exec_lo, exec_lo, s4
	s_cbranch_execnz .LBB5_746
	s_branch .LBB5_671
.LBB5_747:
	s_branch .LBB5_776
.LBB5_748:
                                        ; implicit-def: $vgpr2_vgpr3
	s_cbranch_execz .LBB5_776
; %bb.749:
	v_readfirstlane_b32 s4, v48
	v_mov_b32_e32 v8, 0
	v_mov_b32_e32 v9, 0
	v_cmp_eq_u32_e64 s4, s4, v48
	s_and_saveexec_b32 s5, s4
	s_cbranch_execz .LBB5_755
; %bb.750:
	s_waitcnt vmcnt(0)
	v_mov_b32_e32 v2, 0
	s_mov_b32 s6, exec_lo
	global_load_dwordx2 v[5:6], v2, s[26:27] offset:24 glc dlc
	s_waitcnt vmcnt(0)
	buffer_gl1_inv
	buffer_gl0_inv
	s_clause 0x1
	global_load_dwordx2 v[3:4], v2, s[26:27] offset:40
	global_load_dwordx2 v[7:8], v2, s[26:27]
	s_waitcnt vmcnt(1)
	v_and_b32_e32 v4, v4, v6
	v_and_b32_e32 v3, v3, v5
	v_mul_lo_u32 v4, v4, 24
	v_mul_hi_u32 v9, v3, 24
	v_mul_lo_u32 v3, v3, 24
	v_add_nc_u32_e32 v4, v9, v4
	s_waitcnt vmcnt(0)
	v_add_co_u32 v3, vcc_lo, v7, v3
	v_add_co_ci_u32_e32 v4, vcc_lo, v8, v4, vcc_lo
	global_load_dwordx2 v[3:4], v[3:4], off glc dlc
	s_waitcnt vmcnt(0)
	global_atomic_cmpswap_x2 v[8:9], v2, v[3:6], s[26:27] offset:24 glc
	s_waitcnt vmcnt(0)
	buffer_gl1_inv
	buffer_gl0_inv
	v_cmpx_ne_u64_e64 v[8:9], v[5:6]
	s_cbranch_execz .LBB5_754
; %bb.751:
	s_mov_b32 s7, 0
	.p2align	6
.LBB5_752:                              ; =>This Inner Loop Header: Depth=1
	s_sleep 1
	s_clause 0x1
	global_load_dwordx2 v[3:4], v2, s[26:27] offset:40
	global_load_dwordx2 v[10:11], v2, s[26:27]
	v_mov_b32_e32 v5, v8
	v_mov_b32_e32 v6, v9
	s_waitcnt vmcnt(1)
	v_and_b32_e32 v3, v3, v5
	v_and_b32_e32 v4, v4, v6
	s_waitcnt vmcnt(0)
	v_mad_u64_u32 v[7:8], null, v3, 24, v[10:11]
	v_mov_b32_e32 v3, v8
	v_mad_u64_u32 v[3:4], null, v4, 24, v[3:4]
	v_mov_b32_e32 v8, v3
	global_load_dwordx2 v[3:4], v[7:8], off glc dlc
	s_waitcnt vmcnt(0)
	global_atomic_cmpswap_x2 v[8:9], v2, v[3:6], s[26:27] offset:24 glc
	s_waitcnt vmcnt(0)
	buffer_gl1_inv
	buffer_gl0_inv
	v_cmp_eq_u64_e32 vcc_lo, v[8:9], v[5:6]
	s_or_b32 s7, vcc_lo, s7
	s_andn2_b32 exec_lo, exec_lo, s7
	s_cbranch_execnz .LBB5_752
; %bb.753:
	s_or_b32 exec_lo, exec_lo, s7
.LBB5_754:
	s_or_b32 exec_lo, exec_lo, s6
.LBB5_755:
	s_or_b32 exec_lo, exec_lo, s5
	s_waitcnt vmcnt(0)
	v_mov_b32_e32 v2, 0
	v_readfirstlane_b32 s6, v8
	v_readfirstlane_b32 s7, v9
	s_mov_b32 s5, exec_lo
	s_clause 0x1
	global_load_dwordx2 v[10:11], v2, s[26:27] offset:40
	global_load_dwordx4 v[4:7], v2, s[26:27]
	s_waitcnt vmcnt(1)
	v_readfirstlane_b32 s10, v10
	v_readfirstlane_b32 s11, v11
	s_and_b64 s[10:11], s[6:7], s[10:11]
	s_mul_i32 s16, s11, 24
	s_mul_hi_u32 s17, s10, 24
	s_mul_i32 s18, s10, 24
	s_add_i32 s17, s17, s16
	s_waitcnt vmcnt(0)
	v_add_co_u32 v8, vcc_lo, v4, s18
	v_add_co_ci_u32_e32 v9, vcc_lo, s17, v5, vcc_lo
	s_and_saveexec_b32 s16, s4
	s_cbranch_execz .LBB5_757
; %bb.756:
	v_mov_b32_e32 v10, s5
	v_mov_b32_e32 v11, v2
	;; [unrolled: 1-line block ×4, first 2 shown]
	global_store_dwordx4 v[8:9], v[10:13], off offset:8
.LBB5_757:
	s_or_b32 exec_lo, exec_lo, s16
	s_lshl_b64 s[10:11], s[10:11], 12
	s_mov_b32 s16, 0
	v_add_co_u32 v6, vcc_lo, v6, s10
	v_add_co_ci_u32_e32 v7, vcc_lo, s11, v7, vcc_lo
	s_mov_b32 s17, s16
	v_readfirstlane_b32 s10, v6
	v_add_co_u32 v6, vcc_lo, v6, v39
	s_mov_b32 s18, s16
	s_mov_b32 s19, s16
	v_and_or_b32 v0, 0xffffff1f, v0, 32
	v_mov_b32_e32 v3, v2
	v_readfirstlane_b32 s11, v7
	v_mov_b32_e32 v10, s16
	v_add_co_ci_u32_e32 v7, vcc_lo, 0, v7, vcc_lo
	v_mov_b32_e32 v11, s17
	v_mov_b32_e32 v12, s18
	;; [unrolled: 1-line block ×3, first 2 shown]
	global_store_dwordx4 v39, v[0:3], s[10:11]
	global_store_dwordx4 v39, v[10:13], s[10:11] offset:16
	global_store_dwordx4 v39, v[10:13], s[10:11] offset:32
	;; [unrolled: 1-line block ×3, first 2 shown]
	s_and_saveexec_b32 s5, s4
	s_cbranch_execz .LBB5_765
; %bb.758:
	v_mov_b32_e32 v10, 0
	v_mov_b32_e32 v11, s6
	;; [unrolled: 1-line block ×3, first 2 shown]
	s_clause 0x1
	global_load_dwordx2 v[13:14], v10, s[26:27] offset:32 glc dlc
	global_load_dwordx2 v[0:1], v10, s[26:27] offset:40
	s_waitcnt vmcnt(0)
	v_readfirstlane_b32 s10, v0
	v_readfirstlane_b32 s11, v1
	s_and_b64 s[10:11], s[10:11], s[6:7]
	s_mul_i32 s11, s11, 24
	s_mul_hi_u32 s16, s10, 24
	s_mul_i32 s10, s10, 24
	s_add_i32 s16, s16, s11
	v_add_co_u32 v4, vcc_lo, v4, s10
	v_add_co_ci_u32_e32 v5, vcc_lo, s16, v5, vcc_lo
	s_mov_b32 s10, exec_lo
	global_store_dwordx2 v[4:5], v[13:14], off
	s_waitcnt_vscnt null, 0x0
	global_atomic_cmpswap_x2 v[2:3], v10, v[11:14], s[26:27] offset:32 glc
	s_waitcnt vmcnt(0)
	v_cmpx_ne_u64_e64 v[2:3], v[13:14]
	s_cbranch_execz .LBB5_761
; %bb.759:
	s_mov_b32 s11, 0
.LBB5_760:                              ; =>This Inner Loop Header: Depth=1
	v_mov_b32_e32 v0, s6
	v_mov_b32_e32 v1, s7
	s_sleep 1
	global_store_dwordx2 v[4:5], v[2:3], off
	s_waitcnt_vscnt null, 0x0
	global_atomic_cmpswap_x2 v[0:1], v10, v[0:3], s[26:27] offset:32 glc
	s_waitcnt vmcnt(0)
	v_cmp_eq_u64_e32 vcc_lo, v[0:1], v[2:3]
	v_mov_b32_e32 v3, v1
	v_mov_b32_e32 v2, v0
	s_or_b32 s11, vcc_lo, s11
	s_andn2_b32 exec_lo, exec_lo, s11
	s_cbranch_execnz .LBB5_760
.LBB5_761:
	s_or_b32 exec_lo, exec_lo, s10
	v_mov_b32_e32 v3, 0
	s_mov_b32 s11, exec_lo
	s_mov_b32 s10, exec_lo
	v_mbcnt_lo_u32_b32 v2, s11, 0
	global_load_dwordx2 v[0:1], v3, s[26:27] offset:16
	v_cmpx_eq_u32_e32 0, v2
	s_cbranch_execz .LBB5_763
; %bb.762:
	s_bcnt1_i32_b32 s11, s11
	v_mov_b32_e32 v2, s11
	s_waitcnt vmcnt(0)
	global_atomic_add_x2 v[0:1], v[2:3], off offset:8
.LBB5_763:
	s_or_b32 exec_lo, exec_lo, s10
	s_waitcnt vmcnt(0)
	global_load_dwordx2 v[2:3], v[0:1], off offset:16
	s_waitcnt vmcnt(0)
	v_cmp_eq_u64_e32 vcc_lo, 0, v[2:3]
	s_cbranch_vccnz .LBB5_765
; %bb.764:
	global_load_dword v0, v[0:1], off offset:24
	v_mov_b32_e32 v1, 0
	s_waitcnt vmcnt(0)
	v_and_b32_e32 v4, 0x7fffff, v0
	s_waitcnt_vscnt null, 0x0
	global_store_dwordx2 v[2:3], v[0:1], off
	v_readfirstlane_b32 m0, v4
	s_sendmsg sendmsg(MSG_INTERRUPT)
.LBB5_765:
	s_or_b32 exec_lo, exec_lo, s5
	s_branch .LBB5_769
	.p2align	6
.LBB5_766:                              ;   in Loop: Header=BB5_769 Depth=1
	s_or_b32 exec_lo, exec_lo, s5
	v_readfirstlane_b32 s5, v0
	s_cmp_eq_u32 s5, 0
	s_cbranch_scc1 .LBB5_768
; %bb.767:                              ;   in Loop: Header=BB5_769 Depth=1
	s_sleep 1
	s_cbranch_execnz .LBB5_769
	s_branch .LBB5_771
	.p2align	6
.LBB5_768:
	s_branch .LBB5_771
.LBB5_769:                              ; =>This Inner Loop Header: Depth=1
	v_mov_b32_e32 v0, 1
	s_and_saveexec_b32 s5, s4
	s_cbranch_execz .LBB5_766
; %bb.770:                              ;   in Loop: Header=BB5_769 Depth=1
	global_load_dword v0, v[8:9], off offset:20 glc dlc
	s_waitcnt vmcnt(0)
	buffer_gl1_inv
	buffer_gl0_inv
	v_and_b32_e32 v0, 1, v0
	s_branch .LBB5_766
.LBB5_771:
	global_load_dwordx2 v[2:3], v[6:7], off
	s_and_saveexec_b32 s5, s4
	s_cbranch_execz .LBB5_775
; %bb.772:
	v_mov_b32_e32 v8, 0
	s_clause 0x2
	global_load_dwordx2 v[0:1], v8, s[26:27] offset:40
	global_load_dwordx2 v[9:10], v8, s[26:27] offset:24 glc dlc
	global_load_dwordx2 v[6:7], v8, s[26:27]
	s_waitcnt vmcnt(2)
	v_add_co_u32 v11, vcc_lo, v0, 1
	v_add_co_ci_u32_e32 v12, vcc_lo, 0, v1, vcc_lo
	v_add_co_u32 v4, vcc_lo, v11, s6
	v_add_co_ci_u32_e32 v5, vcc_lo, s7, v12, vcc_lo
	v_cmp_eq_u64_e32 vcc_lo, 0, v[4:5]
	v_cndmask_b32_e32 v5, v5, v12, vcc_lo
	v_cndmask_b32_e32 v4, v4, v11, vcc_lo
	v_and_b32_e32 v1, v5, v1
	v_and_b32_e32 v0, v4, v0
	v_mul_lo_u32 v1, v1, 24
	v_mul_hi_u32 v11, v0, 24
	v_mul_lo_u32 v0, v0, 24
	v_add_nc_u32_e32 v1, v11, v1
	s_waitcnt vmcnt(0)
	v_add_co_u32 v0, vcc_lo, v6, v0
	v_mov_b32_e32 v6, v9
	v_add_co_ci_u32_e32 v1, vcc_lo, v7, v1, vcc_lo
	v_mov_b32_e32 v7, v10
	global_store_dwordx2 v[0:1], v[9:10], off
	s_waitcnt_vscnt null, 0x0
	global_atomic_cmpswap_x2 v[6:7], v8, v[4:7], s[26:27] offset:24 glc
	s_waitcnt vmcnt(0)
	v_cmp_ne_u64_e32 vcc_lo, v[6:7], v[9:10]
	s_and_b32 exec_lo, exec_lo, vcc_lo
	s_cbranch_execz .LBB5_775
; %bb.773:
	s_mov_b32 s4, 0
.LBB5_774:                              ; =>This Inner Loop Header: Depth=1
	s_sleep 1
	global_store_dwordx2 v[0:1], v[6:7], off
	s_waitcnt_vscnt null, 0x0
	global_atomic_cmpswap_x2 v[9:10], v8, v[4:7], s[26:27] offset:24 glc
	s_waitcnt vmcnt(0)
	v_cmp_eq_u64_e32 vcc_lo, v[9:10], v[6:7]
	v_mov_b32_e32 v6, v9
	v_mov_b32_e32 v7, v10
	s_or_b32 s4, vcc_lo, s4
	s_andn2_b32 exec_lo, exec_lo, s4
	s_cbranch_execnz .LBB5_774
.LBB5_775:
	s_or_b32 exec_lo, exec_lo, s5
.LBB5_776:
	v_readfirstlane_b32 s4, v48
	s_waitcnt vmcnt(0)
	v_mov_b32_e32 v0, 0
	v_mov_b32_e32 v1, 0
	v_cmp_eq_u32_e64 s4, s4, v48
	s_and_saveexec_b32 s5, s4
	s_cbranch_execz .LBB5_782
; %bb.777:
	v_mov_b32_e32 v4, 0
	s_mov_b32 s6, exec_lo
	global_load_dwordx2 v[7:8], v4, s[26:27] offset:24 glc dlc
	s_waitcnt vmcnt(0)
	buffer_gl1_inv
	buffer_gl0_inv
	s_clause 0x1
	global_load_dwordx2 v[0:1], v4, s[26:27] offset:40
	global_load_dwordx2 v[5:6], v4, s[26:27]
	s_waitcnt vmcnt(1)
	v_and_b32_e32 v1, v1, v8
	v_and_b32_e32 v0, v0, v7
	v_mul_lo_u32 v1, v1, 24
	v_mul_hi_u32 v9, v0, 24
	v_mul_lo_u32 v0, v0, 24
	v_add_nc_u32_e32 v1, v9, v1
	s_waitcnt vmcnt(0)
	v_add_co_u32 v0, vcc_lo, v5, v0
	v_add_co_ci_u32_e32 v1, vcc_lo, v6, v1, vcc_lo
	global_load_dwordx2 v[5:6], v[0:1], off glc dlc
	s_waitcnt vmcnt(0)
	global_atomic_cmpswap_x2 v[0:1], v4, v[5:8], s[26:27] offset:24 glc
	s_waitcnt vmcnt(0)
	buffer_gl1_inv
	buffer_gl0_inv
	v_cmpx_ne_u64_e64 v[0:1], v[7:8]
	s_cbranch_execz .LBB5_781
; %bb.778:
	s_mov_b32 s7, 0
	.p2align	6
.LBB5_779:                              ; =>This Inner Loop Header: Depth=1
	s_sleep 1
	s_clause 0x1
	global_load_dwordx2 v[5:6], v4, s[26:27] offset:40
	global_load_dwordx2 v[9:10], v4, s[26:27]
	v_mov_b32_e32 v8, v1
	v_mov_b32_e32 v7, v0
	s_waitcnt vmcnt(1)
	v_and_b32_e32 v0, v5, v7
	v_and_b32_e32 v5, v6, v8
	s_waitcnt vmcnt(0)
	v_mad_u64_u32 v[0:1], null, v0, 24, v[9:10]
	v_mad_u64_u32 v[5:6], null, v5, 24, v[1:2]
	v_mov_b32_e32 v1, v5
	global_load_dwordx2 v[5:6], v[0:1], off glc dlc
	s_waitcnt vmcnt(0)
	global_atomic_cmpswap_x2 v[0:1], v4, v[5:8], s[26:27] offset:24 glc
	s_waitcnt vmcnt(0)
	buffer_gl1_inv
	buffer_gl0_inv
	v_cmp_eq_u64_e32 vcc_lo, v[0:1], v[7:8]
	s_or_b32 s7, vcc_lo, s7
	s_andn2_b32 exec_lo, exec_lo, s7
	s_cbranch_execnz .LBB5_779
; %bb.780:
	s_or_b32 exec_lo, exec_lo, s7
.LBB5_781:
	s_or_b32 exec_lo, exec_lo, s6
.LBB5_782:
	s_or_b32 exec_lo, exec_lo, s5
	v_mov_b32_e32 v5, 0
	v_readfirstlane_b32 s6, v0
	v_readfirstlane_b32 s7, v1
	s_mov_b32 s5, exec_lo
	s_clause 0x1
	global_load_dwordx2 v[10:11], v5, s[26:27] offset:40
	global_load_dwordx4 v[6:9], v5, s[26:27]
	s_waitcnt vmcnt(1)
	v_readfirstlane_b32 s10, v10
	v_readfirstlane_b32 s11, v11
	s_and_b64 s[10:11], s[6:7], s[10:11]
	s_mul_i32 s16, s11, 24
	s_mul_hi_u32 s17, s10, 24
	s_mul_i32 s18, s10, 24
	s_add_i32 s17, s17, s16
	s_waitcnt vmcnt(0)
	v_add_co_u32 v10, vcc_lo, v6, s18
	v_add_co_ci_u32_e32 v11, vcc_lo, s17, v7, vcc_lo
	s_and_saveexec_b32 s16, s4
	s_cbranch_execz .LBB5_784
; %bb.783:
	v_mov_b32_e32 v4, s5
	v_mov_b32_e32 v13, v5
	;; [unrolled: 1-line block ×5, first 2 shown]
	global_store_dwordx4 v[10:11], v[12:15], off offset:8
.LBB5_784:
	s_or_b32 exec_lo, exec_lo, s16
	s_lshl_b64 s[10:11], s[10:11], 12
	s_mov_b32 s16, 0
	v_add_co_u32 v0, vcc_lo, v8, s10
	v_add_co_ci_u32_e32 v1, vcc_lo, s11, v9, vcc_lo
	s_mov_b32 s17, s16
	s_mov_b32 s18, s16
	;; [unrolled: 1-line block ×3, first 2 shown]
	v_and_or_b32 v2, 0xffffff1d, v2, 34
	v_mov_b32_e32 v4, 58
	v_readfirstlane_b32 s10, v0
	v_readfirstlane_b32 s11, v1
	v_mov_b32_e32 v12, s16
	v_mov_b32_e32 v13, s17
	;; [unrolled: 1-line block ×4, first 2 shown]
	global_store_dwordx4 v39, v[2:5], s[10:11]
	global_store_dwordx4 v39, v[12:15], s[10:11] offset:16
	global_store_dwordx4 v39, v[12:15], s[10:11] offset:32
	global_store_dwordx4 v39, v[12:15], s[10:11] offset:48
	s_and_saveexec_b32 s5, s4
	s_cbranch_execz .LBB5_792
; %bb.785:
	v_mov_b32_e32 v8, 0
	v_mov_b32_e32 v12, s6
	;; [unrolled: 1-line block ×3, first 2 shown]
	s_clause 0x1
	global_load_dwordx2 v[14:15], v8, s[26:27] offset:32 glc dlc
	global_load_dwordx2 v[0:1], v8, s[26:27] offset:40
	s_waitcnt vmcnt(0)
	v_readfirstlane_b32 s10, v0
	v_readfirstlane_b32 s11, v1
	s_and_b64 s[10:11], s[10:11], s[6:7]
	s_mul_i32 s11, s11, 24
	s_mul_hi_u32 s16, s10, 24
	s_mul_i32 s10, s10, 24
	s_add_i32 s16, s16, s11
	v_add_co_u32 v4, vcc_lo, v6, s10
	v_add_co_ci_u32_e32 v5, vcc_lo, s16, v7, vcc_lo
	s_mov_b32 s10, exec_lo
	global_store_dwordx2 v[4:5], v[14:15], off
	s_waitcnt_vscnt null, 0x0
	global_atomic_cmpswap_x2 v[2:3], v8, v[12:15], s[26:27] offset:32 glc
	s_waitcnt vmcnt(0)
	v_cmpx_ne_u64_e64 v[2:3], v[14:15]
	s_cbranch_execz .LBB5_788
; %bb.786:
	s_mov_b32 s11, 0
.LBB5_787:                              ; =>This Inner Loop Header: Depth=1
	v_mov_b32_e32 v0, s6
	v_mov_b32_e32 v1, s7
	s_sleep 1
	global_store_dwordx2 v[4:5], v[2:3], off
	s_waitcnt_vscnt null, 0x0
	global_atomic_cmpswap_x2 v[0:1], v8, v[0:3], s[26:27] offset:32 glc
	s_waitcnt vmcnt(0)
	v_cmp_eq_u64_e32 vcc_lo, v[0:1], v[2:3]
	v_mov_b32_e32 v3, v1
	v_mov_b32_e32 v2, v0
	s_or_b32 s11, vcc_lo, s11
	s_andn2_b32 exec_lo, exec_lo, s11
	s_cbranch_execnz .LBB5_787
.LBB5_788:
	s_or_b32 exec_lo, exec_lo, s10
	v_mov_b32_e32 v3, 0
	s_mov_b32 s11, exec_lo
	s_mov_b32 s10, exec_lo
	v_mbcnt_lo_u32_b32 v2, s11, 0
	global_load_dwordx2 v[0:1], v3, s[26:27] offset:16
	v_cmpx_eq_u32_e32 0, v2
	s_cbranch_execz .LBB5_790
; %bb.789:
	s_bcnt1_i32_b32 s11, s11
	v_mov_b32_e32 v2, s11
	s_waitcnt vmcnt(0)
	global_atomic_add_x2 v[0:1], v[2:3], off offset:8
.LBB5_790:
	s_or_b32 exec_lo, exec_lo, s10
	s_waitcnt vmcnt(0)
	global_load_dwordx2 v[2:3], v[0:1], off offset:16
	s_waitcnt vmcnt(0)
	v_cmp_eq_u64_e32 vcc_lo, 0, v[2:3]
	s_cbranch_vccnz .LBB5_792
; %bb.791:
	global_load_dword v0, v[0:1], off offset:24
	v_mov_b32_e32 v1, 0
	s_waitcnt vmcnt(0)
	v_and_b32_e32 v4, 0x7fffff, v0
	s_waitcnt_vscnt null, 0x0
	global_store_dwordx2 v[2:3], v[0:1], off
	v_readfirstlane_b32 m0, v4
	s_sendmsg sendmsg(MSG_INTERRUPT)
.LBB5_792:
	s_or_b32 exec_lo, exec_lo, s5
	s_branch .LBB5_796
	.p2align	6
.LBB5_793:                              ;   in Loop: Header=BB5_796 Depth=1
	s_or_b32 exec_lo, exec_lo, s5
	v_readfirstlane_b32 s5, v0
	s_cmp_eq_u32 s5, 0
	s_cbranch_scc1 .LBB5_795
; %bb.794:                              ;   in Loop: Header=BB5_796 Depth=1
	s_sleep 1
	s_cbranch_execnz .LBB5_796
	s_branch .LBB5_798
	.p2align	6
.LBB5_795:
	s_branch .LBB5_798
.LBB5_796:                              ; =>This Inner Loop Header: Depth=1
	v_mov_b32_e32 v0, 1
	s_and_saveexec_b32 s5, s4
	s_cbranch_execz .LBB5_793
; %bb.797:                              ;   in Loop: Header=BB5_796 Depth=1
	global_load_dword v0, v[10:11], off offset:20 glc dlc
	s_waitcnt vmcnt(0)
	buffer_gl1_inv
	buffer_gl0_inv
	v_and_b32_e32 v0, 1, v0
	s_branch .LBB5_793
.LBB5_798:
	s_and_saveexec_b32 s5, s4
	s_cbranch_execz .LBB5_802
; %bb.799:
	v_mov_b32_e32 v6, 0
	s_clause 0x2
	global_load_dwordx2 v[2:3], v6, s[26:27] offset:40
	global_load_dwordx2 v[7:8], v6, s[26:27] offset:24 glc dlc
	global_load_dwordx2 v[4:5], v6, s[26:27]
	s_waitcnt vmcnt(2)
	v_add_co_u32 v9, vcc_lo, v2, 1
	v_add_co_ci_u32_e32 v10, vcc_lo, 0, v3, vcc_lo
	v_add_co_u32 v0, vcc_lo, v9, s6
	v_add_co_ci_u32_e32 v1, vcc_lo, s7, v10, vcc_lo
	v_cmp_eq_u64_e32 vcc_lo, 0, v[0:1]
	v_cndmask_b32_e32 v1, v1, v10, vcc_lo
	v_cndmask_b32_e32 v0, v0, v9, vcc_lo
	v_and_b32_e32 v3, v1, v3
	v_and_b32_e32 v2, v0, v2
	v_mul_lo_u32 v3, v3, 24
	v_mul_hi_u32 v9, v2, 24
	v_mul_lo_u32 v2, v2, 24
	v_add_nc_u32_e32 v3, v9, v3
	s_waitcnt vmcnt(0)
	v_add_co_u32 v4, vcc_lo, v4, v2
	v_mov_b32_e32 v2, v7
	v_add_co_ci_u32_e32 v5, vcc_lo, v5, v3, vcc_lo
	v_mov_b32_e32 v3, v8
	global_store_dwordx2 v[4:5], v[7:8], off
	s_waitcnt_vscnt null, 0x0
	global_atomic_cmpswap_x2 v[2:3], v6, v[0:3], s[26:27] offset:24 glc
	s_waitcnt vmcnt(0)
	v_cmp_ne_u64_e32 vcc_lo, v[2:3], v[7:8]
	s_and_b32 exec_lo, exec_lo, vcc_lo
	s_cbranch_execz .LBB5_802
; %bb.800:
	s_mov_b32 s4, 0
.LBB5_801:                              ; =>This Inner Loop Header: Depth=1
	s_sleep 1
	global_store_dwordx2 v[4:5], v[2:3], off
	s_waitcnt_vscnt null, 0x0
	global_atomic_cmpswap_x2 v[7:8], v6, v[0:3], s[26:27] offset:24 glc
	s_waitcnt vmcnt(0)
	v_cmp_eq_u64_e32 vcc_lo, v[7:8], v[2:3]
	v_mov_b32_e32 v2, v7
	v_mov_b32_e32 v3, v8
	s_or_b32 s4, vcc_lo, s4
	s_andn2_b32 exec_lo, exec_lo, s4
	s_cbranch_execnz .LBB5_801
.LBB5_802:
	s_or_b32 exec_lo, exec_lo, s5
	v_readfirstlane_b32 s4, v48
	v_mov_b32_e32 v6, 0
	v_mov_b32_e32 v7, 0
	v_cmp_eq_u32_e64 s4, s4, v48
	s_and_saveexec_b32 s5, s4
	s_cbranch_execz .LBB5_808
; %bb.803:
	v_mov_b32_e32 v0, 0
	s_mov_b32 s6, exec_lo
	global_load_dwordx2 v[3:4], v0, s[26:27] offset:24 glc dlc
	s_waitcnt vmcnt(0)
	buffer_gl1_inv
	buffer_gl0_inv
	s_clause 0x1
	global_load_dwordx2 v[1:2], v0, s[26:27] offset:40
	global_load_dwordx2 v[5:6], v0, s[26:27]
	s_waitcnt vmcnt(1)
	v_and_b32_e32 v2, v2, v4
	v_and_b32_e32 v1, v1, v3
	v_mul_lo_u32 v2, v2, 24
	v_mul_hi_u32 v7, v1, 24
	v_mul_lo_u32 v1, v1, 24
	v_add_nc_u32_e32 v2, v7, v2
	s_waitcnt vmcnt(0)
	v_add_co_u32 v1, vcc_lo, v5, v1
	v_add_co_ci_u32_e32 v2, vcc_lo, v6, v2, vcc_lo
	global_load_dwordx2 v[1:2], v[1:2], off glc dlc
	s_waitcnt vmcnt(0)
	global_atomic_cmpswap_x2 v[6:7], v0, v[1:4], s[26:27] offset:24 glc
	s_waitcnt vmcnt(0)
	buffer_gl1_inv
	buffer_gl0_inv
	v_cmpx_ne_u64_e64 v[6:7], v[3:4]
	s_cbranch_execz .LBB5_807
; %bb.804:
	s_mov_b32 s7, 0
	.p2align	6
.LBB5_805:                              ; =>This Inner Loop Header: Depth=1
	s_sleep 1
	s_clause 0x1
	global_load_dwordx2 v[1:2], v0, s[26:27] offset:40
	global_load_dwordx2 v[8:9], v0, s[26:27]
	v_mov_b32_e32 v3, v6
	v_mov_b32_e32 v4, v7
	s_waitcnt vmcnt(1)
	v_and_b32_e32 v1, v1, v3
	v_and_b32_e32 v2, v2, v4
	s_waitcnt vmcnt(0)
	v_mad_u64_u32 v[5:6], null, v1, 24, v[8:9]
	v_mov_b32_e32 v1, v6
	v_mad_u64_u32 v[1:2], null, v2, 24, v[1:2]
	v_mov_b32_e32 v6, v1
	global_load_dwordx2 v[1:2], v[5:6], off glc dlc
	s_waitcnt vmcnt(0)
	global_atomic_cmpswap_x2 v[6:7], v0, v[1:4], s[26:27] offset:24 glc
	s_waitcnt vmcnt(0)
	buffer_gl1_inv
	buffer_gl0_inv
	v_cmp_eq_u64_e32 vcc_lo, v[6:7], v[3:4]
	s_or_b32 s7, vcc_lo, s7
	s_andn2_b32 exec_lo, exec_lo, s7
	s_cbranch_execnz .LBB5_805
; %bb.806:
	s_or_b32 exec_lo, exec_lo, s7
.LBB5_807:
	s_or_b32 exec_lo, exec_lo, s6
.LBB5_808:
	s_or_b32 exec_lo, exec_lo, s5
	v_mov_b32_e32 v5, 0
	v_readfirstlane_b32 s6, v6
	v_readfirstlane_b32 s7, v7
	s_mov_b32 s5, exec_lo
	s_clause 0x1
	global_load_dwordx2 v[8:9], v5, s[26:27] offset:40
	global_load_dwordx4 v[0:3], v5, s[26:27]
	s_waitcnt vmcnt(1)
	v_readfirstlane_b32 s10, v8
	v_readfirstlane_b32 s11, v9
	s_and_b64 s[10:11], s[6:7], s[10:11]
	s_mul_i32 s16, s11, 24
	s_mul_hi_u32 s17, s10, 24
	s_mul_i32 s18, s10, 24
	s_add_i32 s17, s17, s16
	s_waitcnt vmcnt(0)
	v_add_co_u32 v8, vcc_lo, v0, s18
	v_add_co_ci_u32_e32 v9, vcc_lo, s17, v1, vcc_lo
	s_and_saveexec_b32 s16, s4
	s_cbranch_execz .LBB5_810
; %bb.809:
	v_mov_b32_e32 v4, s5
	v_mov_b32_e32 v6, 2
	;; [unrolled: 1-line block ×3, first 2 shown]
	global_store_dwordx4 v[8:9], v[4:7], off offset:8
.LBB5_810:
	s_or_b32 exec_lo, exec_lo, s16
	s_lshl_b64 s[10:11], s[10:11], 12
	s_mov_b32 s16, 0
	v_add_co_u32 v2, vcc_lo, v2, s10
	v_add_co_ci_u32_e32 v3, vcc_lo, s11, v3, vcc_lo
	s_mov_b32 s17, s16
	v_add_co_u32 v10, vcc_lo, v2, v39
	s_mov_b32 s18, s16
	s_mov_b32 s19, s16
	v_mov_b32_e32 v4, 33
	v_mov_b32_e32 v6, v5
	;; [unrolled: 1-line block ×3, first 2 shown]
	v_readfirstlane_b32 s10, v2
	v_readfirstlane_b32 s11, v3
	v_mov_b32_e32 v12, s16
	v_add_co_ci_u32_e32 v11, vcc_lo, 0, v3, vcc_lo
	v_mov_b32_e32 v13, s17
	v_mov_b32_e32 v14, s18
	;; [unrolled: 1-line block ×3, first 2 shown]
	global_store_dwordx4 v39, v[4:7], s[10:11]
	global_store_dwordx4 v39, v[12:15], s[10:11] offset:16
	global_store_dwordx4 v39, v[12:15], s[10:11] offset:32
	global_store_dwordx4 v39, v[12:15], s[10:11] offset:48
	s_and_saveexec_b32 s5, s4
	s_cbranch_execz .LBB5_818
; %bb.811:
	v_mov_b32_e32 v6, 0
	v_mov_b32_e32 v12, s6
	;; [unrolled: 1-line block ×3, first 2 shown]
	s_clause 0x1
	global_load_dwordx2 v[14:15], v6, s[26:27] offset:32 glc dlc
	global_load_dwordx2 v[2:3], v6, s[26:27] offset:40
	s_waitcnt vmcnt(0)
	v_readfirstlane_b32 s10, v2
	v_readfirstlane_b32 s11, v3
	s_and_b64 s[10:11], s[10:11], s[6:7]
	s_mul_i32 s11, s11, 24
	s_mul_hi_u32 s16, s10, 24
	s_mul_i32 s10, s10, 24
	s_add_i32 s16, s16, s11
	v_add_co_u32 v4, vcc_lo, v0, s10
	v_add_co_ci_u32_e32 v5, vcc_lo, s16, v1, vcc_lo
	s_mov_b32 s10, exec_lo
	global_store_dwordx2 v[4:5], v[14:15], off
	s_waitcnt_vscnt null, 0x0
	global_atomic_cmpswap_x2 v[2:3], v6, v[12:15], s[26:27] offset:32 glc
	s_waitcnt vmcnt(0)
	v_cmpx_ne_u64_e64 v[2:3], v[14:15]
	s_cbranch_execz .LBB5_814
; %bb.812:
	s_mov_b32 s11, 0
.LBB5_813:                              ; =>This Inner Loop Header: Depth=1
	v_mov_b32_e32 v0, s6
	v_mov_b32_e32 v1, s7
	s_sleep 1
	global_store_dwordx2 v[4:5], v[2:3], off
	s_waitcnt_vscnt null, 0x0
	global_atomic_cmpswap_x2 v[0:1], v6, v[0:3], s[26:27] offset:32 glc
	s_waitcnt vmcnt(0)
	v_cmp_eq_u64_e32 vcc_lo, v[0:1], v[2:3]
	v_mov_b32_e32 v3, v1
	v_mov_b32_e32 v2, v0
	s_or_b32 s11, vcc_lo, s11
	s_andn2_b32 exec_lo, exec_lo, s11
	s_cbranch_execnz .LBB5_813
.LBB5_814:
	s_or_b32 exec_lo, exec_lo, s10
	v_mov_b32_e32 v3, 0
	s_mov_b32 s11, exec_lo
	s_mov_b32 s10, exec_lo
	v_mbcnt_lo_u32_b32 v2, s11, 0
	global_load_dwordx2 v[0:1], v3, s[26:27] offset:16
	v_cmpx_eq_u32_e32 0, v2
	s_cbranch_execz .LBB5_816
; %bb.815:
	s_bcnt1_i32_b32 s11, s11
	v_mov_b32_e32 v2, s11
	s_waitcnt vmcnt(0)
	global_atomic_add_x2 v[0:1], v[2:3], off offset:8
.LBB5_816:
	s_or_b32 exec_lo, exec_lo, s10
	s_waitcnt vmcnt(0)
	global_load_dwordx2 v[2:3], v[0:1], off offset:16
	s_waitcnt vmcnt(0)
	v_cmp_eq_u64_e32 vcc_lo, 0, v[2:3]
	s_cbranch_vccnz .LBB5_818
; %bb.817:
	global_load_dword v0, v[0:1], off offset:24
	v_mov_b32_e32 v1, 0
	s_waitcnt vmcnt(0)
	v_and_b32_e32 v4, 0x7fffff, v0
	s_waitcnt_vscnt null, 0x0
	global_store_dwordx2 v[2:3], v[0:1], off
	v_readfirstlane_b32 m0, v4
	s_sendmsg sendmsg(MSG_INTERRUPT)
.LBB5_818:
	s_or_b32 exec_lo, exec_lo, s5
	s_branch .LBB5_822
	.p2align	6
.LBB5_819:                              ;   in Loop: Header=BB5_822 Depth=1
	s_or_b32 exec_lo, exec_lo, s5
	v_readfirstlane_b32 s5, v0
	s_cmp_eq_u32 s5, 0
	s_cbranch_scc1 .LBB5_821
; %bb.820:                              ;   in Loop: Header=BB5_822 Depth=1
	s_sleep 1
	s_cbranch_execnz .LBB5_822
	s_branch .LBB5_824
	.p2align	6
.LBB5_821:
	s_branch .LBB5_824
.LBB5_822:                              ; =>This Inner Loop Header: Depth=1
	v_mov_b32_e32 v0, 1
	s_and_saveexec_b32 s5, s4
	s_cbranch_execz .LBB5_819
; %bb.823:                              ;   in Loop: Header=BB5_822 Depth=1
	global_load_dword v0, v[8:9], off offset:20 glc dlc
	s_waitcnt vmcnt(0)
	buffer_gl1_inv
	buffer_gl0_inv
	v_and_b32_e32 v0, 1, v0
	s_branch .LBB5_819
.LBB5_824:
	global_load_dwordx2 v[0:1], v[10:11], off
	s_and_saveexec_b32 s5, s4
	s_cbranch_execz .LBB5_828
; %bb.825:
	v_mov_b32_e32 v8, 0
	s_clause 0x2
	global_load_dwordx2 v[4:5], v8, s[26:27] offset:40
	global_load_dwordx2 v[9:10], v8, s[26:27] offset:24 glc dlc
	global_load_dwordx2 v[6:7], v8, s[26:27]
	s_waitcnt vmcnt(2)
	v_add_co_u32 v11, vcc_lo, v4, 1
	v_add_co_ci_u32_e32 v12, vcc_lo, 0, v5, vcc_lo
	v_add_co_u32 v2, vcc_lo, v11, s6
	v_add_co_ci_u32_e32 v3, vcc_lo, s7, v12, vcc_lo
	v_cmp_eq_u64_e32 vcc_lo, 0, v[2:3]
	v_cndmask_b32_e32 v3, v3, v12, vcc_lo
	v_cndmask_b32_e32 v2, v2, v11, vcc_lo
	v_and_b32_e32 v5, v3, v5
	v_and_b32_e32 v4, v2, v4
	v_mul_lo_u32 v5, v5, 24
	v_mul_hi_u32 v11, v4, 24
	v_mul_lo_u32 v4, v4, 24
	v_add_nc_u32_e32 v5, v11, v5
	s_waitcnt vmcnt(0)
	v_add_co_u32 v6, vcc_lo, v6, v4
	v_mov_b32_e32 v4, v9
	v_add_co_ci_u32_e32 v7, vcc_lo, v7, v5, vcc_lo
	v_mov_b32_e32 v5, v10
	global_store_dwordx2 v[6:7], v[9:10], off
	s_waitcnt_vscnt null, 0x0
	global_atomic_cmpswap_x2 v[4:5], v8, v[2:5], s[26:27] offset:24 glc
	s_waitcnt vmcnt(0)
	v_cmp_ne_u64_e32 vcc_lo, v[4:5], v[9:10]
	s_and_b32 exec_lo, exec_lo, vcc_lo
	s_cbranch_execz .LBB5_828
; %bb.826:
	s_mov_b32 s4, 0
.LBB5_827:                              ; =>This Inner Loop Header: Depth=1
	s_sleep 1
	global_store_dwordx2 v[6:7], v[4:5], off
	s_waitcnt_vscnt null, 0x0
	global_atomic_cmpswap_x2 v[9:10], v8, v[2:5], s[26:27] offset:24 glc
	s_waitcnt vmcnt(0)
	v_cmp_eq_u64_e32 vcc_lo, v[9:10], v[4:5]
	v_mov_b32_e32 v4, v9
	v_mov_b32_e32 v5, v10
	s_or_b32 s4, vcc_lo, s4
	s_andn2_b32 exec_lo, exec_lo, s4
	s_cbranch_execnz .LBB5_827
.LBB5_828:
	s_or_b32 exec_lo, exec_lo, s5
	s_getpc_b64 s[6:7]
	s_add_u32 s6, s6, .str.7@rel32@lo+4
	s_addc_u32 s7, s7, .str.7@rel32@hi+12
	s_cmp_lg_u64 s[6:7], 0
	s_cbranch_scc0 .LBB5_907
; %bb.829:
	s_waitcnt vmcnt(0)
	v_and_b32_e32 v31, 2, v0
	v_mov_b32_e32 v6, 0
	v_and_b32_e32 v2, -3, v0
	v_mov_b32_e32 v3, v1
	v_mov_b32_e32 v7, 2
	;; [unrolled: 1-line block ×3, first 2 shown]
	s_mov_b64 s[10:11], 4
	s_branch .LBB5_831
.LBB5_830:                              ;   in Loop: Header=BB5_831 Depth=1
	s_or_b32 exec_lo, exec_lo, s5
	s_sub_u32 s10, s10, s16
	s_subb_u32 s11, s11, s17
	s_add_u32 s6, s6, s16
	s_addc_u32 s7, s7, s17
	s_cmp_lg_u64 s[10:11], 0
	s_cbranch_scc0 .LBB5_906
.LBB5_831:                              ; =>This Loop Header: Depth=1
                                        ;     Child Loop BB5_840 Depth 2
                                        ;     Child Loop BB5_836 Depth 2
	;; [unrolled: 1-line block ×11, first 2 shown]
	v_cmp_lt_u64_e64 s4, s[10:11], 56
	v_cmp_gt_u64_e64 s5, s[10:11], 7
                                        ; implicit-def: $vgpr11_vgpr12
                                        ; implicit-def: $sgpr22
	s_and_b32 s4, s4, exec_lo
	s_cselect_b32 s17, s11, 0
	s_cselect_b32 s16, s10, 56
	s_and_b32 vcc_lo, exec_lo, s5
	s_mov_b32 s4, -1
	s_cbranch_vccz .LBB5_838
; %bb.832:                              ;   in Loop: Header=BB5_831 Depth=1
	s_andn2_b32 vcc_lo, exec_lo, s4
	s_mov_b64 s[4:5], s[6:7]
	s_cbranch_vccz .LBB5_842
.LBB5_833:                              ;   in Loop: Header=BB5_831 Depth=1
	s_cmp_gt_u32 s22, 7
	s_cbranch_scc1 .LBB5_843
.LBB5_834:                              ;   in Loop: Header=BB5_831 Depth=1
	v_mov_b32_e32 v13, 0
	v_mov_b32_e32 v14, 0
	s_cmp_eq_u32 s22, 0
	s_cbranch_scc1 .LBB5_837
; %bb.835:                              ;   in Loop: Header=BB5_831 Depth=1
	s_mov_b64 s[18:19], 0
	s_mov_b64 s[20:21], 0
.LBB5_836:                              ;   Parent Loop BB5_831 Depth=1
                                        ; =>  This Inner Loop Header: Depth=2
	s_add_u32 s24, s4, s20
	s_addc_u32 s25, s5, s21
	s_add_u32 s20, s20, 1
	global_load_ubyte v4, v6, s[24:25]
	s_addc_u32 s21, s21, 0
	s_waitcnt vmcnt(0)
	v_and_b32_e32 v5, 0xffff, v4
	v_lshlrev_b64 v[4:5], s18, v[5:6]
	s_add_u32 s18, s18, 8
	s_addc_u32 s19, s19, 0
	s_cmp_lg_u32 s22, s20
	v_or_b32_e32 v13, v4, v13
	v_or_b32_e32 v14, v5, v14
	s_cbranch_scc1 .LBB5_836
.LBB5_837:                              ;   in Loop: Header=BB5_831 Depth=1
	s_mov_b32 s23, 0
	s_cbranch_execz .LBB5_844
	s_branch .LBB5_845
.LBB5_838:                              ;   in Loop: Header=BB5_831 Depth=1
	v_mov_b32_e32 v11, 0
	v_mov_b32_e32 v12, 0
	s_cmp_eq_u64 s[10:11], 0
	s_mov_b64 s[4:5], 0
	s_cbranch_scc1 .LBB5_841
; %bb.839:                              ;   in Loop: Header=BB5_831 Depth=1
	v_mov_b32_e32 v11, 0
	v_mov_b32_e32 v12, 0
	s_lshl_b64 s[18:19], s[16:17], 3
	s_mov_b64 s[20:21], s[6:7]
.LBB5_840:                              ;   Parent Loop BB5_831 Depth=1
                                        ; =>  This Inner Loop Header: Depth=2
	global_load_ubyte v4, v6, s[20:21]
	s_waitcnt vmcnt(0)
	v_and_b32_e32 v5, 0xffff, v4
	v_lshlrev_b64 v[4:5], s4, v[5:6]
	s_add_u32 s4, s4, 8
	s_addc_u32 s5, s5, 0
	s_add_u32 s20, s20, 1
	s_addc_u32 s21, s21, 0
	s_cmp_lg_u32 s18, s4
	v_or_b32_e32 v11, v4, v11
	v_or_b32_e32 v12, v5, v12
	s_cbranch_scc1 .LBB5_840
.LBB5_841:                              ;   in Loop: Header=BB5_831 Depth=1
	s_mov_b32 s22, 0
	s_mov_b64 s[4:5], s[6:7]
	s_cbranch_execnz .LBB5_833
.LBB5_842:                              ;   in Loop: Header=BB5_831 Depth=1
	global_load_dwordx2 v[11:12], v6, s[6:7]
	s_add_i32 s22, s16, -8
	s_add_u32 s4, s6, 8
	s_addc_u32 s5, s7, 0
	s_cmp_gt_u32 s22, 7
	s_cbranch_scc0 .LBB5_834
.LBB5_843:                              ;   in Loop: Header=BB5_831 Depth=1
                                        ; implicit-def: $vgpr13_vgpr14
                                        ; implicit-def: $sgpr23
.LBB5_844:                              ;   in Loop: Header=BB5_831 Depth=1
	global_load_dwordx2 v[13:14], v6, s[4:5]
	s_add_i32 s23, s22, -8
	s_add_u32 s4, s4, 8
	s_addc_u32 s5, s5, 0
.LBB5_845:                              ;   in Loop: Header=BB5_831 Depth=1
	s_cmp_gt_u32 s23, 7
	s_cbranch_scc1 .LBB5_850
; %bb.846:                              ;   in Loop: Header=BB5_831 Depth=1
	v_mov_b32_e32 v15, 0
	v_mov_b32_e32 v16, 0
	s_cmp_eq_u32 s23, 0
	s_cbranch_scc1 .LBB5_849
; %bb.847:                              ;   in Loop: Header=BB5_831 Depth=1
	s_mov_b64 s[18:19], 0
	s_mov_b64 s[20:21], 0
.LBB5_848:                              ;   Parent Loop BB5_831 Depth=1
                                        ; =>  This Inner Loop Header: Depth=2
	s_add_u32 s24, s4, s20
	s_addc_u32 s25, s5, s21
	s_add_u32 s20, s20, 1
	global_load_ubyte v4, v6, s[24:25]
	s_addc_u32 s21, s21, 0
	s_waitcnt vmcnt(0)
	v_and_b32_e32 v5, 0xffff, v4
	v_lshlrev_b64 v[4:5], s18, v[5:6]
	s_add_u32 s18, s18, 8
	s_addc_u32 s19, s19, 0
	s_cmp_lg_u32 s23, s20
	v_or_b32_e32 v15, v4, v15
	v_or_b32_e32 v16, v5, v16
	s_cbranch_scc1 .LBB5_848
.LBB5_849:                              ;   in Loop: Header=BB5_831 Depth=1
	s_mov_b32 s22, 0
	s_cbranch_execz .LBB5_851
	s_branch .LBB5_852
.LBB5_850:                              ;   in Loop: Header=BB5_831 Depth=1
                                        ; implicit-def: $sgpr22
.LBB5_851:                              ;   in Loop: Header=BB5_831 Depth=1
	global_load_dwordx2 v[15:16], v6, s[4:5]
	s_add_i32 s22, s23, -8
	s_add_u32 s4, s4, 8
	s_addc_u32 s5, s5, 0
.LBB5_852:                              ;   in Loop: Header=BB5_831 Depth=1
	s_cmp_gt_u32 s22, 7
	s_cbranch_scc1 .LBB5_857
; %bb.853:                              ;   in Loop: Header=BB5_831 Depth=1
	v_mov_b32_e32 v17, 0
	v_mov_b32_e32 v18, 0
	s_cmp_eq_u32 s22, 0
	s_cbranch_scc1 .LBB5_856
; %bb.854:                              ;   in Loop: Header=BB5_831 Depth=1
	s_mov_b64 s[18:19], 0
	s_mov_b64 s[20:21], 0
.LBB5_855:                              ;   Parent Loop BB5_831 Depth=1
                                        ; =>  This Inner Loop Header: Depth=2
	s_add_u32 s24, s4, s20
	s_addc_u32 s25, s5, s21
	s_add_u32 s20, s20, 1
	global_load_ubyte v4, v6, s[24:25]
	s_addc_u32 s21, s21, 0
	s_waitcnt vmcnt(0)
	v_and_b32_e32 v5, 0xffff, v4
	v_lshlrev_b64 v[4:5], s18, v[5:6]
	s_add_u32 s18, s18, 8
	s_addc_u32 s19, s19, 0
	s_cmp_lg_u32 s22, s20
	v_or_b32_e32 v17, v4, v17
	v_or_b32_e32 v18, v5, v18
	s_cbranch_scc1 .LBB5_855
.LBB5_856:                              ;   in Loop: Header=BB5_831 Depth=1
	s_mov_b32 s23, 0
	s_cbranch_execz .LBB5_858
	s_branch .LBB5_859
.LBB5_857:                              ;   in Loop: Header=BB5_831 Depth=1
                                        ; implicit-def: $vgpr17_vgpr18
                                        ; implicit-def: $sgpr23
.LBB5_858:                              ;   in Loop: Header=BB5_831 Depth=1
	global_load_dwordx2 v[17:18], v6, s[4:5]
	s_add_i32 s23, s22, -8
	s_add_u32 s4, s4, 8
	s_addc_u32 s5, s5, 0
.LBB5_859:                              ;   in Loop: Header=BB5_831 Depth=1
	s_cmp_gt_u32 s23, 7
	s_cbranch_scc1 .LBB5_864
; %bb.860:                              ;   in Loop: Header=BB5_831 Depth=1
	v_mov_b32_e32 v19, 0
	v_mov_b32_e32 v20, 0
	s_cmp_eq_u32 s23, 0
	s_cbranch_scc1 .LBB5_863
; %bb.861:                              ;   in Loop: Header=BB5_831 Depth=1
	s_mov_b64 s[18:19], 0
	s_mov_b64 s[20:21], 0
.LBB5_862:                              ;   Parent Loop BB5_831 Depth=1
                                        ; =>  This Inner Loop Header: Depth=2
	s_add_u32 s24, s4, s20
	s_addc_u32 s25, s5, s21
	s_add_u32 s20, s20, 1
	global_load_ubyte v4, v6, s[24:25]
	s_addc_u32 s21, s21, 0
	s_waitcnt vmcnt(0)
	v_and_b32_e32 v5, 0xffff, v4
	v_lshlrev_b64 v[4:5], s18, v[5:6]
	s_add_u32 s18, s18, 8
	s_addc_u32 s19, s19, 0
	s_cmp_lg_u32 s23, s20
	v_or_b32_e32 v19, v4, v19
	v_or_b32_e32 v20, v5, v20
	s_cbranch_scc1 .LBB5_862
.LBB5_863:                              ;   in Loop: Header=BB5_831 Depth=1
	s_mov_b32 s22, 0
	s_cbranch_execz .LBB5_865
	s_branch .LBB5_866
.LBB5_864:                              ;   in Loop: Header=BB5_831 Depth=1
                                        ; implicit-def: $sgpr22
.LBB5_865:                              ;   in Loop: Header=BB5_831 Depth=1
	global_load_dwordx2 v[19:20], v6, s[4:5]
	s_add_i32 s22, s23, -8
	s_add_u32 s4, s4, 8
	s_addc_u32 s5, s5, 0
.LBB5_866:                              ;   in Loop: Header=BB5_831 Depth=1
	s_cmp_gt_u32 s22, 7
	s_cbranch_scc1 .LBB5_871
; %bb.867:                              ;   in Loop: Header=BB5_831 Depth=1
	v_mov_b32_e32 v21, 0
	v_mov_b32_e32 v22, 0
	s_cmp_eq_u32 s22, 0
	s_cbranch_scc1 .LBB5_870
; %bb.868:                              ;   in Loop: Header=BB5_831 Depth=1
	s_mov_b64 s[18:19], 0
	s_mov_b64 s[20:21], 0
.LBB5_869:                              ;   Parent Loop BB5_831 Depth=1
                                        ; =>  This Inner Loop Header: Depth=2
	s_add_u32 s24, s4, s20
	s_addc_u32 s25, s5, s21
	s_add_u32 s20, s20, 1
	global_load_ubyte v4, v6, s[24:25]
	s_addc_u32 s21, s21, 0
	s_waitcnt vmcnt(0)
	v_and_b32_e32 v5, 0xffff, v4
	v_lshlrev_b64 v[4:5], s18, v[5:6]
	s_add_u32 s18, s18, 8
	s_addc_u32 s19, s19, 0
	s_cmp_lg_u32 s22, s20
	v_or_b32_e32 v21, v4, v21
	v_or_b32_e32 v22, v5, v22
	s_cbranch_scc1 .LBB5_869
.LBB5_870:                              ;   in Loop: Header=BB5_831 Depth=1
	s_mov_b32 s23, 0
	s_cbranch_execz .LBB5_872
	s_branch .LBB5_873
.LBB5_871:                              ;   in Loop: Header=BB5_831 Depth=1
                                        ; implicit-def: $vgpr21_vgpr22
                                        ; implicit-def: $sgpr23
.LBB5_872:                              ;   in Loop: Header=BB5_831 Depth=1
	global_load_dwordx2 v[21:22], v6, s[4:5]
	s_add_i32 s23, s22, -8
	s_add_u32 s4, s4, 8
	s_addc_u32 s5, s5, 0
.LBB5_873:                              ;   in Loop: Header=BB5_831 Depth=1
	s_cmp_gt_u32 s23, 7
	s_cbranch_scc1 .LBB5_878
; %bb.874:                              ;   in Loop: Header=BB5_831 Depth=1
	v_mov_b32_e32 v23, 0
	v_mov_b32_e32 v24, 0
	s_cmp_eq_u32 s23, 0
	s_cbranch_scc1 .LBB5_877
; %bb.875:                              ;   in Loop: Header=BB5_831 Depth=1
	s_mov_b64 s[18:19], 0
	s_mov_b64 s[20:21], s[4:5]
.LBB5_876:                              ;   Parent Loop BB5_831 Depth=1
                                        ; =>  This Inner Loop Header: Depth=2
	global_load_ubyte v4, v6, s[20:21]
	s_add_i32 s23, s23, -1
	s_waitcnt vmcnt(0)
	v_and_b32_e32 v5, 0xffff, v4
	v_lshlrev_b64 v[4:5], s18, v[5:6]
	s_add_u32 s18, s18, 8
	s_addc_u32 s19, s19, 0
	s_add_u32 s20, s20, 1
	s_addc_u32 s21, s21, 0
	s_cmp_lg_u32 s23, 0
	v_or_b32_e32 v23, v4, v23
	v_or_b32_e32 v24, v5, v24
	s_cbranch_scc1 .LBB5_876
.LBB5_877:                              ;   in Loop: Header=BB5_831 Depth=1
	s_cbranch_execz .LBB5_879
	s_branch .LBB5_880
.LBB5_878:                              ;   in Loop: Header=BB5_831 Depth=1
.LBB5_879:                              ;   in Loop: Header=BB5_831 Depth=1
	global_load_dwordx2 v[23:24], v6, s[4:5]
.LBB5_880:                              ;   in Loop: Header=BB5_831 Depth=1
	v_readfirstlane_b32 s4, v48
	s_waitcnt vmcnt(0)
	v_mov_b32_e32 v4, 0
	v_mov_b32_e32 v5, 0
	v_cmp_eq_u32_e64 s4, s4, v48
	s_and_saveexec_b32 s5, s4
	s_cbranch_execz .LBB5_886
; %bb.881:                              ;   in Loop: Header=BB5_831 Depth=1
	global_load_dwordx2 v[27:28], v6, s[26:27] offset:24 glc dlc
	s_waitcnt vmcnt(0)
	buffer_gl1_inv
	buffer_gl0_inv
	s_clause 0x1
	global_load_dwordx2 v[4:5], v6, s[26:27] offset:40
	global_load_dwordx2 v[9:10], v6, s[26:27]
	s_mov_b32 s18, exec_lo
	s_waitcnt vmcnt(1)
	v_and_b32_e32 v5, v5, v28
	v_and_b32_e32 v4, v4, v27
	v_mul_lo_u32 v5, v5, 24
	v_mul_hi_u32 v25, v4, 24
	v_mul_lo_u32 v4, v4, 24
	v_add_nc_u32_e32 v5, v25, v5
	s_waitcnt vmcnt(0)
	v_add_co_u32 v4, vcc_lo, v9, v4
	v_add_co_ci_u32_e32 v5, vcc_lo, v10, v5, vcc_lo
	global_load_dwordx2 v[25:26], v[4:5], off glc dlc
	s_waitcnt vmcnt(0)
	global_atomic_cmpswap_x2 v[4:5], v6, v[25:28], s[26:27] offset:24 glc
	s_waitcnt vmcnt(0)
	buffer_gl1_inv
	buffer_gl0_inv
	v_cmpx_ne_u64_e64 v[4:5], v[27:28]
	s_cbranch_execz .LBB5_885
; %bb.882:                              ;   in Loop: Header=BB5_831 Depth=1
	s_mov_b32 s19, 0
	.p2align	6
.LBB5_883:                              ;   Parent Loop BB5_831 Depth=1
                                        ; =>  This Inner Loop Header: Depth=2
	s_sleep 1
	s_clause 0x1
	global_load_dwordx2 v[9:10], v6, s[26:27] offset:40
	global_load_dwordx2 v[25:26], v6, s[26:27]
	v_mov_b32_e32 v28, v5
	v_mov_b32_e32 v27, v4
	s_waitcnt vmcnt(1)
	v_and_b32_e32 v4, v9, v27
	v_and_b32_e32 v9, v10, v28
	s_waitcnt vmcnt(0)
	v_mad_u64_u32 v[4:5], null, v4, 24, v[25:26]
	v_mad_u64_u32 v[9:10], null, v9, 24, v[5:6]
	v_mov_b32_e32 v5, v9
	global_load_dwordx2 v[25:26], v[4:5], off glc dlc
	s_waitcnt vmcnt(0)
	global_atomic_cmpswap_x2 v[4:5], v6, v[25:28], s[26:27] offset:24 glc
	s_waitcnt vmcnt(0)
	buffer_gl1_inv
	buffer_gl0_inv
	v_cmp_eq_u64_e32 vcc_lo, v[4:5], v[27:28]
	s_or_b32 s19, vcc_lo, s19
	s_andn2_b32 exec_lo, exec_lo, s19
	s_cbranch_execnz .LBB5_883
; %bb.884:                              ;   in Loop: Header=BB5_831 Depth=1
	s_or_b32 exec_lo, exec_lo, s19
.LBB5_885:                              ;   in Loop: Header=BB5_831 Depth=1
	s_or_b32 exec_lo, exec_lo, s18
.LBB5_886:                              ;   in Loop: Header=BB5_831 Depth=1
	s_or_b32 exec_lo, exec_lo, s5
	s_clause 0x1
	global_load_dwordx2 v[9:10], v6, s[26:27] offset:40
	global_load_dwordx4 v[25:28], v6, s[26:27]
	v_readfirstlane_b32 s18, v4
	v_readfirstlane_b32 s19, v5
	s_mov_b32 s5, exec_lo
	s_waitcnt vmcnt(1)
	v_readfirstlane_b32 s20, v9
	v_readfirstlane_b32 s21, v10
	s_and_b64 s[20:21], s[18:19], s[20:21]
	s_mul_i32 s22, s21, 24
	s_mul_hi_u32 s23, s20, 24
	s_mul_i32 s24, s20, 24
	s_add_i32 s23, s23, s22
	s_waitcnt vmcnt(0)
	v_add_co_u32 v29, vcc_lo, v25, s24
	v_add_co_ci_u32_e32 v30, vcc_lo, s23, v26, vcc_lo
	s_and_saveexec_b32 s22, s4
	s_cbranch_execz .LBB5_888
; %bb.887:                              ;   in Loop: Header=BB5_831 Depth=1
	v_mov_b32_e32 v5, s5
	global_store_dwordx4 v[29:30], v[5:8], off offset:8
.LBB5_888:                              ;   in Loop: Header=BB5_831 Depth=1
	s_or_b32 exec_lo, exec_lo, s22
	s_lshl_b64 s[20:21], s[20:21], 12
	v_cmp_gt_u64_e64 vcc_lo, s[10:11], 56
	v_or_b32_e32 v5, v2, v31
	v_add_co_u32 v27, s5, v27, s20
	v_add_co_ci_u32_e64 v28, s5, s21, v28, s5
	s_lshl_b32 s5, s16, 2
	v_or_b32_e32 v4, 0, v3
	v_cndmask_b32_e32 v2, v5, v2, vcc_lo
	s_add_i32 s5, s5, 28
	v_readfirstlane_b32 s20, v27
	s_and_b32 s5, s5, 0x1e0
	v_cndmask_b32_e32 v10, v4, v3, vcc_lo
	v_readfirstlane_b32 s21, v28
	v_and_or_b32 v9, 0xffffff1f, v2, s5
	global_store_dwordx4 v39, v[9:12], s[20:21]
	global_store_dwordx4 v39, v[13:16], s[20:21] offset:16
	global_store_dwordx4 v39, v[17:20], s[20:21] offset:32
	;; [unrolled: 1-line block ×3, first 2 shown]
	s_and_saveexec_b32 s5, s4
	s_cbranch_execz .LBB5_896
; %bb.889:                              ;   in Loop: Header=BB5_831 Depth=1
	s_clause 0x1
	global_load_dwordx2 v[13:14], v6, s[26:27] offset:32 glc dlc
	global_load_dwordx2 v[2:3], v6, s[26:27] offset:40
	v_mov_b32_e32 v11, s18
	v_mov_b32_e32 v12, s19
	s_waitcnt vmcnt(0)
	v_readfirstlane_b32 s20, v2
	v_readfirstlane_b32 s21, v3
	s_and_b64 s[20:21], s[20:21], s[18:19]
	s_mul_i32 s21, s21, 24
	s_mul_hi_u32 s22, s20, 24
	s_mul_i32 s20, s20, 24
	s_add_i32 s22, s22, s21
	v_add_co_u32 v9, vcc_lo, v25, s20
	v_add_co_ci_u32_e32 v10, vcc_lo, s22, v26, vcc_lo
	s_mov_b32 s20, exec_lo
	global_store_dwordx2 v[9:10], v[13:14], off
	s_waitcnt_vscnt null, 0x0
	global_atomic_cmpswap_x2 v[4:5], v6, v[11:14], s[26:27] offset:32 glc
	s_waitcnt vmcnt(0)
	v_cmpx_ne_u64_e64 v[4:5], v[13:14]
	s_cbranch_execz .LBB5_892
; %bb.890:                              ;   in Loop: Header=BB5_831 Depth=1
	s_mov_b32 s21, 0
.LBB5_891:                              ;   Parent Loop BB5_831 Depth=1
                                        ; =>  This Inner Loop Header: Depth=2
	v_mov_b32_e32 v2, s18
	v_mov_b32_e32 v3, s19
	s_sleep 1
	global_store_dwordx2 v[9:10], v[4:5], off
	s_waitcnt_vscnt null, 0x0
	global_atomic_cmpswap_x2 v[2:3], v6, v[2:5], s[26:27] offset:32 glc
	s_waitcnt vmcnt(0)
	v_cmp_eq_u64_e32 vcc_lo, v[2:3], v[4:5]
	v_mov_b32_e32 v5, v3
	v_mov_b32_e32 v4, v2
	s_or_b32 s21, vcc_lo, s21
	s_andn2_b32 exec_lo, exec_lo, s21
	s_cbranch_execnz .LBB5_891
.LBB5_892:                              ;   in Loop: Header=BB5_831 Depth=1
	s_or_b32 exec_lo, exec_lo, s20
	global_load_dwordx2 v[2:3], v6, s[26:27] offset:16
	s_mov_b32 s21, exec_lo
	s_mov_b32 s20, exec_lo
	v_mbcnt_lo_u32_b32 v4, s21, 0
	v_cmpx_eq_u32_e32 0, v4
	s_cbranch_execz .LBB5_894
; %bb.893:                              ;   in Loop: Header=BB5_831 Depth=1
	s_bcnt1_i32_b32 s21, s21
	v_mov_b32_e32 v5, s21
	s_waitcnt vmcnt(0)
	global_atomic_add_x2 v[2:3], v[5:6], off offset:8
.LBB5_894:                              ;   in Loop: Header=BB5_831 Depth=1
	s_or_b32 exec_lo, exec_lo, s20
	s_waitcnt vmcnt(0)
	global_load_dwordx2 v[9:10], v[2:3], off offset:16
	s_waitcnt vmcnt(0)
	v_cmp_eq_u64_e32 vcc_lo, 0, v[9:10]
	s_cbranch_vccnz .LBB5_896
; %bb.895:                              ;   in Loop: Header=BB5_831 Depth=1
	global_load_dword v5, v[2:3], off offset:24
	s_waitcnt vmcnt(0)
	v_and_b32_e32 v2, 0x7fffff, v5
	s_waitcnt_vscnt null, 0x0
	global_store_dwordx2 v[9:10], v[5:6], off
	v_readfirstlane_b32 m0, v2
	s_sendmsg sendmsg(MSG_INTERRUPT)
.LBB5_896:                              ;   in Loop: Header=BB5_831 Depth=1
	s_or_b32 exec_lo, exec_lo, s5
	v_add_co_u32 v2, vcc_lo, v27, v39
	v_add_co_ci_u32_e32 v3, vcc_lo, 0, v28, vcc_lo
	s_branch .LBB5_900
	.p2align	6
.LBB5_897:                              ;   in Loop: Header=BB5_900 Depth=2
	s_or_b32 exec_lo, exec_lo, s5
	v_readfirstlane_b32 s5, v4
	s_cmp_eq_u32 s5, 0
	s_cbranch_scc1 .LBB5_899
; %bb.898:                              ;   in Loop: Header=BB5_900 Depth=2
	s_sleep 1
	s_cbranch_execnz .LBB5_900
	s_branch .LBB5_902
	.p2align	6
.LBB5_899:                              ;   in Loop: Header=BB5_831 Depth=1
	s_branch .LBB5_902
.LBB5_900:                              ;   Parent Loop BB5_831 Depth=1
                                        ; =>  This Inner Loop Header: Depth=2
	v_mov_b32_e32 v4, 1
	s_and_saveexec_b32 s5, s4
	s_cbranch_execz .LBB5_897
; %bb.901:                              ;   in Loop: Header=BB5_900 Depth=2
	global_load_dword v4, v[29:30], off offset:20 glc dlc
	s_waitcnt vmcnt(0)
	buffer_gl1_inv
	buffer_gl0_inv
	v_and_b32_e32 v4, 1, v4
	s_branch .LBB5_897
.LBB5_902:                              ;   in Loop: Header=BB5_831 Depth=1
	global_load_dwordx4 v[2:5], v[2:3], off
	s_and_saveexec_b32 s5, s4
	s_cbranch_execz .LBB5_830
; %bb.903:                              ;   in Loop: Header=BB5_831 Depth=1
	s_clause 0x2
	global_load_dwordx2 v[4:5], v6, s[26:27] offset:40
	global_load_dwordx2 v[13:14], v6, s[26:27] offset:24 glc dlc
	global_load_dwordx2 v[11:12], v6, s[26:27]
	s_waitcnt vmcnt(2)
	v_add_co_u32 v15, vcc_lo, v4, 1
	v_add_co_ci_u32_e32 v16, vcc_lo, 0, v5, vcc_lo
	v_add_co_u32 v9, vcc_lo, v15, s18
	v_add_co_ci_u32_e32 v10, vcc_lo, s19, v16, vcc_lo
	v_cmp_eq_u64_e32 vcc_lo, 0, v[9:10]
	v_cndmask_b32_e32 v10, v10, v16, vcc_lo
	v_cndmask_b32_e32 v9, v9, v15, vcc_lo
	v_and_b32_e32 v5, v10, v5
	v_and_b32_e32 v4, v9, v4
	v_mul_lo_u32 v5, v5, 24
	v_mul_hi_u32 v15, v4, 24
	v_mul_lo_u32 v4, v4, 24
	v_add_nc_u32_e32 v5, v15, v5
	s_waitcnt vmcnt(0)
	v_add_co_u32 v4, vcc_lo, v11, v4
	v_mov_b32_e32 v11, v13
	v_add_co_ci_u32_e32 v5, vcc_lo, v12, v5, vcc_lo
	v_mov_b32_e32 v12, v14
	global_store_dwordx2 v[4:5], v[13:14], off
	s_waitcnt_vscnt null, 0x0
	global_atomic_cmpswap_x2 v[11:12], v6, v[9:12], s[26:27] offset:24 glc
	s_waitcnt vmcnt(0)
	v_cmp_ne_u64_e32 vcc_lo, v[11:12], v[13:14]
	s_and_b32 exec_lo, exec_lo, vcc_lo
	s_cbranch_execz .LBB5_830
; %bb.904:                              ;   in Loop: Header=BB5_831 Depth=1
	s_mov_b32 s4, 0
.LBB5_905:                              ;   Parent Loop BB5_831 Depth=1
                                        ; =>  This Inner Loop Header: Depth=2
	s_sleep 1
	global_store_dwordx2 v[4:5], v[11:12], off
	s_waitcnt_vscnt null, 0x0
	global_atomic_cmpswap_x2 v[13:14], v6, v[9:12], s[26:27] offset:24 glc
	s_waitcnt vmcnt(0)
	v_cmp_eq_u64_e32 vcc_lo, v[13:14], v[11:12]
	v_mov_b32_e32 v11, v13
	v_mov_b32_e32 v12, v14
	s_or_b32 s4, vcc_lo, s4
	s_andn2_b32 exec_lo, exec_lo, s4
	s_cbranch_execnz .LBB5_905
	s_branch .LBB5_830
.LBB5_906:
	s_branch .LBB5_935
.LBB5_907:
                                        ; implicit-def: $vgpr2_vgpr3
	s_cbranch_execz .LBB5_935
; %bb.908:
	v_readfirstlane_b32 s4, v48
	v_mov_b32_e32 v8, 0
	v_mov_b32_e32 v9, 0
	v_cmp_eq_u32_e64 s4, s4, v48
	s_and_saveexec_b32 s5, s4
	s_cbranch_execz .LBB5_914
; %bb.909:
	s_waitcnt vmcnt(0)
	v_mov_b32_e32 v2, 0
	s_mov_b32 s6, exec_lo
	global_load_dwordx2 v[5:6], v2, s[26:27] offset:24 glc dlc
	s_waitcnt vmcnt(0)
	buffer_gl1_inv
	buffer_gl0_inv
	s_clause 0x1
	global_load_dwordx2 v[3:4], v2, s[26:27] offset:40
	global_load_dwordx2 v[7:8], v2, s[26:27]
	s_waitcnt vmcnt(1)
	v_and_b32_e32 v4, v4, v6
	v_and_b32_e32 v3, v3, v5
	v_mul_lo_u32 v4, v4, 24
	v_mul_hi_u32 v9, v3, 24
	v_mul_lo_u32 v3, v3, 24
	v_add_nc_u32_e32 v4, v9, v4
	s_waitcnt vmcnt(0)
	v_add_co_u32 v3, vcc_lo, v7, v3
	v_add_co_ci_u32_e32 v4, vcc_lo, v8, v4, vcc_lo
	global_load_dwordx2 v[3:4], v[3:4], off glc dlc
	s_waitcnt vmcnt(0)
	global_atomic_cmpswap_x2 v[8:9], v2, v[3:6], s[26:27] offset:24 glc
	s_waitcnt vmcnt(0)
	buffer_gl1_inv
	buffer_gl0_inv
	v_cmpx_ne_u64_e64 v[8:9], v[5:6]
	s_cbranch_execz .LBB5_913
; %bb.910:
	s_mov_b32 s7, 0
	.p2align	6
.LBB5_911:                              ; =>This Inner Loop Header: Depth=1
	s_sleep 1
	s_clause 0x1
	global_load_dwordx2 v[3:4], v2, s[26:27] offset:40
	global_load_dwordx2 v[10:11], v2, s[26:27]
	v_mov_b32_e32 v5, v8
	v_mov_b32_e32 v6, v9
	s_waitcnt vmcnt(1)
	v_and_b32_e32 v3, v3, v5
	v_and_b32_e32 v4, v4, v6
	s_waitcnt vmcnt(0)
	v_mad_u64_u32 v[7:8], null, v3, 24, v[10:11]
	v_mov_b32_e32 v3, v8
	v_mad_u64_u32 v[3:4], null, v4, 24, v[3:4]
	v_mov_b32_e32 v8, v3
	global_load_dwordx2 v[3:4], v[7:8], off glc dlc
	s_waitcnt vmcnt(0)
	global_atomic_cmpswap_x2 v[8:9], v2, v[3:6], s[26:27] offset:24 glc
	s_waitcnt vmcnt(0)
	buffer_gl1_inv
	buffer_gl0_inv
	v_cmp_eq_u64_e32 vcc_lo, v[8:9], v[5:6]
	s_or_b32 s7, vcc_lo, s7
	s_andn2_b32 exec_lo, exec_lo, s7
	s_cbranch_execnz .LBB5_911
; %bb.912:
	s_or_b32 exec_lo, exec_lo, s7
.LBB5_913:
	s_or_b32 exec_lo, exec_lo, s6
.LBB5_914:
	s_or_b32 exec_lo, exec_lo, s5
	s_waitcnt vmcnt(0)
	v_mov_b32_e32 v2, 0
	v_readfirstlane_b32 s6, v8
	v_readfirstlane_b32 s7, v9
	s_mov_b32 s5, exec_lo
	s_clause 0x1
	global_load_dwordx2 v[10:11], v2, s[26:27] offset:40
	global_load_dwordx4 v[4:7], v2, s[26:27]
	s_waitcnt vmcnt(1)
	v_readfirstlane_b32 s10, v10
	v_readfirstlane_b32 s11, v11
	s_and_b64 s[10:11], s[6:7], s[10:11]
	s_mul_i32 s16, s11, 24
	s_mul_hi_u32 s17, s10, 24
	s_mul_i32 s18, s10, 24
	s_add_i32 s17, s17, s16
	s_waitcnt vmcnt(0)
	v_add_co_u32 v8, vcc_lo, v4, s18
	v_add_co_ci_u32_e32 v9, vcc_lo, s17, v5, vcc_lo
	s_and_saveexec_b32 s16, s4
	s_cbranch_execz .LBB5_916
; %bb.915:
	v_mov_b32_e32 v10, s5
	v_mov_b32_e32 v11, v2
	;; [unrolled: 1-line block ×4, first 2 shown]
	global_store_dwordx4 v[8:9], v[10:13], off offset:8
.LBB5_916:
	s_or_b32 exec_lo, exec_lo, s16
	s_lshl_b64 s[10:11], s[10:11], 12
	s_mov_b32 s16, 0
	v_add_co_u32 v6, vcc_lo, v6, s10
	v_add_co_ci_u32_e32 v7, vcc_lo, s11, v7, vcc_lo
	s_mov_b32 s17, s16
	v_readfirstlane_b32 s10, v6
	v_add_co_u32 v6, vcc_lo, v6, v39
	s_mov_b32 s18, s16
	s_mov_b32 s19, s16
	v_and_or_b32 v0, 0xffffff1f, v0, 32
	v_mov_b32_e32 v3, v2
	v_readfirstlane_b32 s11, v7
	v_mov_b32_e32 v10, s16
	v_add_co_ci_u32_e32 v7, vcc_lo, 0, v7, vcc_lo
	v_mov_b32_e32 v11, s17
	v_mov_b32_e32 v12, s18
	v_mov_b32_e32 v13, s19
	global_store_dwordx4 v39, v[0:3], s[10:11]
	global_store_dwordx4 v39, v[10:13], s[10:11] offset:16
	global_store_dwordx4 v39, v[10:13], s[10:11] offset:32
	;; [unrolled: 1-line block ×3, first 2 shown]
	s_and_saveexec_b32 s5, s4
	s_cbranch_execz .LBB5_924
; %bb.917:
	v_mov_b32_e32 v10, 0
	v_mov_b32_e32 v11, s6
	;; [unrolled: 1-line block ×3, first 2 shown]
	s_clause 0x1
	global_load_dwordx2 v[13:14], v10, s[26:27] offset:32 glc dlc
	global_load_dwordx2 v[0:1], v10, s[26:27] offset:40
	s_waitcnt vmcnt(0)
	v_readfirstlane_b32 s10, v0
	v_readfirstlane_b32 s11, v1
	s_and_b64 s[10:11], s[10:11], s[6:7]
	s_mul_i32 s11, s11, 24
	s_mul_hi_u32 s16, s10, 24
	s_mul_i32 s10, s10, 24
	s_add_i32 s16, s16, s11
	v_add_co_u32 v4, vcc_lo, v4, s10
	v_add_co_ci_u32_e32 v5, vcc_lo, s16, v5, vcc_lo
	s_mov_b32 s10, exec_lo
	global_store_dwordx2 v[4:5], v[13:14], off
	s_waitcnt_vscnt null, 0x0
	global_atomic_cmpswap_x2 v[2:3], v10, v[11:14], s[26:27] offset:32 glc
	s_waitcnt vmcnt(0)
	v_cmpx_ne_u64_e64 v[2:3], v[13:14]
	s_cbranch_execz .LBB5_920
; %bb.918:
	s_mov_b32 s11, 0
.LBB5_919:                              ; =>This Inner Loop Header: Depth=1
	v_mov_b32_e32 v0, s6
	v_mov_b32_e32 v1, s7
	s_sleep 1
	global_store_dwordx2 v[4:5], v[2:3], off
	s_waitcnt_vscnt null, 0x0
	global_atomic_cmpswap_x2 v[0:1], v10, v[0:3], s[26:27] offset:32 glc
	s_waitcnt vmcnt(0)
	v_cmp_eq_u64_e32 vcc_lo, v[0:1], v[2:3]
	v_mov_b32_e32 v3, v1
	v_mov_b32_e32 v2, v0
	s_or_b32 s11, vcc_lo, s11
	s_andn2_b32 exec_lo, exec_lo, s11
	s_cbranch_execnz .LBB5_919
.LBB5_920:
	s_or_b32 exec_lo, exec_lo, s10
	v_mov_b32_e32 v3, 0
	s_mov_b32 s11, exec_lo
	s_mov_b32 s10, exec_lo
	v_mbcnt_lo_u32_b32 v2, s11, 0
	global_load_dwordx2 v[0:1], v3, s[26:27] offset:16
	v_cmpx_eq_u32_e32 0, v2
	s_cbranch_execz .LBB5_922
; %bb.921:
	s_bcnt1_i32_b32 s11, s11
	v_mov_b32_e32 v2, s11
	s_waitcnt vmcnt(0)
	global_atomic_add_x2 v[0:1], v[2:3], off offset:8
.LBB5_922:
	s_or_b32 exec_lo, exec_lo, s10
	s_waitcnt vmcnt(0)
	global_load_dwordx2 v[2:3], v[0:1], off offset:16
	s_waitcnt vmcnt(0)
	v_cmp_eq_u64_e32 vcc_lo, 0, v[2:3]
	s_cbranch_vccnz .LBB5_924
; %bb.923:
	global_load_dword v0, v[0:1], off offset:24
	v_mov_b32_e32 v1, 0
	s_waitcnt vmcnt(0)
	v_and_b32_e32 v4, 0x7fffff, v0
	s_waitcnt_vscnt null, 0x0
	global_store_dwordx2 v[2:3], v[0:1], off
	v_readfirstlane_b32 m0, v4
	s_sendmsg sendmsg(MSG_INTERRUPT)
.LBB5_924:
	s_or_b32 exec_lo, exec_lo, s5
	s_branch .LBB5_928
	.p2align	6
.LBB5_925:                              ;   in Loop: Header=BB5_928 Depth=1
	s_or_b32 exec_lo, exec_lo, s5
	v_readfirstlane_b32 s5, v0
	s_cmp_eq_u32 s5, 0
	s_cbranch_scc1 .LBB5_927
; %bb.926:                              ;   in Loop: Header=BB5_928 Depth=1
	s_sleep 1
	s_cbranch_execnz .LBB5_928
	s_branch .LBB5_930
	.p2align	6
.LBB5_927:
	s_branch .LBB5_930
.LBB5_928:                              ; =>This Inner Loop Header: Depth=1
	v_mov_b32_e32 v0, 1
	s_and_saveexec_b32 s5, s4
	s_cbranch_execz .LBB5_925
; %bb.929:                              ;   in Loop: Header=BB5_928 Depth=1
	global_load_dword v0, v[8:9], off offset:20 glc dlc
	s_waitcnt vmcnt(0)
	buffer_gl1_inv
	buffer_gl0_inv
	v_and_b32_e32 v0, 1, v0
	s_branch .LBB5_925
.LBB5_930:
	global_load_dwordx2 v[2:3], v[6:7], off
	s_and_saveexec_b32 s5, s4
	s_cbranch_execz .LBB5_934
; %bb.931:
	v_mov_b32_e32 v8, 0
	s_clause 0x2
	global_load_dwordx2 v[0:1], v8, s[26:27] offset:40
	global_load_dwordx2 v[9:10], v8, s[26:27] offset:24 glc dlc
	global_load_dwordx2 v[6:7], v8, s[26:27]
	s_waitcnt vmcnt(2)
	v_add_co_u32 v11, vcc_lo, v0, 1
	v_add_co_ci_u32_e32 v12, vcc_lo, 0, v1, vcc_lo
	v_add_co_u32 v4, vcc_lo, v11, s6
	v_add_co_ci_u32_e32 v5, vcc_lo, s7, v12, vcc_lo
	v_cmp_eq_u64_e32 vcc_lo, 0, v[4:5]
	v_cndmask_b32_e32 v5, v5, v12, vcc_lo
	v_cndmask_b32_e32 v4, v4, v11, vcc_lo
	v_and_b32_e32 v1, v5, v1
	v_and_b32_e32 v0, v4, v0
	v_mul_lo_u32 v1, v1, 24
	v_mul_hi_u32 v11, v0, 24
	v_mul_lo_u32 v0, v0, 24
	v_add_nc_u32_e32 v1, v11, v1
	s_waitcnt vmcnt(0)
	v_add_co_u32 v0, vcc_lo, v6, v0
	v_mov_b32_e32 v6, v9
	v_add_co_ci_u32_e32 v1, vcc_lo, v7, v1, vcc_lo
	v_mov_b32_e32 v7, v10
	global_store_dwordx2 v[0:1], v[9:10], off
	s_waitcnt_vscnt null, 0x0
	global_atomic_cmpswap_x2 v[6:7], v8, v[4:7], s[26:27] offset:24 glc
	s_waitcnt vmcnt(0)
	v_cmp_ne_u64_e32 vcc_lo, v[6:7], v[9:10]
	s_and_b32 exec_lo, exec_lo, vcc_lo
	s_cbranch_execz .LBB5_934
; %bb.932:
	s_mov_b32 s4, 0
.LBB5_933:                              ; =>This Inner Loop Header: Depth=1
	s_sleep 1
	global_store_dwordx2 v[0:1], v[6:7], off
	s_waitcnt_vscnt null, 0x0
	global_atomic_cmpswap_x2 v[9:10], v8, v[4:7], s[26:27] offset:24 glc
	s_waitcnt vmcnt(0)
	v_cmp_eq_u64_e32 vcc_lo, v[9:10], v[6:7]
	v_mov_b32_e32 v6, v9
	v_mov_b32_e32 v7, v10
	s_or_b32 s4, vcc_lo, s4
	s_andn2_b32 exec_lo, exec_lo, s4
	s_cbranch_execnz .LBB5_933
.LBB5_934:
	s_or_b32 exec_lo, exec_lo, s5
.LBB5_935:
	v_readfirstlane_b32 s4, v48
	s_waitcnt vmcnt(0)
	v_mov_b32_e32 v0, 0
	v_mov_b32_e32 v1, 0
	v_cmp_eq_u32_e64 s4, s4, v48
	s_and_saveexec_b32 s5, s4
	s_cbranch_execz .LBB5_941
; %bb.936:
	v_mov_b32_e32 v4, 0
	s_mov_b32 s6, exec_lo
	global_load_dwordx2 v[7:8], v4, s[26:27] offset:24 glc dlc
	s_waitcnt vmcnt(0)
	buffer_gl1_inv
	buffer_gl0_inv
	s_clause 0x1
	global_load_dwordx2 v[0:1], v4, s[26:27] offset:40
	global_load_dwordx2 v[5:6], v4, s[26:27]
	s_waitcnt vmcnt(1)
	v_and_b32_e32 v1, v1, v8
	v_and_b32_e32 v0, v0, v7
	v_mul_lo_u32 v1, v1, 24
	v_mul_hi_u32 v9, v0, 24
	v_mul_lo_u32 v0, v0, 24
	v_add_nc_u32_e32 v1, v9, v1
	s_waitcnt vmcnt(0)
	v_add_co_u32 v0, vcc_lo, v5, v0
	v_add_co_ci_u32_e32 v1, vcc_lo, v6, v1, vcc_lo
	global_load_dwordx2 v[5:6], v[0:1], off glc dlc
	s_waitcnt vmcnt(0)
	global_atomic_cmpswap_x2 v[0:1], v4, v[5:8], s[26:27] offset:24 glc
	s_waitcnt vmcnt(0)
	buffer_gl1_inv
	buffer_gl0_inv
	v_cmpx_ne_u64_e64 v[0:1], v[7:8]
	s_cbranch_execz .LBB5_940
; %bb.937:
	s_mov_b32 s7, 0
	.p2align	6
.LBB5_938:                              ; =>This Inner Loop Header: Depth=1
	s_sleep 1
	s_clause 0x1
	global_load_dwordx2 v[5:6], v4, s[26:27] offset:40
	global_load_dwordx2 v[9:10], v4, s[26:27]
	v_mov_b32_e32 v8, v1
	v_mov_b32_e32 v7, v0
	s_waitcnt vmcnt(1)
	v_and_b32_e32 v0, v5, v7
	v_and_b32_e32 v5, v6, v8
	s_waitcnt vmcnt(0)
	v_mad_u64_u32 v[0:1], null, v0, 24, v[9:10]
	v_mad_u64_u32 v[5:6], null, v5, 24, v[1:2]
	v_mov_b32_e32 v1, v5
	global_load_dwordx2 v[5:6], v[0:1], off glc dlc
	s_waitcnt vmcnt(0)
	global_atomic_cmpswap_x2 v[0:1], v4, v[5:8], s[26:27] offset:24 glc
	s_waitcnt vmcnt(0)
	buffer_gl1_inv
	buffer_gl0_inv
	v_cmp_eq_u64_e32 vcc_lo, v[0:1], v[7:8]
	s_or_b32 s7, vcc_lo, s7
	s_andn2_b32 exec_lo, exec_lo, s7
	s_cbranch_execnz .LBB5_938
; %bb.939:
	s_or_b32 exec_lo, exec_lo, s7
.LBB5_940:
	s_or_b32 exec_lo, exec_lo, s6
.LBB5_941:
	s_or_b32 exec_lo, exec_lo, s5
	v_mov_b32_e32 v5, 0
	v_readfirstlane_b32 s6, v0
	v_readfirstlane_b32 s7, v1
	s_mov_b32 s5, exec_lo
	s_clause 0x1
	global_load_dwordx2 v[10:11], v5, s[26:27] offset:40
	global_load_dwordx4 v[6:9], v5, s[26:27]
	s_waitcnt vmcnt(1)
	v_readfirstlane_b32 s10, v10
	v_readfirstlane_b32 s11, v11
	s_and_b64 s[10:11], s[6:7], s[10:11]
	s_mul_i32 s16, s11, 24
	s_mul_hi_u32 s17, s10, 24
	s_mul_i32 s18, s10, 24
	s_add_i32 s17, s17, s16
	s_waitcnt vmcnt(0)
	v_add_co_u32 v10, vcc_lo, v6, s18
	v_add_co_ci_u32_e32 v11, vcc_lo, s17, v7, vcc_lo
	s_and_saveexec_b32 s16, s4
	s_cbranch_execz .LBB5_943
; %bb.942:
	v_mov_b32_e32 v4, s5
	v_mov_b32_e32 v13, v5
	;; [unrolled: 1-line block ×5, first 2 shown]
	global_store_dwordx4 v[10:11], v[12:15], off offset:8
.LBB5_943:
	s_or_b32 exec_lo, exec_lo, s16
	s_lshl_b64 s[10:11], s[10:11], 12
	s_mov_b32 s16, 0
	v_add_co_u32 v0, vcc_lo, v8, s10
	v_add_co_ci_u32_e32 v1, vcc_lo, s11, v9, vcc_lo
	s_mov_b32 s17, s16
	s_mov_b32 s18, s16
	s_mov_b32 s19, s16
	v_and_or_b32 v2, 0xffffff1d, v2, 34
	v_mov_b32_e32 v4, 0x31e
	v_readfirstlane_b32 s10, v0
	v_readfirstlane_b32 s11, v1
	v_mov_b32_e32 v12, s16
	v_mov_b32_e32 v13, s17
	;; [unrolled: 1-line block ×4, first 2 shown]
	global_store_dwordx4 v39, v[2:5], s[10:11]
	global_store_dwordx4 v39, v[12:15], s[10:11] offset:16
	global_store_dwordx4 v39, v[12:15], s[10:11] offset:32
	;; [unrolled: 1-line block ×3, first 2 shown]
	s_and_saveexec_b32 s5, s4
	s_cbranch_execz .LBB5_951
; %bb.944:
	v_mov_b32_e32 v8, 0
	v_mov_b32_e32 v12, s6
	;; [unrolled: 1-line block ×3, first 2 shown]
	s_clause 0x1
	global_load_dwordx2 v[14:15], v8, s[26:27] offset:32 glc dlc
	global_load_dwordx2 v[0:1], v8, s[26:27] offset:40
	s_waitcnt vmcnt(0)
	v_readfirstlane_b32 s10, v0
	v_readfirstlane_b32 s11, v1
	s_and_b64 s[10:11], s[10:11], s[6:7]
	s_mul_i32 s11, s11, 24
	s_mul_hi_u32 s16, s10, 24
	s_mul_i32 s10, s10, 24
	s_add_i32 s16, s16, s11
	v_add_co_u32 v4, vcc_lo, v6, s10
	v_add_co_ci_u32_e32 v5, vcc_lo, s16, v7, vcc_lo
	s_mov_b32 s10, exec_lo
	global_store_dwordx2 v[4:5], v[14:15], off
	s_waitcnt_vscnt null, 0x0
	global_atomic_cmpswap_x2 v[2:3], v8, v[12:15], s[26:27] offset:32 glc
	s_waitcnt vmcnt(0)
	v_cmpx_ne_u64_e64 v[2:3], v[14:15]
	s_cbranch_execz .LBB5_947
; %bb.945:
	s_mov_b32 s11, 0
.LBB5_946:                              ; =>This Inner Loop Header: Depth=1
	v_mov_b32_e32 v0, s6
	v_mov_b32_e32 v1, s7
	s_sleep 1
	global_store_dwordx2 v[4:5], v[2:3], off
	s_waitcnt_vscnt null, 0x0
	global_atomic_cmpswap_x2 v[0:1], v8, v[0:3], s[26:27] offset:32 glc
	s_waitcnt vmcnt(0)
	v_cmp_eq_u64_e32 vcc_lo, v[0:1], v[2:3]
	v_mov_b32_e32 v3, v1
	v_mov_b32_e32 v2, v0
	s_or_b32 s11, vcc_lo, s11
	s_andn2_b32 exec_lo, exec_lo, s11
	s_cbranch_execnz .LBB5_946
.LBB5_947:
	s_or_b32 exec_lo, exec_lo, s10
	v_mov_b32_e32 v3, 0
	s_mov_b32 s11, exec_lo
	s_mov_b32 s10, exec_lo
	v_mbcnt_lo_u32_b32 v2, s11, 0
	global_load_dwordx2 v[0:1], v3, s[26:27] offset:16
	v_cmpx_eq_u32_e32 0, v2
	s_cbranch_execz .LBB5_949
; %bb.948:
	s_bcnt1_i32_b32 s11, s11
	v_mov_b32_e32 v2, s11
	s_waitcnt vmcnt(0)
	global_atomic_add_x2 v[0:1], v[2:3], off offset:8
.LBB5_949:
	s_or_b32 exec_lo, exec_lo, s10
	s_waitcnt vmcnt(0)
	global_load_dwordx2 v[2:3], v[0:1], off offset:16
	s_waitcnt vmcnt(0)
	v_cmp_eq_u64_e32 vcc_lo, 0, v[2:3]
	s_cbranch_vccnz .LBB5_951
; %bb.950:
	global_load_dword v0, v[0:1], off offset:24
	v_mov_b32_e32 v1, 0
	s_waitcnt vmcnt(0)
	v_and_b32_e32 v4, 0x7fffff, v0
	s_waitcnt_vscnt null, 0x0
	global_store_dwordx2 v[2:3], v[0:1], off
	v_readfirstlane_b32 m0, v4
	s_sendmsg sendmsg(MSG_INTERRUPT)
.LBB5_951:
	s_or_b32 exec_lo, exec_lo, s5
	s_branch .LBB5_955
	.p2align	6
.LBB5_952:                              ;   in Loop: Header=BB5_955 Depth=1
	s_or_b32 exec_lo, exec_lo, s5
	v_readfirstlane_b32 s5, v0
	s_cmp_eq_u32 s5, 0
	s_cbranch_scc1 .LBB5_954
; %bb.953:                              ;   in Loop: Header=BB5_955 Depth=1
	s_sleep 1
	s_cbranch_execnz .LBB5_955
	s_branch .LBB5_957
	.p2align	6
.LBB5_954:
	s_branch .LBB5_957
.LBB5_955:                              ; =>This Inner Loop Header: Depth=1
	v_mov_b32_e32 v0, 1
	s_and_saveexec_b32 s5, s4
	s_cbranch_execz .LBB5_952
; %bb.956:                              ;   in Loop: Header=BB5_955 Depth=1
	global_load_dword v0, v[10:11], off offset:20 glc dlc
	s_waitcnt vmcnt(0)
	buffer_gl1_inv
	buffer_gl0_inv
	v_and_b32_e32 v0, 1, v0
	s_branch .LBB5_952
.LBB5_957:
	s_and_saveexec_b32 s5, s4
	s_cbranch_execz .LBB5_961
; %bb.958:
	v_mov_b32_e32 v6, 0
	s_clause 0x2
	global_load_dwordx2 v[2:3], v6, s[26:27] offset:40
	global_load_dwordx2 v[7:8], v6, s[26:27] offset:24 glc dlc
	global_load_dwordx2 v[4:5], v6, s[26:27]
	s_waitcnt vmcnt(2)
	v_add_co_u32 v9, vcc_lo, v2, 1
	v_add_co_ci_u32_e32 v10, vcc_lo, 0, v3, vcc_lo
	v_add_co_u32 v0, vcc_lo, v9, s6
	v_add_co_ci_u32_e32 v1, vcc_lo, s7, v10, vcc_lo
	v_cmp_eq_u64_e32 vcc_lo, 0, v[0:1]
	v_cndmask_b32_e32 v1, v1, v10, vcc_lo
	v_cndmask_b32_e32 v0, v0, v9, vcc_lo
	v_and_b32_e32 v3, v1, v3
	v_and_b32_e32 v2, v0, v2
	v_mul_lo_u32 v3, v3, 24
	v_mul_hi_u32 v9, v2, 24
	v_mul_lo_u32 v2, v2, 24
	v_add_nc_u32_e32 v3, v9, v3
	s_waitcnt vmcnt(0)
	v_add_co_u32 v4, vcc_lo, v4, v2
	v_mov_b32_e32 v2, v7
	v_add_co_ci_u32_e32 v5, vcc_lo, v5, v3, vcc_lo
	v_mov_b32_e32 v3, v8
	global_store_dwordx2 v[4:5], v[7:8], off
	s_waitcnt_vscnt null, 0x0
	global_atomic_cmpswap_x2 v[2:3], v6, v[0:3], s[26:27] offset:24 glc
	s_waitcnt vmcnt(0)
	v_cmp_ne_u64_e32 vcc_lo, v[2:3], v[7:8]
	s_and_b32 exec_lo, exec_lo, vcc_lo
	s_cbranch_execz .LBB5_961
; %bb.959:
	s_mov_b32 s4, 0
.LBB5_960:                              ; =>This Inner Loop Header: Depth=1
	s_sleep 1
	global_store_dwordx2 v[4:5], v[2:3], off
	s_waitcnt_vscnt null, 0x0
	global_atomic_cmpswap_x2 v[7:8], v6, v[0:3], s[26:27] offset:24 glc
	s_waitcnt vmcnt(0)
	v_cmp_eq_u64_e32 vcc_lo, v[7:8], v[2:3]
	v_mov_b32_e32 v2, v7
	v_mov_b32_e32 v3, v8
	s_or_b32 s4, vcc_lo, s4
	s_andn2_b32 exec_lo, exec_lo, s4
	s_cbranch_execnz .LBB5_960
.LBB5_961:
	s_or_b32 exec_lo, exec_lo, s5
	v_readfirstlane_b32 s4, v48
	v_mov_b32_e32 v6, 0
	v_mov_b32_e32 v7, 0
	v_cmp_eq_u32_e64 s4, s4, v48
	s_and_saveexec_b32 s5, s4
	s_cbranch_execz .LBB5_967
; %bb.962:
	v_mov_b32_e32 v0, 0
	s_mov_b32 s6, exec_lo
	global_load_dwordx2 v[3:4], v0, s[26:27] offset:24 glc dlc
	s_waitcnt vmcnt(0)
	buffer_gl1_inv
	buffer_gl0_inv
	s_clause 0x1
	global_load_dwordx2 v[1:2], v0, s[26:27] offset:40
	global_load_dwordx2 v[5:6], v0, s[26:27]
	s_waitcnt vmcnt(1)
	v_and_b32_e32 v2, v2, v4
	v_and_b32_e32 v1, v1, v3
	v_mul_lo_u32 v2, v2, 24
	v_mul_hi_u32 v7, v1, 24
	v_mul_lo_u32 v1, v1, 24
	v_add_nc_u32_e32 v2, v7, v2
	s_waitcnt vmcnt(0)
	v_add_co_u32 v1, vcc_lo, v5, v1
	v_add_co_ci_u32_e32 v2, vcc_lo, v6, v2, vcc_lo
	global_load_dwordx2 v[1:2], v[1:2], off glc dlc
	s_waitcnt vmcnt(0)
	global_atomic_cmpswap_x2 v[6:7], v0, v[1:4], s[26:27] offset:24 glc
	s_waitcnt vmcnt(0)
	buffer_gl1_inv
	buffer_gl0_inv
	v_cmpx_ne_u64_e64 v[6:7], v[3:4]
	s_cbranch_execz .LBB5_966
; %bb.963:
	s_mov_b32 s7, 0
	.p2align	6
.LBB5_964:                              ; =>This Inner Loop Header: Depth=1
	s_sleep 1
	s_clause 0x1
	global_load_dwordx2 v[1:2], v0, s[26:27] offset:40
	global_load_dwordx2 v[8:9], v0, s[26:27]
	v_mov_b32_e32 v3, v6
	v_mov_b32_e32 v4, v7
	s_waitcnt vmcnt(1)
	v_and_b32_e32 v1, v1, v3
	v_and_b32_e32 v2, v2, v4
	s_waitcnt vmcnt(0)
	v_mad_u64_u32 v[5:6], null, v1, 24, v[8:9]
	v_mov_b32_e32 v1, v6
	v_mad_u64_u32 v[1:2], null, v2, 24, v[1:2]
	v_mov_b32_e32 v6, v1
	global_load_dwordx2 v[1:2], v[5:6], off glc dlc
	s_waitcnt vmcnt(0)
	global_atomic_cmpswap_x2 v[6:7], v0, v[1:4], s[26:27] offset:24 glc
	s_waitcnt vmcnt(0)
	buffer_gl1_inv
	buffer_gl0_inv
	v_cmp_eq_u64_e32 vcc_lo, v[6:7], v[3:4]
	s_or_b32 s7, vcc_lo, s7
	s_andn2_b32 exec_lo, exec_lo, s7
	s_cbranch_execnz .LBB5_964
; %bb.965:
	s_or_b32 exec_lo, exec_lo, s7
.LBB5_966:
	s_or_b32 exec_lo, exec_lo, s6
.LBB5_967:
	s_or_b32 exec_lo, exec_lo, s5
	v_mov_b32_e32 v5, 0
	v_readfirstlane_b32 s6, v6
	v_readfirstlane_b32 s7, v7
	s_mov_b32 s5, exec_lo
	s_clause 0x1
	global_load_dwordx2 v[8:9], v5, s[26:27] offset:40
	global_load_dwordx4 v[0:3], v5, s[26:27]
	s_waitcnt vmcnt(1)
	v_readfirstlane_b32 s10, v8
	v_readfirstlane_b32 s11, v9
	s_and_b64 s[10:11], s[6:7], s[10:11]
	s_mul_i32 s16, s11, 24
	s_mul_hi_u32 s17, s10, 24
	s_mul_i32 s18, s10, 24
	s_add_i32 s17, s17, s16
	s_waitcnt vmcnt(0)
	v_add_co_u32 v8, vcc_lo, v0, s18
	v_add_co_ci_u32_e32 v9, vcc_lo, s17, v1, vcc_lo
	s_and_saveexec_b32 s16, s4
	s_cbranch_execz .LBB5_969
; %bb.968:
	v_mov_b32_e32 v4, s5
	v_mov_b32_e32 v6, 2
	;; [unrolled: 1-line block ×3, first 2 shown]
	global_store_dwordx4 v[8:9], v[4:7], off offset:8
.LBB5_969:
	s_or_b32 exec_lo, exec_lo, s16
	s_lshl_b64 s[10:11], s[10:11], 12
	s_mov_b32 s16, 0
	v_add_co_u32 v2, vcc_lo, v2, s10
	v_add_co_ci_u32_e32 v3, vcc_lo, s11, v3, vcc_lo
	s_mov_b32 s17, s16
	v_add_co_u32 v10, vcc_lo, v2, v39
	s_mov_b32 s18, s16
	s_mov_b32 s19, s16
	v_mov_b32_e32 v4, 33
	v_mov_b32_e32 v6, v5
	;; [unrolled: 1-line block ×3, first 2 shown]
	v_readfirstlane_b32 s10, v2
	v_readfirstlane_b32 s11, v3
	v_mov_b32_e32 v12, s16
	v_add_co_ci_u32_e32 v11, vcc_lo, 0, v3, vcc_lo
	v_mov_b32_e32 v13, s17
	v_mov_b32_e32 v14, s18
	;; [unrolled: 1-line block ×3, first 2 shown]
	global_store_dwordx4 v39, v[4:7], s[10:11]
	global_store_dwordx4 v39, v[12:15], s[10:11] offset:16
	global_store_dwordx4 v39, v[12:15], s[10:11] offset:32
	;; [unrolled: 1-line block ×3, first 2 shown]
	s_and_saveexec_b32 s5, s4
	s_cbranch_execz .LBB5_977
; %bb.970:
	v_mov_b32_e32 v6, 0
	v_mov_b32_e32 v12, s6
	;; [unrolled: 1-line block ×3, first 2 shown]
	s_clause 0x1
	global_load_dwordx2 v[14:15], v6, s[26:27] offset:32 glc dlc
	global_load_dwordx2 v[2:3], v6, s[26:27] offset:40
	s_waitcnt vmcnt(0)
	v_readfirstlane_b32 s10, v2
	v_readfirstlane_b32 s11, v3
	s_and_b64 s[10:11], s[10:11], s[6:7]
	s_mul_i32 s11, s11, 24
	s_mul_hi_u32 s16, s10, 24
	s_mul_i32 s10, s10, 24
	s_add_i32 s16, s16, s11
	v_add_co_u32 v4, vcc_lo, v0, s10
	v_add_co_ci_u32_e32 v5, vcc_lo, s16, v1, vcc_lo
	s_mov_b32 s10, exec_lo
	global_store_dwordx2 v[4:5], v[14:15], off
	s_waitcnt_vscnt null, 0x0
	global_atomic_cmpswap_x2 v[2:3], v6, v[12:15], s[26:27] offset:32 glc
	s_waitcnt vmcnt(0)
	v_cmpx_ne_u64_e64 v[2:3], v[14:15]
	s_cbranch_execz .LBB5_973
; %bb.971:
	s_mov_b32 s11, 0
.LBB5_972:                              ; =>This Inner Loop Header: Depth=1
	v_mov_b32_e32 v0, s6
	v_mov_b32_e32 v1, s7
	s_sleep 1
	global_store_dwordx2 v[4:5], v[2:3], off
	s_waitcnt_vscnt null, 0x0
	global_atomic_cmpswap_x2 v[0:1], v6, v[0:3], s[26:27] offset:32 glc
	s_waitcnt vmcnt(0)
	v_cmp_eq_u64_e32 vcc_lo, v[0:1], v[2:3]
	v_mov_b32_e32 v3, v1
	v_mov_b32_e32 v2, v0
	s_or_b32 s11, vcc_lo, s11
	s_andn2_b32 exec_lo, exec_lo, s11
	s_cbranch_execnz .LBB5_972
.LBB5_973:
	s_or_b32 exec_lo, exec_lo, s10
	v_mov_b32_e32 v3, 0
	s_mov_b32 s11, exec_lo
	s_mov_b32 s10, exec_lo
	v_mbcnt_lo_u32_b32 v2, s11, 0
	global_load_dwordx2 v[0:1], v3, s[26:27] offset:16
	v_cmpx_eq_u32_e32 0, v2
	s_cbranch_execz .LBB5_975
; %bb.974:
	s_bcnt1_i32_b32 s11, s11
	v_mov_b32_e32 v2, s11
	s_waitcnt vmcnt(0)
	global_atomic_add_x2 v[0:1], v[2:3], off offset:8
.LBB5_975:
	s_or_b32 exec_lo, exec_lo, s10
	s_waitcnt vmcnt(0)
	global_load_dwordx2 v[2:3], v[0:1], off offset:16
	s_waitcnt vmcnt(0)
	v_cmp_eq_u64_e32 vcc_lo, 0, v[2:3]
	s_cbranch_vccnz .LBB5_977
; %bb.976:
	global_load_dword v0, v[0:1], off offset:24
	v_mov_b32_e32 v1, 0
	s_waitcnt vmcnt(0)
	v_and_b32_e32 v4, 0x7fffff, v0
	s_waitcnt_vscnt null, 0x0
	global_store_dwordx2 v[2:3], v[0:1], off
	v_readfirstlane_b32 m0, v4
	s_sendmsg sendmsg(MSG_INTERRUPT)
.LBB5_977:
	s_or_b32 exec_lo, exec_lo, s5
	s_branch .LBB5_981
	.p2align	6
.LBB5_978:                              ;   in Loop: Header=BB5_981 Depth=1
	s_or_b32 exec_lo, exec_lo, s5
	v_readfirstlane_b32 s5, v0
	s_cmp_eq_u32 s5, 0
	s_cbranch_scc1 .LBB5_980
; %bb.979:                              ;   in Loop: Header=BB5_981 Depth=1
	s_sleep 1
	s_cbranch_execnz .LBB5_981
	s_branch .LBB5_983
	.p2align	6
.LBB5_980:
	s_branch .LBB5_983
.LBB5_981:                              ; =>This Inner Loop Header: Depth=1
	v_mov_b32_e32 v0, 1
	s_and_saveexec_b32 s5, s4
	s_cbranch_execz .LBB5_978
; %bb.982:                              ;   in Loop: Header=BB5_981 Depth=1
	global_load_dword v0, v[8:9], off offset:20 glc dlc
	s_waitcnt vmcnt(0)
	buffer_gl1_inv
	buffer_gl0_inv
	v_and_b32_e32 v0, 1, v0
	s_branch .LBB5_978
.LBB5_983:
	global_load_dwordx2 v[0:1], v[10:11], off
	s_and_saveexec_b32 s5, s4
	s_cbranch_execz .LBB5_987
; %bb.984:
	v_mov_b32_e32 v8, 0
	s_clause 0x2
	global_load_dwordx2 v[4:5], v8, s[26:27] offset:40
	global_load_dwordx2 v[9:10], v8, s[26:27] offset:24 glc dlc
	global_load_dwordx2 v[6:7], v8, s[26:27]
	s_waitcnt vmcnt(2)
	v_add_co_u32 v11, vcc_lo, v4, 1
	v_add_co_ci_u32_e32 v12, vcc_lo, 0, v5, vcc_lo
	v_add_co_u32 v2, vcc_lo, v11, s6
	v_add_co_ci_u32_e32 v3, vcc_lo, s7, v12, vcc_lo
	v_cmp_eq_u64_e32 vcc_lo, 0, v[2:3]
	v_cndmask_b32_e32 v3, v3, v12, vcc_lo
	v_cndmask_b32_e32 v2, v2, v11, vcc_lo
	v_and_b32_e32 v5, v3, v5
	v_and_b32_e32 v4, v2, v4
	v_mul_lo_u32 v5, v5, 24
	v_mul_hi_u32 v11, v4, 24
	v_mul_lo_u32 v4, v4, 24
	v_add_nc_u32_e32 v5, v11, v5
	s_waitcnt vmcnt(0)
	v_add_co_u32 v6, vcc_lo, v6, v4
	v_mov_b32_e32 v4, v9
	v_add_co_ci_u32_e32 v7, vcc_lo, v7, v5, vcc_lo
	v_mov_b32_e32 v5, v10
	global_store_dwordx2 v[6:7], v[9:10], off
	s_waitcnt_vscnt null, 0x0
	global_atomic_cmpswap_x2 v[4:5], v8, v[2:5], s[26:27] offset:24 glc
	s_waitcnt vmcnt(0)
	v_cmp_ne_u64_e32 vcc_lo, v[4:5], v[9:10]
	s_and_b32 exec_lo, exec_lo, vcc_lo
	s_cbranch_execz .LBB5_987
; %bb.985:
	s_mov_b32 s4, 0
.LBB5_986:                              ; =>This Inner Loop Header: Depth=1
	s_sleep 1
	global_store_dwordx2 v[6:7], v[4:5], off
	s_waitcnt_vscnt null, 0x0
	global_atomic_cmpswap_x2 v[9:10], v8, v[2:5], s[26:27] offset:24 glc
	s_waitcnt vmcnt(0)
	v_cmp_eq_u64_e32 vcc_lo, v[9:10], v[4:5]
	v_mov_b32_e32 v4, v9
	v_mov_b32_e32 v5, v10
	s_or_b32 s4, vcc_lo, s4
	s_andn2_b32 exec_lo, exec_lo, s4
	s_cbranch_execnz .LBB5_986
.LBB5_987:
	s_or_b32 exec_lo, exec_lo, s5
	s_and_b32 vcc_lo, exec_lo, s34
	s_cbranch_vccz .LBB5_1066
; %bb.988:
	s_waitcnt vmcnt(0)
	v_and_b32_e32 v31, 2, v0
	v_mov_b32_e32 v6, 0
	v_and_b32_e32 v2, -3, v0
	v_mov_b32_e32 v3, v1
	v_mov_b32_e32 v7, 2
	;; [unrolled: 1-line block ×3, first 2 shown]
	s_mov_b64 s[10:11], 3
	s_getpc_b64 s[6:7]
	s_add_u32 s6, s6, .str.6@rel32@lo+4
	s_addc_u32 s7, s7, .str.6@rel32@hi+12
	s_branch .LBB5_990
.LBB5_989:                              ;   in Loop: Header=BB5_990 Depth=1
	s_or_b32 exec_lo, exec_lo, s5
	s_sub_u32 s10, s10, s16
	s_subb_u32 s11, s11, s17
	s_add_u32 s6, s6, s16
	s_addc_u32 s7, s7, s17
	s_cmp_lg_u64 s[10:11], 0
	s_cbranch_scc0 .LBB5_1065
.LBB5_990:                              ; =>This Loop Header: Depth=1
                                        ;     Child Loop BB5_999 Depth 2
                                        ;     Child Loop BB5_995 Depth 2
	;; [unrolled: 1-line block ×11, first 2 shown]
	v_cmp_lt_u64_e64 s4, s[10:11], 56
	v_cmp_gt_u64_e64 s5, s[10:11], 7
                                        ; implicit-def: $vgpr11_vgpr12
                                        ; implicit-def: $sgpr22
	s_and_b32 s4, s4, exec_lo
	s_cselect_b32 s17, s11, 0
	s_cselect_b32 s16, s10, 56
	s_and_b32 vcc_lo, exec_lo, s5
	s_mov_b32 s4, -1
	s_cbranch_vccz .LBB5_997
; %bb.991:                              ;   in Loop: Header=BB5_990 Depth=1
	s_andn2_b32 vcc_lo, exec_lo, s4
	s_mov_b64 s[4:5], s[6:7]
	s_cbranch_vccz .LBB5_1001
.LBB5_992:                              ;   in Loop: Header=BB5_990 Depth=1
	s_cmp_gt_u32 s22, 7
	s_cbranch_scc1 .LBB5_1002
.LBB5_993:                              ;   in Loop: Header=BB5_990 Depth=1
	v_mov_b32_e32 v13, 0
	v_mov_b32_e32 v14, 0
	s_cmp_eq_u32 s22, 0
	s_cbranch_scc1 .LBB5_996
; %bb.994:                              ;   in Loop: Header=BB5_990 Depth=1
	s_mov_b64 s[18:19], 0
	s_mov_b64 s[20:21], 0
.LBB5_995:                              ;   Parent Loop BB5_990 Depth=1
                                        ; =>  This Inner Loop Header: Depth=2
	s_add_u32 s24, s4, s20
	s_addc_u32 s25, s5, s21
	s_add_u32 s20, s20, 1
	global_load_ubyte v4, v6, s[24:25]
	s_addc_u32 s21, s21, 0
	s_waitcnt vmcnt(0)
	v_and_b32_e32 v5, 0xffff, v4
	v_lshlrev_b64 v[4:5], s18, v[5:6]
	s_add_u32 s18, s18, 8
	s_addc_u32 s19, s19, 0
	s_cmp_lg_u32 s22, s20
	v_or_b32_e32 v13, v4, v13
	v_or_b32_e32 v14, v5, v14
	s_cbranch_scc1 .LBB5_995
.LBB5_996:                              ;   in Loop: Header=BB5_990 Depth=1
	s_mov_b32 s23, 0
	s_cbranch_execz .LBB5_1003
	s_branch .LBB5_1004
.LBB5_997:                              ;   in Loop: Header=BB5_990 Depth=1
	v_mov_b32_e32 v11, 0
	v_mov_b32_e32 v12, 0
	s_cmp_eq_u64 s[10:11], 0
	s_mov_b64 s[4:5], 0
	s_cbranch_scc1 .LBB5_1000
; %bb.998:                              ;   in Loop: Header=BB5_990 Depth=1
	v_mov_b32_e32 v11, 0
	v_mov_b32_e32 v12, 0
	s_lshl_b64 s[18:19], s[16:17], 3
	s_mov_b64 s[20:21], s[6:7]
.LBB5_999:                              ;   Parent Loop BB5_990 Depth=1
                                        ; =>  This Inner Loop Header: Depth=2
	global_load_ubyte v4, v6, s[20:21]
	s_waitcnt vmcnt(0)
	v_and_b32_e32 v5, 0xffff, v4
	v_lshlrev_b64 v[4:5], s4, v[5:6]
	s_add_u32 s4, s4, 8
	s_addc_u32 s5, s5, 0
	s_add_u32 s20, s20, 1
	s_addc_u32 s21, s21, 0
	s_cmp_lg_u32 s18, s4
	v_or_b32_e32 v11, v4, v11
	v_or_b32_e32 v12, v5, v12
	s_cbranch_scc1 .LBB5_999
.LBB5_1000:                             ;   in Loop: Header=BB5_990 Depth=1
	s_mov_b32 s22, 0
	s_mov_b64 s[4:5], s[6:7]
	s_cbranch_execnz .LBB5_992
.LBB5_1001:                             ;   in Loop: Header=BB5_990 Depth=1
	global_load_dwordx2 v[11:12], v6, s[6:7]
	s_add_i32 s22, s16, -8
	s_add_u32 s4, s6, 8
	s_addc_u32 s5, s7, 0
	s_cmp_gt_u32 s22, 7
	s_cbranch_scc0 .LBB5_993
.LBB5_1002:                             ;   in Loop: Header=BB5_990 Depth=1
                                        ; implicit-def: $vgpr13_vgpr14
                                        ; implicit-def: $sgpr23
.LBB5_1003:                             ;   in Loop: Header=BB5_990 Depth=1
	global_load_dwordx2 v[13:14], v6, s[4:5]
	s_add_i32 s23, s22, -8
	s_add_u32 s4, s4, 8
	s_addc_u32 s5, s5, 0
.LBB5_1004:                             ;   in Loop: Header=BB5_990 Depth=1
	s_cmp_gt_u32 s23, 7
	s_cbranch_scc1 .LBB5_1009
; %bb.1005:                             ;   in Loop: Header=BB5_990 Depth=1
	v_mov_b32_e32 v15, 0
	v_mov_b32_e32 v16, 0
	s_cmp_eq_u32 s23, 0
	s_cbranch_scc1 .LBB5_1008
; %bb.1006:                             ;   in Loop: Header=BB5_990 Depth=1
	s_mov_b64 s[18:19], 0
	s_mov_b64 s[20:21], 0
.LBB5_1007:                             ;   Parent Loop BB5_990 Depth=1
                                        ; =>  This Inner Loop Header: Depth=2
	s_add_u32 s24, s4, s20
	s_addc_u32 s25, s5, s21
	s_add_u32 s20, s20, 1
	global_load_ubyte v4, v6, s[24:25]
	s_addc_u32 s21, s21, 0
	s_waitcnt vmcnt(0)
	v_and_b32_e32 v5, 0xffff, v4
	v_lshlrev_b64 v[4:5], s18, v[5:6]
	s_add_u32 s18, s18, 8
	s_addc_u32 s19, s19, 0
	s_cmp_lg_u32 s23, s20
	v_or_b32_e32 v15, v4, v15
	v_or_b32_e32 v16, v5, v16
	s_cbranch_scc1 .LBB5_1007
.LBB5_1008:                             ;   in Loop: Header=BB5_990 Depth=1
	s_mov_b32 s22, 0
	s_cbranch_execz .LBB5_1010
	s_branch .LBB5_1011
.LBB5_1009:                             ;   in Loop: Header=BB5_990 Depth=1
                                        ; implicit-def: $sgpr22
.LBB5_1010:                             ;   in Loop: Header=BB5_990 Depth=1
	global_load_dwordx2 v[15:16], v6, s[4:5]
	s_add_i32 s22, s23, -8
	s_add_u32 s4, s4, 8
	s_addc_u32 s5, s5, 0
.LBB5_1011:                             ;   in Loop: Header=BB5_990 Depth=1
	s_cmp_gt_u32 s22, 7
	s_cbranch_scc1 .LBB5_1016
; %bb.1012:                             ;   in Loop: Header=BB5_990 Depth=1
	v_mov_b32_e32 v17, 0
	v_mov_b32_e32 v18, 0
	s_cmp_eq_u32 s22, 0
	s_cbranch_scc1 .LBB5_1015
; %bb.1013:                             ;   in Loop: Header=BB5_990 Depth=1
	s_mov_b64 s[18:19], 0
	s_mov_b64 s[20:21], 0
.LBB5_1014:                             ;   Parent Loop BB5_990 Depth=1
                                        ; =>  This Inner Loop Header: Depth=2
	s_add_u32 s24, s4, s20
	s_addc_u32 s25, s5, s21
	s_add_u32 s20, s20, 1
	global_load_ubyte v4, v6, s[24:25]
	s_addc_u32 s21, s21, 0
	s_waitcnt vmcnt(0)
	v_and_b32_e32 v5, 0xffff, v4
	v_lshlrev_b64 v[4:5], s18, v[5:6]
	s_add_u32 s18, s18, 8
	s_addc_u32 s19, s19, 0
	s_cmp_lg_u32 s22, s20
	v_or_b32_e32 v17, v4, v17
	v_or_b32_e32 v18, v5, v18
	s_cbranch_scc1 .LBB5_1014
.LBB5_1015:                             ;   in Loop: Header=BB5_990 Depth=1
	s_mov_b32 s23, 0
	s_cbranch_execz .LBB5_1017
	s_branch .LBB5_1018
.LBB5_1016:                             ;   in Loop: Header=BB5_990 Depth=1
                                        ; implicit-def: $vgpr17_vgpr18
                                        ; implicit-def: $sgpr23
.LBB5_1017:                             ;   in Loop: Header=BB5_990 Depth=1
	global_load_dwordx2 v[17:18], v6, s[4:5]
	s_add_i32 s23, s22, -8
	s_add_u32 s4, s4, 8
	s_addc_u32 s5, s5, 0
.LBB5_1018:                             ;   in Loop: Header=BB5_990 Depth=1
	s_cmp_gt_u32 s23, 7
	s_cbranch_scc1 .LBB5_1023
; %bb.1019:                             ;   in Loop: Header=BB5_990 Depth=1
	v_mov_b32_e32 v19, 0
	v_mov_b32_e32 v20, 0
	s_cmp_eq_u32 s23, 0
	s_cbranch_scc1 .LBB5_1022
; %bb.1020:                             ;   in Loop: Header=BB5_990 Depth=1
	s_mov_b64 s[18:19], 0
	s_mov_b64 s[20:21], 0
.LBB5_1021:                             ;   Parent Loop BB5_990 Depth=1
                                        ; =>  This Inner Loop Header: Depth=2
	s_add_u32 s24, s4, s20
	s_addc_u32 s25, s5, s21
	s_add_u32 s20, s20, 1
	global_load_ubyte v4, v6, s[24:25]
	s_addc_u32 s21, s21, 0
	s_waitcnt vmcnt(0)
	v_and_b32_e32 v5, 0xffff, v4
	v_lshlrev_b64 v[4:5], s18, v[5:6]
	s_add_u32 s18, s18, 8
	s_addc_u32 s19, s19, 0
	s_cmp_lg_u32 s23, s20
	v_or_b32_e32 v19, v4, v19
	v_or_b32_e32 v20, v5, v20
	s_cbranch_scc1 .LBB5_1021
.LBB5_1022:                             ;   in Loop: Header=BB5_990 Depth=1
	s_mov_b32 s22, 0
	s_cbranch_execz .LBB5_1024
	s_branch .LBB5_1025
.LBB5_1023:                             ;   in Loop: Header=BB5_990 Depth=1
                                        ; implicit-def: $sgpr22
.LBB5_1024:                             ;   in Loop: Header=BB5_990 Depth=1
	global_load_dwordx2 v[19:20], v6, s[4:5]
	s_add_i32 s22, s23, -8
	s_add_u32 s4, s4, 8
	s_addc_u32 s5, s5, 0
.LBB5_1025:                             ;   in Loop: Header=BB5_990 Depth=1
	s_cmp_gt_u32 s22, 7
	s_cbranch_scc1 .LBB5_1030
; %bb.1026:                             ;   in Loop: Header=BB5_990 Depth=1
	v_mov_b32_e32 v21, 0
	v_mov_b32_e32 v22, 0
	s_cmp_eq_u32 s22, 0
	s_cbranch_scc1 .LBB5_1029
; %bb.1027:                             ;   in Loop: Header=BB5_990 Depth=1
	s_mov_b64 s[18:19], 0
	s_mov_b64 s[20:21], 0
.LBB5_1028:                             ;   Parent Loop BB5_990 Depth=1
                                        ; =>  This Inner Loop Header: Depth=2
	s_add_u32 s24, s4, s20
	s_addc_u32 s25, s5, s21
	s_add_u32 s20, s20, 1
	global_load_ubyte v4, v6, s[24:25]
	s_addc_u32 s21, s21, 0
	s_waitcnt vmcnt(0)
	v_and_b32_e32 v5, 0xffff, v4
	v_lshlrev_b64 v[4:5], s18, v[5:6]
	s_add_u32 s18, s18, 8
	s_addc_u32 s19, s19, 0
	s_cmp_lg_u32 s22, s20
	v_or_b32_e32 v21, v4, v21
	v_or_b32_e32 v22, v5, v22
	s_cbranch_scc1 .LBB5_1028
.LBB5_1029:                             ;   in Loop: Header=BB5_990 Depth=1
	s_mov_b32 s23, 0
	s_cbranch_execz .LBB5_1031
	s_branch .LBB5_1032
.LBB5_1030:                             ;   in Loop: Header=BB5_990 Depth=1
                                        ; implicit-def: $vgpr21_vgpr22
                                        ; implicit-def: $sgpr23
.LBB5_1031:                             ;   in Loop: Header=BB5_990 Depth=1
	global_load_dwordx2 v[21:22], v6, s[4:5]
	s_add_i32 s23, s22, -8
	s_add_u32 s4, s4, 8
	s_addc_u32 s5, s5, 0
.LBB5_1032:                             ;   in Loop: Header=BB5_990 Depth=1
	s_cmp_gt_u32 s23, 7
	s_cbranch_scc1 .LBB5_1037
; %bb.1033:                             ;   in Loop: Header=BB5_990 Depth=1
	v_mov_b32_e32 v23, 0
	v_mov_b32_e32 v24, 0
	s_cmp_eq_u32 s23, 0
	s_cbranch_scc1 .LBB5_1036
; %bb.1034:                             ;   in Loop: Header=BB5_990 Depth=1
	s_mov_b64 s[18:19], 0
	s_mov_b64 s[20:21], s[4:5]
.LBB5_1035:                             ;   Parent Loop BB5_990 Depth=1
                                        ; =>  This Inner Loop Header: Depth=2
	global_load_ubyte v4, v6, s[20:21]
	s_add_i32 s23, s23, -1
	s_waitcnt vmcnt(0)
	v_and_b32_e32 v5, 0xffff, v4
	v_lshlrev_b64 v[4:5], s18, v[5:6]
	s_add_u32 s18, s18, 8
	s_addc_u32 s19, s19, 0
	s_add_u32 s20, s20, 1
	s_addc_u32 s21, s21, 0
	s_cmp_lg_u32 s23, 0
	v_or_b32_e32 v23, v4, v23
	v_or_b32_e32 v24, v5, v24
	s_cbranch_scc1 .LBB5_1035
.LBB5_1036:                             ;   in Loop: Header=BB5_990 Depth=1
	s_cbranch_execz .LBB5_1038
	s_branch .LBB5_1039
.LBB5_1037:                             ;   in Loop: Header=BB5_990 Depth=1
.LBB5_1038:                             ;   in Loop: Header=BB5_990 Depth=1
	global_load_dwordx2 v[23:24], v6, s[4:5]
.LBB5_1039:                             ;   in Loop: Header=BB5_990 Depth=1
	v_readfirstlane_b32 s4, v48
	s_waitcnt vmcnt(0)
	v_mov_b32_e32 v4, 0
	v_mov_b32_e32 v5, 0
	v_cmp_eq_u32_e64 s4, s4, v48
	s_and_saveexec_b32 s5, s4
	s_cbranch_execz .LBB5_1045
; %bb.1040:                             ;   in Loop: Header=BB5_990 Depth=1
	global_load_dwordx2 v[27:28], v6, s[26:27] offset:24 glc dlc
	s_waitcnt vmcnt(0)
	buffer_gl1_inv
	buffer_gl0_inv
	s_clause 0x1
	global_load_dwordx2 v[4:5], v6, s[26:27] offset:40
	global_load_dwordx2 v[9:10], v6, s[26:27]
	s_mov_b32 s18, exec_lo
	s_waitcnt vmcnt(1)
	v_and_b32_e32 v5, v5, v28
	v_and_b32_e32 v4, v4, v27
	v_mul_lo_u32 v5, v5, 24
	v_mul_hi_u32 v25, v4, 24
	v_mul_lo_u32 v4, v4, 24
	v_add_nc_u32_e32 v5, v25, v5
	s_waitcnt vmcnt(0)
	v_add_co_u32 v4, vcc_lo, v9, v4
	v_add_co_ci_u32_e32 v5, vcc_lo, v10, v5, vcc_lo
	global_load_dwordx2 v[25:26], v[4:5], off glc dlc
	s_waitcnt vmcnt(0)
	global_atomic_cmpswap_x2 v[4:5], v6, v[25:28], s[26:27] offset:24 glc
	s_waitcnt vmcnt(0)
	buffer_gl1_inv
	buffer_gl0_inv
	v_cmpx_ne_u64_e64 v[4:5], v[27:28]
	s_cbranch_execz .LBB5_1044
; %bb.1041:                             ;   in Loop: Header=BB5_990 Depth=1
	s_mov_b32 s19, 0
	.p2align	6
.LBB5_1042:                             ;   Parent Loop BB5_990 Depth=1
                                        ; =>  This Inner Loop Header: Depth=2
	s_sleep 1
	s_clause 0x1
	global_load_dwordx2 v[9:10], v6, s[26:27] offset:40
	global_load_dwordx2 v[25:26], v6, s[26:27]
	v_mov_b32_e32 v28, v5
	v_mov_b32_e32 v27, v4
	s_waitcnt vmcnt(1)
	v_and_b32_e32 v4, v9, v27
	v_and_b32_e32 v9, v10, v28
	s_waitcnt vmcnt(0)
	v_mad_u64_u32 v[4:5], null, v4, 24, v[25:26]
	v_mad_u64_u32 v[9:10], null, v9, 24, v[5:6]
	v_mov_b32_e32 v5, v9
	global_load_dwordx2 v[25:26], v[4:5], off glc dlc
	s_waitcnt vmcnt(0)
	global_atomic_cmpswap_x2 v[4:5], v6, v[25:28], s[26:27] offset:24 glc
	s_waitcnt vmcnt(0)
	buffer_gl1_inv
	buffer_gl0_inv
	v_cmp_eq_u64_e32 vcc_lo, v[4:5], v[27:28]
	s_or_b32 s19, vcc_lo, s19
	s_andn2_b32 exec_lo, exec_lo, s19
	s_cbranch_execnz .LBB5_1042
; %bb.1043:                             ;   in Loop: Header=BB5_990 Depth=1
	s_or_b32 exec_lo, exec_lo, s19
.LBB5_1044:                             ;   in Loop: Header=BB5_990 Depth=1
	s_or_b32 exec_lo, exec_lo, s18
.LBB5_1045:                             ;   in Loop: Header=BB5_990 Depth=1
	s_or_b32 exec_lo, exec_lo, s5
	s_clause 0x1
	global_load_dwordx2 v[9:10], v6, s[26:27] offset:40
	global_load_dwordx4 v[25:28], v6, s[26:27]
	v_readfirstlane_b32 s18, v4
	v_readfirstlane_b32 s19, v5
	s_mov_b32 s5, exec_lo
	s_waitcnt vmcnt(1)
	v_readfirstlane_b32 s20, v9
	v_readfirstlane_b32 s21, v10
	s_and_b64 s[20:21], s[18:19], s[20:21]
	s_mul_i32 s22, s21, 24
	s_mul_hi_u32 s23, s20, 24
	s_mul_i32 s24, s20, 24
	s_add_i32 s23, s23, s22
	s_waitcnt vmcnt(0)
	v_add_co_u32 v29, vcc_lo, v25, s24
	v_add_co_ci_u32_e32 v30, vcc_lo, s23, v26, vcc_lo
	s_and_saveexec_b32 s22, s4
	s_cbranch_execz .LBB5_1047
; %bb.1046:                             ;   in Loop: Header=BB5_990 Depth=1
	v_mov_b32_e32 v5, s5
	global_store_dwordx4 v[29:30], v[5:8], off offset:8
.LBB5_1047:                             ;   in Loop: Header=BB5_990 Depth=1
	s_or_b32 exec_lo, exec_lo, s22
	s_lshl_b64 s[20:21], s[20:21], 12
	v_cmp_gt_u64_e64 vcc_lo, s[10:11], 56
	v_or_b32_e32 v5, v2, v31
	v_add_co_u32 v27, s5, v27, s20
	v_add_co_ci_u32_e64 v28, s5, s21, v28, s5
	s_lshl_b32 s5, s16, 2
	v_or_b32_e32 v4, 0, v3
	v_cndmask_b32_e32 v2, v5, v2, vcc_lo
	s_add_i32 s5, s5, 28
	v_readfirstlane_b32 s20, v27
	s_and_b32 s5, s5, 0x1e0
	v_cndmask_b32_e32 v10, v4, v3, vcc_lo
	v_readfirstlane_b32 s21, v28
	v_and_or_b32 v9, 0xffffff1f, v2, s5
	global_store_dwordx4 v39, v[9:12], s[20:21]
	global_store_dwordx4 v39, v[13:16], s[20:21] offset:16
	global_store_dwordx4 v39, v[17:20], s[20:21] offset:32
	;; [unrolled: 1-line block ×3, first 2 shown]
	s_and_saveexec_b32 s5, s4
	s_cbranch_execz .LBB5_1055
; %bb.1048:                             ;   in Loop: Header=BB5_990 Depth=1
	s_clause 0x1
	global_load_dwordx2 v[13:14], v6, s[26:27] offset:32 glc dlc
	global_load_dwordx2 v[2:3], v6, s[26:27] offset:40
	v_mov_b32_e32 v11, s18
	v_mov_b32_e32 v12, s19
	s_waitcnt vmcnt(0)
	v_readfirstlane_b32 s20, v2
	v_readfirstlane_b32 s21, v3
	s_and_b64 s[20:21], s[20:21], s[18:19]
	s_mul_i32 s21, s21, 24
	s_mul_hi_u32 s22, s20, 24
	s_mul_i32 s20, s20, 24
	s_add_i32 s22, s22, s21
	v_add_co_u32 v9, vcc_lo, v25, s20
	v_add_co_ci_u32_e32 v10, vcc_lo, s22, v26, vcc_lo
	s_mov_b32 s20, exec_lo
	global_store_dwordx2 v[9:10], v[13:14], off
	s_waitcnt_vscnt null, 0x0
	global_atomic_cmpswap_x2 v[4:5], v6, v[11:14], s[26:27] offset:32 glc
	s_waitcnt vmcnt(0)
	v_cmpx_ne_u64_e64 v[4:5], v[13:14]
	s_cbranch_execz .LBB5_1051
; %bb.1049:                             ;   in Loop: Header=BB5_990 Depth=1
	s_mov_b32 s21, 0
.LBB5_1050:                             ;   Parent Loop BB5_990 Depth=1
                                        ; =>  This Inner Loop Header: Depth=2
	v_mov_b32_e32 v2, s18
	v_mov_b32_e32 v3, s19
	s_sleep 1
	global_store_dwordx2 v[9:10], v[4:5], off
	s_waitcnt_vscnt null, 0x0
	global_atomic_cmpswap_x2 v[2:3], v6, v[2:5], s[26:27] offset:32 glc
	s_waitcnt vmcnt(0)
	v_cmp_eq_u64_e32 vcc_lo, v[2:3], v[4:5]
	v_mov_b32_e32 v5, v3
	v_mov_b32_e32 v4, v2
	s_or_b32 s21, vcc_lo, s21
	s_andn2_b32 exec_lo, exec_lo, s21
	s_cbranch_execnz .LBB5_1050
.LBB5_1051:                             ;   in Loop: Header=BB5_990 Depth=1
	s_or_b32 exec_lo, exec_lo, s20
	global_load_dwordx2 v[2:3], v6, s[26:27] offset:16
	s_mov_b32 s21, exec_lo
	s_mov_b32 s20, exec_lo
	v_mbcnt_lo_u32_b32 v4, s21, 0
	v_cmpx_eq_u32_e32 0, v4
	s_cbranch_execz .LBB5_1053
; %bb.1052:                             ;   in Loop: Header=BB5_990 Depth=1
	s_bcnt1_i32_b32 s21, s21
	v_mov_b32_e32 v5, s21
	s_waitcnt vmcnt(0)
	global_atomic_add_x2 v[2:3], v[5:6], off offset:8
.LBB5_1053:                             ;   in Loop: Header=BB5_990 Depth=1
	s_or_b32 exec_lo, exec_lo, s20
	s_waitcnt vmcnt(0)
	global_load_dwordx2 v[9:10], v[2:3], off offset:16
	s_waitcnt vmcnt(0)
	v_cmp_eq_u64_e32 vcc_lo, 0, v[9:10]
	s_cbranch_vccnz .LBB5_1055
; %bb.1054:                             ;   in Loop: Header=BB5_990 Depth=1
	global_load_dword v5, v[2:3], off offset:24
	s_waitcnt vmcnt(0)
	v_and_b32_e32 v2, 0x7fffff, v5
	s_waitcnt_vscnt null, 0x0
	global_store_dwordx2 v[9:10], v[5:6], off
	v_readfirstlane_b32 m0, v2
	s_sendmsg sendmsg(MSG_INTERRUPT)
.LBB5_1055:                             ;   in Loop: Header=BB5_990 Depth=1
	s_or_b32 exec_lo, exec_lo, s5
	v_add_co_u32 v2, vcc_lo, v27, v39
	v_add_co_ci_u32_e32 v3, vcc_lo, 0, v28, vcc_lo
	s_branch .LBB5_1059
	.p2align	6
.LBB5_1056:                             ;   in Loop: Header=BB5_1059 Depth=2
	s_or_b32 exec_lo, exec_lo, s5
	v_readfirstlane_b32 s5, v4
	s_cmp_eq_u32 s5, 0
	s_cbranch_scc1 .LBB5_1058
; %bb.1057:                             ;   in Loop: Header=BB5_1059 Depth=2
	s_sleep 1
	s_cbranch_execnz .LBB5_1059
	s_branch .LBB5_1061
	.p2align	6
.LBB5_1058:                             ;   in Loop: Header=BB5_990 Depth=1
	s_branch .LBB5_1061
.LBB5_1059:                             ;   Parent Loop BB5_990 Depth=1
                                        ; =>  This Inner Loop Header: Depth=2
	v_mov_b32_e32 v4, 1
	s_and_saveexec_b32 s5, s4
	s_cbranch_execz .LBB5_1056
; %bb.1060:                             ;   in Loop: Header=BB5_1059 Depth=2
	global_load_dword v4, v[29:30], off offset:20 glc dlc
	s_waitcnt vmcnt(0)
	buffer_gl1_inv
	buffer_gl0_inv
	v_and_b32_e32 v4, 1, v4
	s_branch .LBB5_1056
.LBB5_1061:                             ;   in Loop: Header=BB5_990 Depth=1
	global_load_dwordx4 v[2:5], v[2:3], off
	s_and_saveexec_b32 s5, s4
	s_cbranch_execz .LBB5_989
; %bb.1062:                             ;   in Loop: Header=BB5_990 Depth=1
	s_clause 0x2
	global_load_dwordx2 v[4:5], v6, s[26:27] offset:40
	global_load_dwordx2 v[13:14], v6, s[26:27] offset:24 glc dlc
	global_load_dwordx2 v[11:12], v6, s[26:27]
	s_waitcnt vmcnt(2)
	v_add_co_u32 v15, vcc_lo, v4, 1
	v_add_co_ci_u32_e32 v16, vcc_lo, 0, v5, vcc_lo
	v_add_co_u32 v9, vcc_lo, v15, s18
	v_add_co_ci_u32_e32 v10, vcc_lo, s19, v16, vcc_lo
	v_cmp_eq_u64_e32 vcc_lo, 0, v[9:10]
	v_cndmask_b32_e32 v10, v10, v16, vcc_lo
	v_cndmask_b32_e32 v9, v9, v15, vcc_lo
	v_and_b32_e32 v5, v10, v5
	v_and_b32_e32 v4, v9, v4
	v_mul_lo_u32 v5, v5, 24
	v_mul_hi_u32 v15, v4, 24
	v_mul_lo_u32 v4, v4, 24
	v_add_nc_u32_e32 v5, v15, v5
	s_waitcnt vmcnt(0)
	v_add_co_u32 v4, vcc_lo, v11, v4
	v_mov_b32_e32 v11, v13
	v_add_co_ci_u32_e32 v5, vcc_lo, v12, v5, vcc_lo
	v_mov_b32_e32 v12, v14
	global_store_dwordx2 v[4:5], v[13:14], off
	s_waitcnt_vscnt null, 0x0
	global_atomic_cmpswap_x2 v[11:12], v6, v[9:12], s[26:27] offset:24 glc
	s_waitcnt vmcnt(0)
	v_cmp_ne_u64_e32 vcc_lo, v[11:12], v[13:14]
	s_and_b32 exec_lo, exec_lo, vcc_lo
	s_cbranch_execz .LBB5_989
; %bb.1063:                             ;   in Loop: Header=BB5_990 Depth=1
	s_mov_b32 s4, 0
.LBB5_1064:                             ;   Parent Loop BB5_990 Depth=1
                                        ; =>  This Inner Loop Header: Depth=2
	s_sleep 1
	global_store_dwordx2 v[4:5], v[11:12], off
	s_waitcnt_vscnt null, 0x0
	global_atomic_cmpswap_x2 v[13:14], v6, v[9:12], s[26:27] offset:24 glc
	s_waitcnt vmcnt(0)
	v_cmp_eq_u64_e32 vcc_lo, v[13:14], v[11:12]
	v_mov_b32_e32 v11, v13
	v_mov_b32_e32 v12, v14
	s_or_b32 s4, vcc_lo, s4
	s_andn2_b32 exec_lo, exec_lo, s4
	s_cbranch_execnz .LBB5_1064
	s_branch .LBB5_989
.LBB5_1065:
	s_branch .LBB5_1094
.LBB5_1066:
                                        ; implicit-def: $vgpr2_vgpr3
	s_cbranch_execz .LBB5_1094
; %bb.1067:
	v_readfirstlane_b32 s4, v48
	v_mov_b32_e32 v8, 0
	v_mov_b32_e32 v9, 0
	v_cmp_eq_u32_e64 s4, s4, v48
	s_and_saveexec_b32 s5, s4
	s_cbranch_execz .LBB5_1073
; %bb.1068:
	s_waitcnt vmcnt(0)
	v_mov_b32_e32 v2, 0
	s_mov_b32 s6, exec_lo
	global_load_dwordx2 v[5:6], v2, s[26:27] offset:24 glc dlc
	s_waitcnt vmcnt(0)
	buffer_gl1_inv
	buffer_gl0_inv
	s_clause 0x1
	global_load_dwordx2 v[3:4], v2, s[26:27] offset:40
	global_load_dwordx2 v[7:8], v2, s[26:27]
	s_waitcnt vmcnt(1)
	v_and_b32_e32 v4, v4, v6
	v_and_b32_e32 v3, v3, v5
	v_mul_lo_u32 v4, v4, 24
	v_mul_hi_u32 v9, v3, 24
	v_mul_lo_u32 v3, v3, 24
	v_add_nc_u32_e32 v4, v9, v4
	s_waitcnt vmcnt(0)
	v_add_co_u32 v3, vcc_lo, v7, v3
	v_add_co_ci_u32_e32 v4, vcc_lo, v8, v4, vcc_lo
	global_load_dwordx2 v[3:4], v[3:4], off glc dlc
	s_waitcnt vmcnt(0)
	global_atomic_cmpswap_x2 v[8:9], v2, v[3:6], s[26:27] offset:24 glc
	s_waitcnt vmcnt(0)
	buffer_gl1_inv
	buffer_gl0_inv
	v_cmpx_ne_u64_e64 v[8:9], v[5:6]
	s_cbranch_execz .LBB5_1072
; %bb.1069:
	s_mov_b32 s7, 0
	.p2align	6
.LBB5_1070:                             ; =>This Inner Loop Header: Depth=1
	s_sleep 1
	s_clause 0x1
	global_load_dwordx2 v[3:4], v2, s[26:27] offset:40
	global_load_dwordx2 v[10:11], v2, s[26:27]
	v_mov_b32_e32 v5, v8
	v_mov_b32_e32 v6, v9
	s_waitcnt vmcnt(1)
	v_and_b32_e32 v3, v3, v5
	v_and_b32_e32 v4, v4, v6
	s_waitcnt vmcnt(0)
	v_mad_u64_u32 v[7:8], null, v3, 24, v[10:11]
	v_mov_b32_e32 v3, v8
	v_mad_u64_u32 v[3:4], null, v4, 24, v[3:4]
	v_mov_b32_e32 v8, v3
	global_load_dwordx2 v[3:4], v[7:8], off glc dlc
	s_waitcnt vmcnt(0)
	global_atomic_cmpswap_x2 v[8:9], v2, v[3:6], s[26:27] offset:24 glc
	s_waitcnt vmcnt(0)
	buffer_gl1_inv
	buffer_gl0_inv
	v_cmp_eq_u64_e32 vcc_lo, v[8:9], v[5:6]
	s_or_b32 s7, vcc_lo, s7
	s_andn2_b32 exec_lo, exec_lo, s7
	s_cbranch_execnz .LBB5_1070
; %bb.1071:
	s_or_b32 exec_lo, exec_lo, s7
.LBB5_1072:
	s_or_b32 exec_lo, exec_lo, s6
.LBB5_1073:
	s_or_b32 exec_lo, exec_lo, s5
	s_waitcnt vmcnt(0)
	v_mov_b32_e32 v2, 0
	v_readfirstlane_b32 s6, v8
	v_readfirstlane_b32 s7, v9
	s_mov_b32 s5, exec_lo
	s_clause 0x1
	global_load_dwordx2 v[10:11], v2, s[26:27] offset:40
	global_load_dwordx4 v[4:7], v2, s[26:27]
	s_waitcnt vmcnt(1)
	v_readfirstlane_b32 s10, v10
	v_readfirstlane_b32 s11, v11
	s_and_b64 s[10:11], s[6:7], s[10:11]
	s_mul_i32 s16, s11, 24
	s_mul_hi_u32 s17, s10, 24
	s_mul_i32 s18, s10, 24
	s_add_i32 s17, s17, s16
	s_waitcnt vmcnt(0)
	v_add_co_u32 v8, vcc_lo, v4, s18
	v_add_co_ci_u32_e32 v9, vcc_lo, s17, v5, vcc_lo
	s_and_saveexec_b32 s16, s4
	s_cbranch_execz .LBB5_1075
; %bb.1074:
	v_mov_b32_e32 v10, s5
	v_mov_b32_e32 v11, v2
	;; [unrolled: 1-line block ×4, first 2 shown]
	global_store_dwordx4 v[8:9], v[10:13], off offset:8
.LBB5_1075:
	s_or_b32 exec_lo, exec_lo, s16
	s_lshl_b64 s[10:11], s[10:11], 12
	s_mov_b32 s16, 0
	v_add_co_u32 v6, vcc_lo, v6, s10
	v_add_co_ci_u32_e32 v7, vcc_lo, s11, v7, vcc_lo
	s_mov_b32 s17, s16
	v_readfirstlane_b32 s10, v6
	v_add_co_u32 v6, vcc_lo, v6, v39
	s_mov_b32 s18, s16
	s_mov_b32 s19, s16
	v_and_or_b32 v0, 0xffffff1f, v0, 32
	v_mov_b32_e32 v3, v2
	v_readfirstlane_b32 s11, v7
	v_mov_b32_e32 v10, s16
	v_add_co_ci_u32_e32 v7, vcc_lo, 0, v7, vcc_lo
	v_mov_b32_e32 v11, s17
	v_mov_b32_e32 v12, s18
	;; [unrolled: 1-line block ×3, first 2 shown]
	global_store_dwordx4 v39, v[0:3], s[10:11]
	global_store_dwordx4 v39, v[10:13], s[10:11] offset:16
	global_store_dwordx4 v39, v[10:13], s[10:11] offset:32
	;; [unrolled: 1-line block ×3, first 2 shown]
	s_and_saveexec_b32 s5, s4
	s_cbranch_execz .LBB5_1083
; %bb.1076:
	v_mov_b32_e32 v10, 0
	v_mov_b32_e32 v11, s6
	;; [unrolled: 1-line block ×3, first 2 shown]
	s_clause 0x1
	global_load_dwordx2 v[13:14], v10, s[26:27] offset:32 glc dlc
	global_load_dwordx2 v[0:1], v10, s[26:27] offset:40
	s_waitcnt vmcnt(0)
	v_readfirstlane_b32 s10, v0
	v_readfirstlane_b32 s11, v1
	s_and_b64 s[10:11], s[10:11], s[6:7]
	s_mul_i32 s11, s11, 24
	s_mul_hi_u32 s16, s10, 24
	s_mul_i32 s10, s10, 24
	s_add_i32 s16, s16, s11
	v_add_co_u32 v4, vcc_lo, v4, s10
	v_add_co_ci_u32_e32 v5, vcc_lo, s16, v5, vcc_lo
	s_mov_b32 s10, exec_lo
	global_store_dwordx2 v[4:5], v[13:14], off
	s_waitcnt_vscnt null, 0x0
	global_atomic_cmpswap_x2 v[2:3], v10, v[11:14], s[26:27] offset:32 glc
	s_waitcnt vmcnt(0)
	v_cmpx_ne_u64_e64 v[2:3], v[13:14]
	s_cbranch_execz .LBB5_1079
; %bb.1077:
	s_mov_b32 s11, 0
.LBB5_1078:                             ; =>This Inner Loop Header: Depth=1
	v_mov_b32_e32 v0, s6
	v_mov_b32_e32 v1, s7
	s_sleep 1
	global_store_dwordx2 v[4:5], v[2:3], off
	s_waitcnt_vscnt null, 0x0
	global_atomic_cmpswap_x2 v[0:1], v10, v[0:3], s[26:27] offset:32 glc
	s_waitcnt vmcnt(0)
	v_cmp_eq_u64_e32 vcc_lo, v[0:1], v[2:3]
	v_mov_b32_e32 v3, v1
	v_mov_b32_e32 v2, v0
	s_or_b32 s11, vcc_lo, s11
	s_andn2_b32 exec_lo, exec_lo, s11
	s_cbranch_execnz .LBB5_1078
.LBB5_1079:
	s_or_b32 exec_lo, exec_lo, s10
	v_mov_b32_e32 v3, 0
	s_mov_b32 s11, exec_lo
	s_mov_b32 s10, exec_lo
	v_mbcnt_lo_u32_b32 v2, s11, 0
	global_load_dwordx2 v[0:1], v3, s[26:27] offset:16
	v_cmpx_eq_u32_e32 0, v2
	s_cbranch_execz .LBB5_1081
; %bb.1080:
	s_bcnt1_i32_b32 s11, s11
	v_mov_b32_e32 v2, s11
	s_waitcnt vmcnt(0)
	global_atomic_add_x2 v[0:1], v[2:3], off offset:8
.LBB5_1081:
	s_or_b32 exec_lo, exec_lo, s10
	s_waitcnt vmcnt(0)
	global_load_dwordx2 v[2:3], v[0:1], off offset:16
	s_waitcnt vmcnt(0)
	v_cmp_eq_u64_e32 vcc_lo, 0, v[2:3]
	s_cbranch_vccnz .LBB5_1083
; %bb.1082:
	global_load_dword v0, v[0:1], off offset:24
	v_mov_b32_e32 v1, 0
	s_waitcnt vmcnt(0)
	v_and_b32_e32 v4, 0x7fffff, v0
	s_waitcnt_vscnt null, 0x0
	global_store_dwordx2 v[2:3], v[0:1], off
	v_readfirstlane_b32 m0, v4
	s_sendmsg sendmsg(MSG_INTERRUPT)
.LBB5_1083:
	s_or_b32 exec_lo, exec_lo, s5
	s_branch .LBB5_1087
	.p2align	6
.LBB5_1084:                             ;   in Loop: Header=BB5_1087 Depth=1
	s_or_b32 exec_lo, exec_lo, s5
	v_readfirstlane_b32 s5, v0
	s_cmp_eq_u32 s5, 0
	s_cbranch_scc1 .LBB5_1086
; %bb.1085:                             ;   in Loop: Header=BB5_1087 Depth=1
	s_sleep 1
	s_cbranch_execnz .LBB5_1087
	s_branch .LBB5_1089
	.p2align	6
.LBB5_1086:
	s_branch .LBB5_1089
.LBB5_1087:                             ; =>This Inner Loop Header: Depth=1
	v_mov_b32_e32 v0, 1
	s_and_saveexec_b32 s5, s4
	s_cbranch_execz .LBB5_1084
; %bb.1088:                             ;   in Loop: Header=BB5_1087 Depth=1
	global_load_dword v0, v[8:9], off offset:20 glc dlc
	s_waitcnt vmcnt(0)
	buffer_gl1_inv
	buffer_gl0_inv
	v_and_b32_e32 v0, 1, v0
	s_branch .LBB5_1084
.LBB5_1089:
	global_load_dwordx2 v[2:3], v[6:7], off
	s_and_saveexec_b32 s5, s4
	s_cbranch_execz .LBB5_1093
; %bb.1090:
	v_mov_b32_e32 v8, 0
	s_clause 0x2
	global_load_dwordx2 v[0:1], v8, s[26:27] offset:40
	global_load_dwordx2 v[9:10], v8, s[26:27] offset:24 glc dlc
	global_load_dwordx2 v[6:7], v8, s[26:27]
	s_waitcnt vmcnt(2)
	v_add_co_u32 v11, vcc_lo, v0, 1
	v_add_co_ci_u32_e32 v12, vcc_lo, 0, v1, vcc_lo
	v_add_co_u32 v4, vcc_lo, v11, s6
	v_add_co_ci_u32_e32 v5, vcc_lo, s7, v12, vcc_lo
	v_cmp_eq_u64_e32 vcc_lo, 0, v[4:5]
	v_cndmask_b32_e32 v5, v5, v12, vcc_lo
	v_cndmask_b32_e32 v4, v4, v11, vcc_lo
	v_and_b32_e32 v1, v5, v1
	v_and_b32_e32 v0, v4, v0
	v_mul_lo_u32 v1, v1, 24
	v_mul_hi_u32 v11, v0, 24
	v_mul_lo_u32 v0, v0, 24
	v_add_nc_u32_e32 v1, v11, v1
	s_waitcnt vmcnt(0)
	v_add_co_u32 v0, vcc_lo, v6, v0
	v_mov_b32_e32 v6, v9
	v_add_co_ci_u32_e32 v1, vcc_lo, v7, v1, vcc_lo
	v_mov_b32_e32 v7, v10
	global_store_dwordx2 v[0:1], v[9:10], off
	s_waitcnt_vscnt null, 0x0
	global_atomic_cmpswap_x2 v[6:7], v8, v[4:7], s[26:27] offset:24 glc
	s_waitcnt vmcnt(0)
	v_cmp_ne_u64_e32 vcc_lo, v[6:7], v[9:10]
	s_and_b32 exec_lo, exec_lo, vcc_lo
	s_cbranch_execz .LBB5_1093
; %bb.1091:
	s_mov_b32 s4, 0
.LBB5_1092:                             ; =>This Inner Loop Header: Depth=1
	s_sleep 1
	global_store_dwordx2 v[0:1], v[6:7], off
	s_waitcnt_vscnt null, 0x0
	global_atomic_cmpswap_x2 v[9:10], v8, v[4:7], s[26:27] offset:24 glc
	s_waitcnt vmcnt(0)
	v_cmp_eq_u64_e32 vcc_lo, v[9:10], v[6:7]
	v_mov_b32_e32 v6, v9
	v_mov_b32_e32 v7, v10
	s_or_b32 s4, vcc_lo, s4
	s_andn2_b32 exec_lo, exec_lo, s4
	s_cbranch_execnz .LBB5_1092
.LBB5_1093:
	s_or_b32 exec_lo, exec_lo, s5
.LBB5_1094:
	v_readfirstlane_b32 s4, v48
	s_waitcnt vmcnt(0)
	v_mov_b32_e32 v0, 0
	v_mov_b32_e32 v1, 0
	v_cmp_eq_u32_e64 s4, s4, v48
	s_and_saveexec_b32 s5, s4
	s_cbranch_execz .LBB5_1100
; %bb.1095:
	v_mov_b32_e32 v4, 0
	s_mov_b32 s6, exec_lo
	global_load_dwordx2 v[7:8], v4, s[26:27] offset:24 glc dlc
	s_waitcnt vmcnt(0)
	buffer_gl1_inv
	buffer_gl0_inv
	s_clause 0x1
	global_load_dwordx2 v[0:1], v4, s[26:27] offset:40
	global_load_dwordx2 v[5:6], v4, s[26:27]
	s_waitcnt vmcnt(1)
	v_and_b32_e32 v1, v1, v8
	v_and_b32_e32 v0, v0, v7
	v_mul_lo_u32 v1, v1, 24
	v_mul_hi_u32 v9, v0, 24
	v_mul_lo_u32 v0, v0, 24
	v_add_nc_u32_e32 v1, v9, v1
	s_waitcnt vmcnt(0)
	v_add_co_u32 v0, vcc_lo, v5, v0
	v_add_co_ci_u32_e32 v1, vcc_lo, v6, v1, vcc_lo
	global_load_dwordx2 v[5:6], v[0:1], off glc dlc
	s_waitcnt vmcnt(0)
	global_atomic_cmpswap_x2 v[0:1], v4, v[5:8], s[26:27] offset:24 glc
	s_waitcnt vmcnt(0)
	buffer_gl1_inv
	buffer_gl0_inv
	v_cmpx_ne_u64_e64 v[0:1], v[7:8]
	s_cbranch_execz .LBB5_1099
; %bb.1096:
	s_mov_b32 s7, 0
	.p2align	6
.LBB5_1097:                             ; =>This Inner Loop Header: Depth=1
	s_sleep 1
	s_clause 0x1
	global_load_dwordx2 v[5:6], v4, s[26:27] offset:40
	global_load_dwordx2 v[9:10], v4, s[26:27]
	v_mov_b32_e32 v8, v1
	v_mov_b32_e32 v7, v0
	s_waitcnt vmcnt(1)
	v_and_b32_e32 v0, v5, v7
	v_and_b32_e32 v5, v6, v8
	s_waitcnt vmcnt(0)
	v_mad_u64_u32 v[0:1], null, v0, 24, v[9:10]
	v_mad_u64_u32 v[5:6], null, v5, 24, v[1:2]
	v_mov_b32_e32 v1, v5
	global_load_dwordx2 v[5:6], v[0:1], off glc dlc
	s_waitcnt vmcnt(0)
	global_atomic_cmpswap_x2 v[0:1], v4, v[5:8], s[26:27] offset:24 glc
	s_waitcnt vmcnt(0)
	buffer_gl1_inv
	buffer_gl0_inv
	v_cmp_eq_u64_e32 vcc_lo, v[0:1], v[7:8]
	s_or_b32 s7, vcc_lo, s7
	s_andn2_b32 exec_lo, exec_lo, s7
	s_cbranch_execnz .LBB5_1097
; %bb.1098:
	s_or_b32 exec_lo, exec_lo, s7
.LBB5_1099:
	s_or_b32 exec_lo, exec_lo, s6
.LBB5_1100:
	s_or_b32 exec_lo, exec_lo, s5
	v_mov_b32_e32 v5, 0
	v_readfirstlane_b32 s6, v0
	v_readfirstlane_b32 s7, v1
	s_mov_b32 s5, exec_lo
	s_clause 0x1
	global_load_dwordx2 v[10:11], v5, s[26:27] offset:40
	global_load_dwordx4 v[6:9], v5, s[26:27]
	s_waitcnt vmcnt(1)
	v_readfirstlane_b32 s10, v10
	v_readfirstlane_b32 s11, v11
	s_and_b64 s[10:11], s[6:7], s[10:11]
	s_mul_i32 s16, s11, 24
	s_mul_hi_u32 s17, s10, 24
	s_mul_i32 s18, s10, 24
	s_add_i32 s17, s17, s16
	s_waitcnt vmcnt(0)
	v_add_co_u32 v10, vcc_lo, v6, s18
	v_add_co_ci_u32_e32 v11, vcc_lo, s17, v7, vcc_lo
	s_and_saveexec_b32 s16, s4
	s_cbranch_execz .LBB5_1102
; %bb.1101:
	v_mov_b32_e32 v4, s5
	v_mov_b32_e32 v13, v5
	;; [unrolled: 1-line block ×5, first 2 shown]
	global_store_dwordx4 v[10:11], v[12:15], off offset:8
.LBB5_1102:
	s_or_b32 exec_lo, exec_lo, s16
	s_lshl_b64 s[10:11], s[10:11], 12
	s_mov_b32 s16, 0
	v_add_co_u32 v0, vcc_lo, v8, s10
	v_add_co_ci_u32_e32 v1, vcc_lo, s11, v9, vcc_lo
	s_mov_b32 s17, s16
	s_mov_b32 s18, s16
	s_mov_b32 s19, s16
	v_and_or_b32 v2, 0xffffff1d, v2, 34
	v_mov_b32_e32 v4, 58
	v_readfirstlane_b32 s10, v0
	v_readfirstlane_b32 s11, v1
	v_mov_b32_e32 v12, s16
	v_mov_b32_e32 v13, s17
	;; [unrolled: 1-line block ×4, first 2 shown]
	global_store_dwordx4 v39, v[2:5], s[10:11]
	global_store_dwordx4 v39, v[12:15], s[10:11] offset:16
	global_store_dwordx4 v39, v[12:15], s[10:11] offset:32
	;; [unrolled: 1-line block ×3, first 2 shown]
	s_and_saveexec_b32 s5, s4
	s_cbranch_execz .LBB5_1110
; %bb.1103:
	v_mov_b32_e32 v8, 0
	v_mov_b32_e32 v12, s6
	;; [unrolled: 1-line block ×3, first 2 shown]
	s_clause 0x1
	global_load_dwordx2 v[14:15], v8, s[26:27] offset:32 glc dlc
	global_load_dwordx2 v[0:1], v8, s[26:27] offset:40
	s_waitcnt vmcnt(0)
	v_readfirstlane_b32 s10, v0
	v_readfirstlane_b32 s11, v1
	s_and_b64 s[10:11], s[10:11], s[6:7]
	s_mul_i32 s11, s11, 24
	s_mul_hi_u32 s16, s10, 24
	s_mul_i32 s10, s10, 24
	s_add_i32 s16, s16, s11
	v_add_co_u32 v4, vcc_lo, v6, s10
	v_add_co_ci_u32_e32 v5, vcc_lo, s16, v7, vcc_lo
	s_mov_b32 s10, exec_lo
	global_store_dwordx2 v[4:5], v[14:15], off
	s_waitcnt_vscnt null, 0x0
	global_atomic_cmpswap_x2 v[2:3], v8, v[12:15], s[26:27] offset:32 glc
	s_waitcnt vmcnt(0)
	v_cmpx_ne_u64_e64 v[2:3], v[14:15]
	s_cbranch_execz .LBB5_1106
; %bb.1104:
	s_mov_b32 s11, 0
.LBB5_1105:                             ; =>This Inner Loop Header: Depth=1
	v_mov_b32_e32 v0, s6
	v_mov_b32_e32 v1, s7
	s_sleep 1
	global_store_dwordx2 v[4:5], v[2:3], off
	s_waitcnt_vscnt null, 0x0
	global_atomic_cmpswap_x2 v[0:1], v8, v[0:3], s[26:27] offset:32 glc
	s_waitcnt vmcnt(0)
	v_cmp_eq_u64_e32 vcc_lo, v[0:1], v[2:3]
	v_mov_b32_e32 v3, v1
	v_mov_b32_e32 v2, v0
	s_or_b32 s11, vcc_lo, s11
	s_andn2_b32 exec_lo, exec_lo, s11
	s_cbranch_execnz .LBB5_1105
.LBB5_1106:
	s_or_b32 exec_lo, exec_lo, s10
	v_mov_b32_e32 v3, 0
	s_mov_b32 s11, exec_lo
	s_mov_b32 s10, exec_lo
	v_mbcnt_lo_u32_b32 v2, s11, 0
	global_load_dwordx2 v[0:1], v3, s[26:27] offset:16
	v_cmpx_eq_u32_e32 0, v2
	s_cbranch_execz .LBB5_1108
; %bb.1107:
	s_bcnt1_i32_b32 s11, s11
	v_mov_b32_e32 v2, s11
	s_waitcnt vmcnt(0)
	global_atomic_add_x2 v[0:1], v[2:3], off offset:8
.LBB5_1108:
	s_or_b32 exec_lo, exec_lo, s10
	s_waitcnt vmcnt(0)
	global_load_dwordx2 v[2:3], v[0:1], off offset:16
	s_waitcnt vmcnt(0)
	v_cmp_eq_u64_e32 vcc_lo, 0, v[2:3]
	s_cbranch_vccnz .LBB5_1110
; %bb.1109:
	global_load_dword v0, v[0:1], off offset:24
	v_mov_b32_e32 v1, 0
	s_waitcnt vmcnt(0)
	v_and_b32_e32 v4, 0x7fffff, v0
	s_waitcnt_vscnt null, 0x0
	global_store_dwordx2 v[2:3], v[0:1], off
	v_readfirstlane_b32 m0, v4
	s_sendmsg sendmsg(MSG_INTERRUPT)
.LBB5_1110:
	s_or_b32 exec_lo, exec_lo, s5
	s_branch .LBB5_1114
	.p2align	6
.LBB5_1111:                             ;   in Loop: Header=BB5_1114 Depth=1
	s_or_b32 exec_lo, exec_lo, s5
	v_readfirstlane_b32 s5, v0
	s_cmp_eq_u32 s5, 0
	s_cbranch_scc1 .LBB5_1113
; %bb.1112:                             ;   in Loop: Header=BB5_1114 Depth=1
	s_sleep 1
	s_cbranch_execnz .LBB5_1114
	s_branch .LBB5_1116
	.p2align	6
.LBB5_1113:
	s_branch .LBB5_1116
.LBB5_1114:                             ; =>This Inner Loop Header: Depth=1
	v_mov_b32_e32 v0, 1
	s_and_saveexec_b32 s5, s4
	s_cbranch_execz .LBB5_1111
; %bb.1115:                             ;   in Loop: Header=BB5_1114 Depth=1
	global_load_dword v0, v[10:11], off offset:20 glc dlc
	s_waitcnt vmcnt(0)
	buffer_gl1_inv
	buffer_gl0_inv
	v_and_b32_e32 v0, 1, v0
	s_branch .LBB5_1111
.LBB5_1116:
	s_and_saveexec_b32 s5, s4
	s_cbranch_execz .LBB5_1120
; %bb.1117:
	v_mov_b32_e32 v6, 0
	s_clause 0x2
	global_load_dwordx2 v[2:3], v6, s[26:27] offset:40
	global_load_dwordx2 v[7:8], v6, s[26:27] offset:24 glc dlc
	global_load_dwordx2 v[4:5], v6, s[26:27]
	s_waitcnt vmcnt(2)
	v_add_co_u32 v9, vcc_lo, v2, 1
	v_add_co_ci_u32_e32 v10, vcc_lo, 0, v3, vcc_lo
	v_add_co_u32 v0, vcc_lo, v9, s6
	v_add_co_ci_u32_e32 v1, vcc_lo, s7, v10, vcc_lo
	v_cmp_eq_u64_e32 vcc_lo, 0, v[0:1]
	v_cndmask_b32_e32 v1, v1, v10, vcc_lo
	v_cndmask_b32_e32 v0, v0, v9, vcc_lo
	v_and_b32_e32 v3, v1, v3
	v_and_b32_e32 v2, v0, v2
	v_mul_lo_u32 v3, v3, 24
	v_mul_hi_u32 v9, v2, 24
	v_mul_lo_u32 v2, v2, 24
	v_add_nc_u32_e32 v3, v9, v3
	s_waitcnt vmcnt(0)
	v_add_co_u32 v4, vcc_lo, v4, v2
	v_mov_b32_e32 v2, v7
	v_add_co_ci_u32_e32 v5, vcc_lo, v5, v3, vcc_lo
	v_mov_b32_e32 v3, v8
	global_store_dwordx2 v[4:5], v[7:8], off
	s_waitcnt_vscnt null, 0x0
	global_atomic_cmpswap_x2 v[2:3], v6, v[0:3], s[26:27] offset:24 glc
	s_waitcnt vmcnt(0)
	v_cmp_ne_u64_e32 vcc_lo, v[2:3], v[7:8]
	s_and_b32 exec_lo, exec_lo, vcc_lo
	s_cbranch_execz .LBB5_1120
; %bb.1118:
	s_mov_b32 s4, 0
.LBB5_1119:                             ; =>This Inner Loop Header: Depth=1
	s_sleep 1
	global_store_dwordx2 v[4:5], v[2:3], off
	s_waitcnt_vscnt null, 0x0
	global_atomic_cmpswap_x2 v[7:8], v6, v[0:3], s[26:27] offset:24 glc
	s_waitcnt vmcnt(0)
	v_cmp_eq_u64_e32 vcc_lo, v[7:8], v[2:3]
	v_mov_b32_e32 v2, v7
	v_mov_b32_e32 v3, v8
	s_or_b32 s4, vcc_lo, s4
	s_andn2_b32 exec_lo, exec_lo, s4
	s_cbranch_execnz .LBB5_1119
.LBB5_1120:
	s_or_b32 exec_lo, exec_lo, s5
	v_readfirstlane_b32 s4, v48
	v_mov_b32_e32 v6, 0
	v_mov_b32_e32 v7, 0
	v_cmp_eq_u32_e64 s4, s4, v48
	s_and_saveexec_b32 s5, s4
	s_cbranch_execz .LBB5_1126
; %bb.1121:
	v_mov_b32_e32 v0, 0
	s_mov_b32 s6, exec_lo
	global_load_dwordx2 v[3:4], v0, s[26:27] offset:24 glc dlc
	s_waitcnt vmcnt(0)
	buffer_gl1_inv
	buffer_gl0_inv
	s_clause 0x1
	global_load_dwordx2 v[1:2], v0, s[26:27] offset:40
	global_load_dwordx2 v[5:6], v0, s[26:27]
	s_waitcnt vmcnt(1)
	v_and_b32_e32 v2, v2, v4
	v_and_b32_e32 v1, v1, v3
	v_mul_lo_u32 v2, v2, 24
	v_mul_hi_u32 v7, v1, 24
	v_mul_lo_u32 v1, v1, 24
	v_add_nc_u32_e32 v2, v7, v2
	s_waitcnt vmcnt(0)
	v_add_co_u32 v1, vcc_lo, v5, v1
	v_add_co_ci_u32_e32 v2, vcc_lo, v6, v2, vcc_lo
	global_load_dwordx2 v[1:2], v[1:2], off glc dlc
	s_waitcnt vmcnt(0)
	global_atomic_cmpswap_x2 v[6:7], v0, v[1:4], s[26:27] offset:24 glc
	s_waitcnt vmcnt(0)
	buffer_gl1_inv
	buffer_gl0_inv
	v_cmpx_ne_u64_e64 v[6:7], v[3:4]
	s_cbranch_execz .LBB5_1125
; %bb.1122:
	s_mov_b32 s7, 0
	.p2align	6
.LBB5_1123:                             ; =>This Inner Loop Header: Depth=1
	s_sleep 1
	s_clause 0x1
	global_load_dwordx2 v[1:2], v0, s[26:27] offset:40
	global_load_dwordx2 v[8:9], v0, s[26:27]
	v_mov_b32_e32 v3, v6
	v_mov_b32_e32 v4, v7
	s_waitcnt vmcnt(1)
	v_and_b32_e32 v1, v1, v3
	v_and_b32_e32 v2, v2, v4
	s_waitcnt vmcnt(0)
	v_mad_u64_u32 v[5:6], null, v1, 24, v[8:9]
	v_mov_b32_e32 v1, v6
	v_mad_u64_u32 v[1:2], null, v2, 24, v[1:2]
	v_mov_b32_e32 v6, v1
	global_load_dwordx2 v[1:2], v[5:6], off glc dlc
	s_waitcnt vmcnt(0)
	global_atomic_cmpswap_x2 v[6:7], v0, v[1:4], s[26:27] offset:24 glc
	s_waitcnt vmcnt(0)
	buffer_gl1_inv
	buffer_gl0_inv
	v_cmp_eq_u64_e32 vcc_lo, v[6:7], v[3:4]
	s_or_b32 s7, vcc_lo, s7
	s_andn2_b32 exec_lo, exec_lo, s7
	s_cbranch_execnz .LBB5_1123
; %bb.1124:
	s_or_b32 exec_lo, exec_lo, s7
.LBB5_1125:
	s_or_b32 exec_lo, exec_lo, s6
.LBB5_1126:
	s_or_b32 exec_lo, exec_lo, s5
	v_mov_b32_e32 v5, 0
	v_readfirstlane_b32 s6, v6
	v_readfirstlane_b32 s7, v7
	s_mov_b32 s5, exec_lo
	s_clause 0x1
	global_load_dwordx2 v[8:9], v5, s[26:27] offset:40
	global_load_dwordx4 v[0:3], v5, s[26:27]
	s_waitcnt vmcnt(1)
	v_readfirstlane_b32 s10, v8
	v_readfirstlane_b32 s11, v9
	s_and_b64 s[10:11], s[6:7], s[10:11]
	s_mul_i32 s16, s11, 24
	s_mul_hi_u32 s17, s10, 24
	s_mul_i32 s18, s10, 24
	s_add_i32 s17, s17, s16
	s_waitcnt vmcnt(0)
	v_add_co_u32 v8, vcc_lo, v0, s18
	v_add_co_ci_u32_e32 v9, vcc_lo, s17, v1, vcc_lo
	s_and_saveexec_b32 s16, s4
	s_cbranch_execz .LBB5_1128
; %bb.1127:
	v_mov_b32_e32 v4, s5
	v_mov_b32_e32 v6, 2
	;; [unrolled: 1-line block ×3, first 2 shown]
	global_store_dwordx4 v[8:9], v[4:7], off offset:8
.LBB5_1128:
	s_or_b32 exec_lo, exec_lo, s16
	s_lshl_b64 s[10:11], s[10:11], 12
	s_mov_b32 s16, 0
	v_add_co_u32 v2, vcc_lo, v2, s10
	v_add_co_ci_u32_e32 v3, vcc_lo, s11, v3, vcc_lo
	s_mov_b32 s17, s16
	v_add_co_u32 v10, vcc_lo, v2, v39
	s_mov_b32 s18, s16
	s_mov_b32 s19, s16
	v_mov_b32_e32 v4, 33
	v_mov_b32_e32 v6, v5
	v_mov_b32_e32 v7, v5
	v_readfirstlane_b32 s10, v2
	v_readfirstlane_b32 s11, v3
	v_mov_b32_e32 v12, s16
	v_add_co_ci_u32_e32 v11, vcc_lo, 0, v3, vcc_lo
	v_mov_b32_e32 v13, s17
	v_mov_b32_e32 v14, s18
	;; [unrolled: 1-line block ×3, first 2 shown]
	global_store_dwordx4 v39, v[4:7], s[10:11]
	global_store_dwordx4 v39, v[12:15], s[10:11] offset:16
	global_store_dwordx4 v39, v[12:15], s[10:11] offset:32
	;; [unrolled: 1-line block ×3, first 2 shown]
	s_and_saveexec_b32 s5, s4
	s_cbranch_execz .LBB5_1136
; %bb.1129:
	v_mov_b32_e32 v6, 0
	v_mov_b32_e32 v12, s6
	v_mov_b32_e32 v13, s7
	s_clause 0x1
	global_load_dwordx2 v[14:15], v6, s[26:27] offset:32 glc dlc
	global_load_dwordx2 v[2:3], v6, s[26:27] offset:40
	s_waitcnt vmcnt(0)
	v_readfirstlane_b32 s10, v2
	v_readfirstlane_b32 s11, v3
	s_and_b64 s[10:11], s[10:11], s[6:7]
	s_mul_i32 s11, s11, 24
	s_mul_hi_u32 s16, s10, 24
	s_mul_i32 s10, s10, 24
	s_add_i32 s16, s16, s11
	v_add_co_u32 v4, vcc_lo, v0, s10
	v_add_co_ci_u32_e32 v5, vcc_lo, s16, v1, vcc_lo
	s_mov_b32 s10, exec_lo
	global_store_dwordx2 v[4:5], v[14:15], off
	s_waitcnt_vscnt null, 0x0
	global_atomic_cmpswap_x2 v[2:3], v6, v[12:15], s[26:27] offset:32 glc
	s_waitcnt vmcnt(0)
	v_cmpx_ne_u64_e64 v[2:3], v[14:15]
	s_cbranch_execz .LBB5_1132
; %bb.1130:
	s_mov_b32 s11, 0
.LBB5_1131:                             ; =>This Inner Loop Header: Depth=1
	v_mov_b32_e32 v0, s6
	v_mov_b32_e32 v1, s7
	s_sleep 1
	global_store_dwordx2 v[4:5], v[2:3], off
	s_waitcnt_vscnt null, 0x0
	global_atomic_cmpswap_x2 v[0:1], v6, v[0:3], s[26:27] offset:32 glc
	s_waitcnt vmcnt(0)
	v_cmp_eq_u64_e32 vcc_lo, v[0:1], v[2:3]
	v_mov_b32_e32 v3, v1
	v_mov_b32_e32 v2, v0
	s_or_b32 s11, vcc_lo, s11
	s_andn2_b32 exec_lo, exec_lo, s11
	s_cbranch_execnz .LBB5_1131
.LBB5_1132:
	s_or_b32 exec_lo, exec_lo, s10
	v_mov_b32_e32 v3, 0
	s_mov_b32 s11, exec_lo
	s_mov_b32 s10, exec_lo
	v_mbcnt_lo_u32_b32 v2, s11, 0
	global_load_dwordx2 v[0:1], v3, s[26:27] offset:16
	v_cmpx_eq_u32_e32 0, v2
	s_cbranch_execz .LBB5_1134
; %bb.1133:
	s_bcnt1_i32_b32 s11, s11
	v_mov_b32_e32 v2, s11
	s_waitcnt vmcnt(0)
	global_atomic_add_x2 v[0:1], v[2:3], off offset:8
.LBB5_1134:
	s_or_b32 exec_lo, exec_lo, s10
	s_waitcnt vmcnt(0)
	global_load_dwordx2 v[2:3], v[0:1], off offset:16
	s_waitcnt vmcnt(0)
	v_cmp_eq_u64_e32 vcc_lo, 0, v[2:3]
	s_cbranch_vccnz .LBB5_1136
; %bb.1135:
	global_load_dword v0, v[0:1], off offset:24
	v_mov_b32_e32 v1, 0
	s_waitcnt vmcnt(0)
	v_and_b32_e32 v4, 0x7fffff, v0
	s_waitcnt_vscnt null, 0x0
	global_store_dwordx2 v[2:3], v[0:1], off
	v_readfirstlane_b32 m0, v4
	s_sendmsg sendmsg(MSG_INTERRUPT)
.LBB5_1136:
	s_or_b32 exec_lo, exec_lo, s5
	s_branch .LBB5_1140
	.p2align	6
.LBB5_1137:                             ;   in Loop: Header=BB5_1140 Depth=1
	s_or_b32 exec_lo, exec_lo, s5
	v_readfirstlane_b32 s5, v0
	s_cmp_eq_u32 s5, 0
	s_cbranch_scc1 .LBB5_1139
; %bb.1138:                             ;   in Loop: Header=BB5_1140 Depth=1
	s_sleep 1
	s_cbranch_execnz .LBB5_1140
	s_branch .LBB5_1142
	.p2align	6
.LBB5_1139:
	s_branch .LBB5_1142
.LBB5_1140:                             ; =>This Inner Loop Header: Depth=1
	v_mov_b32_e32 v0, 1
	s_and_saveexec_b32 s5, s4
	s_cbranch_execz .LBB5_1137
; %bb.1141:                             ;   in Loop: Header=BB5_1140 Depth=1
	global_load_dword v0, v[8:9], off offset:20 glc dlc
	s_waitcnt vmcnt(0)
	buffer_gl1_inv
	buffer_gl0_inv
	v_and_b32_e32 v0, 1, v0
	s_branch .LBB5_1137
.LBB5_1142:
	global_load_dwordx2 v[0:1], v[10:11], off
	s_and_saveexec_b32 s5, s4
	s_cbranch_execz .LBB5_1146
; %bb.1143:
	v_mov_b32_e32 v8, 0
	s_clause 0x2
	global_load_dwordx2 v[4:5], v8, s[26:27] offset:40
	global_load_dwordx2 v[9:10], v8, s[26:27] offset:24 glc dlc
	global_load_dwordx2 v[6:7], v8, s[26:27]
	s_waitcnt vmcnt(2)
	v_add_co_u32 v11, vcc_lo, v4, 1
	v_add_co_ci_u32_e32 v12, vcc_lo, 0, v5, vcc_lo
	v_add_co_u32 v2, vcc_lo, v11, s6
	v_add_co_ci_u32_e32 v3, vcc_lo, s7, v12, vcc_lo
	v_cmp_eq_u64_e32 vcc_lo, 0, v[2:3]
	v_cndmask_b32_e32 v3, v3, v12, vcc_lo
	v_cndmask_b32_e32 v2, v2, v11, vcc_lo
	v_and_b32_e32 v5, v3, v5
	v_and_b32_e32 v4, v2, v4
	v_mul_lo_u32 v5, v5, 24
	v_mul_hi_u32 v11, v4, 24
	v_mul_lo_u32 v4, v4, 24
	v_add_nc_u32_e32 v5, v11, v5
	s_waitcnt vmcnt(0)
	v_add_co_u32 v6, vcc_lo, v6, v4
	v_mov_b32_e32 v4, v9
	v_add_co_ci_u32_e32 v7, vcc_lo, v7, v5, vcc_lo
	v_mov_b32_e32 v5, v10
	global_store_dwordx2 v[6:7], v[9:10], off
	s_waitcnt_vscnt null, 0x0
	global_atomic_cmpswap_x2 v[4:5], v8, v[2:5], s[26:27] offset:24 glc
	s_waitcnt vmcnt(0)
	v_cmp_ne_u64_e32 vcc_lo, v[4:5], v[9:10]
	s_and_b32 exec_lo, exec_lo, vcc_lo
	s_cbranch_execz .LBB5_1146
; %bb.1144:
	s_mov_b32 s4, 0
.LBB5_1145:                             ; =>This Inner Loop Header: Depth=1
	s_sleep 1
	global_store_dwordx2 v[6:7], v[4:5], off
	s_waitcnt_vscnt null, 0x0
	global_atomic_cmpswap_x2 v[9:10], v8, v[2:5], s[26:27] offset:24 glc
	s_waitcnt vmcnt(0)
	v_cmp_eq_u64_e32 vcc_lo, v[9:10], v[4:5]
	v_mov_b32_e32 v4, v9
	v_mov_b32_e32 v5, v10
	s_or_b32 s4, vcc_lo, s4
	s_andn2_b32 exec_lo, exec_lo, s4
	s_cbranch_execnz .LBB5_1145
.LBB5_1146:
	s_or_b32 exec_lo, exec_lo, s5
	s_and_b32 vcc_lo, exec_lo, s34
	s_cbranch_vccz .LBB5_1225
; %bb.1147:
	s_waitcnt vmcnt(0)
	v_and_b32_e32 v31, 2, v0
	v_mov_b32_e32 v6, 0
	v_and_b32_e32 v2, -3, v0
	v_mov_b32_e32 v3, v1
	v_mov_b32_e32 v7, 2
	;; [unrolled: 1-line block ×3, first 2 shown]
	s_mov_b64 s[10:11], 3
	s_getpc_b64 s[6:7]
	s_add_u32 s6, s6, .str.6@rel32@lo+4
	s_addc_u32 s7, s7, .str.6@rel32@hi+12
	s_branch .LBB5_1149
.LBB5_1148:                             ;   in Loop: Header=BB5_1149 Depth=1
	s_or_b32 exec_lo, exec_lo, s5
	s_sub_u32 s10, s10, s16
	s_subb_u32 s11, s11, s17
	s_add_u32 s6, s6, s16
	s_addc_u32 s7, s7, s17
	s_cmp_lg_u64 s[10:11], 0
	s_cbranch_scc0 .LBB5_1224
.LBB5_1149:                             ; =>This Loop Header: Depth=1
                                        ;     Child Loop BB5_1158 Depth 2
                                        ;     Child Loop BB5_1154 Depth 2
	;; [unrolled: 1-line block ×11, first 2 shown]
	v_cmp_lt_u64_e64 s4, s[10:11], 56
	v_cmp_gt_u64_e64 s5, s[10:11], 7
                                        ; implicit-def: $vgpr11_vgpr12
                                        ; implicit-def: $sgpr22
	s_and_b32 s4, s4, exec_lo
	s_cselect_b32 s17, s11, 0
	s_cselect_b32 s16, s10, 56
	s_and_b32 vcc_lo, exec_lo, s5
	s_mov_b32 s4, -1
	s_cbranch_vccz .LBB5_1156
; %bb.1150:                             ;   in Loop: Header=BB5_1149 Depth=1
	s_andn2_b32 vcc_lo, exec_lo, s4
	s_mov_b64 s[4:5], s[6:7]
	s_cbranch_vccz .LBB5_1160
.LBB5_1151:                             ;   in Loop: Header=BB5_1149 Depth=1
	s_cmp_gt_u32 s22, 7
	s_cbranch_scc1 .LBB5_1161
.LBB5_1152:                             ;   in Loop: Header=BB5_1149 Depth=1
	v_mov_b32_e32 v13, 0
	v_mov_b32_e32 v14, 0
	s_cmp_eq_u32 s22, 0
	s_cbranch_scc1 .LBB5_1155
; %bb.1153:                             ;   in Loop: Header=BB5_1149 Depth=1
	s_mov_b64 s[18:19], 0
	s_mov_b64 s[20:21], 0
.LBB5_1154:                             ;   Parent Loop BB5_1149 Depth=1
                                        ; =>  This Inner Loop Header: Depth=2
	s_add_u32 s24, s4, s20
	s_addc_u32 s25, s5, s21
	s_add_u32 s20, s20, 1
	global_load_ubyte v4, v6, s[24:25]
	s_addc_u32 s21, s21, 0
	s_waitcnt vmcnt(0)
	v_and_b32_e32 v5, 0xffff, v4
	v_lshlrev_b64 v[4:5], s18, v[5:6]
	s_add_u32 s18, s18, 8
	s_addc_u32 s19, s19, 0
	s_cmp_lg_u32 s22, s20
	v_or_b32_e32 v13, v4, v13
	v_or_b32_e32 v14, v5, v14
	s_cbranch_scc1 .LBB5_1154
.LBB5_1155:                             ;   in Loop: Header=BB5_1149 Depth=1
	s_mov_b32 s23, 0
	s_cbranch_execz .LBB5_1162
	s_branch .LBB5_1163
.LBB5_1156:                             ;   in Loop: Header=BB5_1149 Depth=1
	v_mov_b32_e32 v11, 0
	v_mov_b32_e32 v12, 0
	s_cmp_eq_u64 s[10:11], 0
	s_mov_b64 s[4:5], 0
	s_cbranch_scc1 .LBB5_1159
; %bb.1157:                             ;   in Loop: Header=BB5_1149 Depth=1
	v_mov_b32_e32 v11, 0
	v_mov_b32_e32 v12, 0
	s_lshl_b64 s[18:19], s[16:17], 3
	s_mov_b64 s[20:21], s[6:7]
.LBB5_1158:                             ;   Parent Loop BB5_1149 Depth=1
                                        ; =>  This Inner Loop Header: Depth=2
	global_load_ubyte v4, v6, s[20:21]
	s_waitcnt vmcnt(0)
	v_and_b32_e32 v5, 0xffff, v4
	v_lshlrev_b64 v[4:5], s4, v[5:6]
	s_add_u32 s4, s4, 8
	s_addc_u32 s5, s5, 0
	s_add_u32 s20, s20, 1
	s_addc_u32 s21, s21, 0
	s_cmp_lg_u32 s18, s4
	v_or_b32_e32 v11, v4, v11
	v_or_b32_e32 v12, v5, v12
	s_cbranch_scc1 .LBB5_1158
.LBB5_1159:                             ;   in Loop: Header=BB5_1149 Depth=1
	s_mov_b32 s22, 0
	s_mov_b64 s[4:5], s[6:7]
	s_cbranch_execnz .LBB5_1151
.LBB5_1160:                             ;   in Loop: Header=BB5_1149 Depth=1
	global_load_dwordx2 v[11:12], v6, s[6:7]
	s_add_i32 s22, s16, -8
	s_add_u32 s4, s6, 8
	s_addc_u32 s5, s7, 0
	s_cmp_gt_u32 s22, 7
	s_cbranch_scc0 .LBB5_1152
.LBB5_1161:                             ;   in Loop: Header=BB5_1149 Depth=1
                                        ; implicit-def: $vgpr13_vgpr14
                                        ; implicit-def: $sgpr23
.LBB5_1162:                             ;   in Loop: Header=BB5_1149 Depth=1
	global_load_dwordx2 v[13:14], v6, s[4:5]
	s_add_i32 s23, s22, -8
	s_add_u32 s4, s4, 8
	s_addc_u32 s5, s5, 0
.LBB5_1163:                             ;   in Loop: Header=BB5_1149 Depth=1
	s_cmp_gt_u32 s23, 7
	s_cbranch_scc1 .LBB5_1168
; %bb.1164:                             ;   in Loop: Header=BB5_1149 Depth=1
	v_mov_b32_e32 v15, 0
	v_mov_b32_e32 v16, 0
	s_cmp_eq_u32 s23, 0
	s_cbranch_scc1 .LBB5_1167
; %bb.1165:                             ;   in Loop: Header=BB5_1149 Depth=1
	s_mov_b64 s[18:19], 0
	s_mov_b64 s[20:21], 0
.LBB5_1166:                             ;   Parent Loop BB5_1149 Depth=1
                                        ; =>  This Inner Loop Header: Depth=2
	s_add_u32 s24, s4, s20
	s_addc_u32 s25, s5, s21
	s_add_u32 s20, s20, 1
	global_load_ubyte v4, v6, s[24:25]
	s_addc_u32 s21, s21, 0
	s_waitcnt vmcnt(0)
	v_and_b32_e32 v5, 0xffff, v4
	v_lshlrev_b64 v[4:5], s18, v[5:6]
	s_add_u32 s18, s18, 8
	s_addc_u32 s19, s19, 0
	s_cmp_lg_u32 s23, s20
	v_or_b32_e32 v15, v4, v15
	v_or_b32_e32 v16, v5, v16
	s_cbranch_scc1 .LBB5_1166
.LBB5_1167:                             ;   in Loop: Header=BB5_1149 Depth=1
	s_mov_b32 s22, 0
	s_cbranch_execz .LBB5_1169
	s_branch .LBB5_1170
.LBB5_1168:                             ;   in Loop: Header=BB5_1149 Depth=1
                                        ; implicit-def: $sgpr22
.LBB5_1169:                             ;   in Loop: Header=BB5_1149 Depth=1
	global_load_dwordx2 v[15:16], v6, s[4:5]
	s_add_i32 s22, s23, -8
	s_add_u32 s4, s4, 8
	s_addc_u32 s5, s5, 0
.LBB5_1170:                             ;   in Loop: Header=BB5_1149 Depth=1
	s_cmp_gt_u32 s22, 7
	s_cbranch_scc1 .LBB5_1175
; %bb.1171:                             ;   in Loop: Header=BB5_1149 Depth=1
	v_mov_b32_e32 v17, 0
	v_mov_b32_e32 v18, 0
	s_cmp_eq_u32 s22, 0
	s_cbranch_scc1 .LBB5_1174
; %bb.1172:                             ;   in Loop: Header=BB5_1149 Depth=1
	s_mov_b64 s[18:19], 0
	s_mov_b64 s[20:21], 0
.LBB5_1173:                             ;   Parent Loop BB5_1149 Depth=1
                                        ; =>  This Inner Loop Header: Depth=2
	s_add_u32 s24, s4, s20
	s_addc_u32 s25, s5, s21
	s_add_u32 s20, s20, 1
	global_load_ubyte v4, v6, s[24:25]
	s_addc_u32 s21, s21, 0
	s_waitcnt vmcnt(0)
	v_and_b32_e32 v5, 0xffff, v4
	v_lshlrev_b64 v[4:5], s18, v[5:6]
	s_add_u32 s18, s18, 8
	s_addc_u32 s19, s19, 0
	s_cmp_lg_u32 s22, s20
	v_or_b32_e32 v17, v4, v17
	v_or_b32_e32 v18, v5, v18
	s_cbranch_scc1 .LBB5_1173
.LBB5_1174:                             ;   in Loop: Header=BB5_1149 Depth=1
	s_mov_b32 s23, 0
	s_cbranch_execz .LBB5_1176
	s_branch .LBB5_1177
.LBB5_1175:                             ;   in Loop: Header=BB5_1149 Depth=1
                                        ; implicit-def: $vgpr17_vgpr18
                                        ; implicit-def: $sgpr23
.LBB5_1176:                             ;   in Loop: Header=BB5_1149 Depth=1
	global_load_dwordx2 v[17:18], v6, s[4:5]
	s_add_i32 s23, s22, -8
	s_add_u32 s4, s4, 8
	s_addc_u32 s5, s5, 0
.LBB5_1177:                             ;   in Loop: Header=BB5_1149 Depth=1
	s_cmp_gt_u32 s23, 7
	s_cbranch_scc1 .LBB5_1182
; %bb.1178:                             ;   in Loop: Header=BB5_1149 Depth=1
	v_mov_b32_e32 v19, 0
	v_mov_b32_e32 v20, 0
	s_cmp_eq_u32 s23, 0
	s_cbranch_scc1 .LBB5_1181
; %bb.1179:                             ;   in Loop: Header=BB5_1149 Depth=1
	s_mov_b64 s[18:19], 0
	s_mov_b64 s[20:21], 0
.LBB5_1180:                             ;   Parent Loop BB5_1149 Depth=1
                                        ; =>  This Inner Loop Header: Depth=2
	s_add_u32 s24, s4, s20
	s_addc_u32 s25, s5, s21
	s_add_u32 s20, s20, 1
	global_load_ubyte v4, v6, s[24:25]
	s_addc_u32 s21, s21, 0
	s_waitcnt vmcnt(0)
	v_and_b32_e32 v5, 0xffff, v4
	v_lshlrev_b64 v[4:5], s18, v[5:6]
	s_add_u32 s18, s18, 8
	s_addc_u32 s19, s19, 0
	s_cmp_lg_u32 s23, s20
	v_or_b32_e32 v19, v4, v19
	v_or_b32_e32 v20, v5, v20
	s_cbranch_scc1 .LBB5_1180
.LBB5_1181:                             ;   in Loop: Header=BB5_1149 Depth=1
	s_mov_b32 s22, 0
	s_cbranch_execz .LBB5_1183
	s_branch .LBB5_1184
.LBB5_1182:                             ;   in Loop: Header=BB5_1149 Depth=1
                                        ; implicit-def: $sgpr22
.LBB5_1183:                             ;   in Loop: Header=BB5_1149 Depth=1
	global_load_dwordx2 v[19:20], v6, s[4:5]
	s_add_i32 s22, s23, -8
	s_add_u32 s4, s4, 8
	s_addc_u32 s5, s5, 0
.LBB5_1184:                             ;   in Loop: Header=BB5_1149 Depth=1
	s_cmp_gt_u32 s22, 7
	s_cbranch_scc1 .LBB5_1189
; %bb.1185:                             ;   in Loop: Header=BB5_1149 Depth=1
	v_mov_b32_e32 v21, 0
	v_mov_b32_e32 v22, 0
	s_cmp_eq_u32 s22, 0
	s_cbranch_scc1 .LBB5_1188
; %bb.1186:                             ;   in Loop: Header=BB5_1149 Depth=1
	s_mov_b64 s[18:19], 0
	s_mov_b64 s[20:21], 0
.LBB5_1187:                             ;   Parent Loop BB5_1149 Depth=1
                                        ; =>  This Inner Loop Header: Depth=2
	s_add_u32 s24, s4, s20
	s_addc_u32 s25, s5, s21
	s_add_u32 s20, s20, 1
	global_load_ubyte v4, v6, s[24:25]
	s_addc_u32 s21, s21, 0
	s_waitcnt vmcnt(0)
	v_and_b32_e32 v5, 0xffff, v4
	v_lshlrev_b64 v[4:5], s18, v[5:6]
	s_add_u32 s18, s18, 8
	s_addc_u32 s19, s19, 0
	s_cmp_lg_u32 s22, s20
	v_or_b32_e32 v21, v4, v21
	v_or_b32_e32 v22, v5, v22
	s_cbranch_scc1 .LBB5_1187
.LBB5_1188:                             ;   in Loop: Header=BB5_1149 Depth=1
	s_mov_b32 s23, 0
	s_cbranch_execz .LBB5_1190
	s_branch .LBB5_1191
.LBB5_1189:                             ;   in Loop: Header=BB5_1149 Depth=1
                                        ; implicit-def: $vgpr21_vgpr22
                                        ; implicit-def: $sgpr23
.LBB5_1190:                             ;   in Loop: Header=BB5_1149 Depth=1
	global_load_dwordx2 v[21:22], v6, s[4:5]
	s_add_i32 s23, s22, -8
	s_add_u32 s4, s4, 8
	s_addc_u32 s5, s5, 0
.LBB5_1191:                             ;   in Loop: Header=BB5_1149 Depth=1
	s_cmp_gt_u32 s23, 7
	s_cbranch_scc1 .LBB5_1196
; %bb.1192:                             ;   in Loop: Header=BB5_1149 Depth=1
	v_mov_b32_e32 v23, 0
	v_mov_b32_e32 v24, 0
	s_cmp_eq_u32 s23, 0
	s_cbranch_scc1 .LBB5_1195
; %bb.1193:                             ;   in Loop: Header=BB5_1149 Depth=1
	s_mov_b64 s[18:19], 0
	s_mov_b64 s[20:21], s[4:5]
.LBB5_1194:                             ;   Parent Loop BB5_1149 Depth=1
                                        ; =>  This Inner Loop Header: Depth=2
	global_load_ubyte v4, v6, s[20:21]
	s_add_i32 s23, s23, -1
	s_waitcnt vmcnt(0)
	v_and_b32_e32 v5, 0xffff, v4
	v_lshlrev_b64 v[4:5], s18, v[5:6]
	s_add_u32 s18, s18, 8
	s_addc_u32 s19, s19, 0
	s_add_u32 s20, s20, 1
	s_addc_u32 s21, s21, 0
	s_cmp_lg_u32 s23, 0
	v_or_b32_e32 v23, v4, v23
	v_or_b32_e32 v24, v5, v24
	s_cbranch_scc1 .LBB5_1194
.LBB5_1195:                             ;   in Loop: Header=BB5_1149 Depth=1
	s_cbranch_execz .LBB5_1197
	s_branch .LBB5_1198
.LBB5_1196:                             ;   in Loop: Header=BB5_1149 Depth=1
.LBB5_1197:                             ;   in Loop: Header=BB5_1149 Depth=1
	global_load_dwordx2 v[23:24], v6, s[4:5]
.LBB5_1198:                             ;   in Loop: Header=BB5_1149 Depth=1
	v_readfirstlane_b32 s4, v48
	s_waitcnt vmcnt(0)
	v_mov_b32_e32 v4, 0
	v_mov_b32_e32 v5, 0
	v_cmp_eq_u32_e64 s4, s4, v48
	s_and_saveexec_b32 s5, s4
	s_cbranch_execz .LBB5_1204
; %bb.1199:                             ;   in Loop: Header=BB5_1149 Depth=1
	global_load_dwordx2 v[27:28], v6, s[26:27] offset:24 glc dlc
	s_waitcnt vmcnt(0)
	buffer_gl1_inv
	buffer_gl0_inv
	s_clause 0x1
	global_load_dwordx2 v[4:5], v6, s[26:27] offset:40
	global_load_dwordx2 v[9:10], v6, s[26:27]
	s_mov_b32 s18, exec_lo
	s_waitcnt vmcnt(1)
	v_and_b32_e32 v5, v5, v28
	v_and_b32_e32 v4, v4, v27
	v_mul_lo_u32 v5, v5, 24
	v_mul_hi_u32 v25, v4, 24
	v_mul_lo_u32 v4, v4, 24
	v_add_nc_u32_e32 v5, v25, v5
	s_waitcnt vmcnt(0)
	v_add_co_u32 v4, vcc_lo, v9, v4
	v_add_co_ci_u32_e32 v5, vcc_lo, v10, v5, vcc_lo
	global_load_dwordx2 v[25:26], v[4:5], off glc dlc
	s_waitcnt vmcnt(0)
	global_atomic_cmpswap_x2 v[4:5], v6, v[25:28], s[26:27] offset:24 glc
	s_waitcnt vmcnt(0)
	buffer_gl1_inv
	buffer_gl0_inv
	v_cmpx_ne_u64_e64 v[4:5], v[27:28]
	s_cbranch_execz .LBB5_1203
; %bb.1200:                             ;   in Loop: Header=BB5_1149 Depth=1
	s_mov_b32 s19, 0
	.p2align	6
.LBB5_1201:                             ;   Parent Loop BB5_1149 Depth=1
                                        ; =>  This Inner Loop Header: Depth=2
	s_sleep 1
	s_clause 0x1
	global_load_dwordx2 v[9:10], v6, s[26:27] offset:40
	global_load_dwordx2 v[25:26], v6, s[26:27]
	v_mov_b32_e32 v28, v5
	v_mov_b32_e32 v27, v4
	s_waitcnt vmcnt(1)
	v_and_b32_e32 v4, v9, v27
	v_and_b32_e32 v9, v10, v28
	s_waitcnt vmcnt(0)
	v_mad_u64_u32 v[4:5], null, v4, 24, v[25:26]
	v_mad_u64_u32 v[9:10], null, v9, 24, v[5:6]
	v_mov_b32_e32 v5, v9
	global_load_dwordx2 v[25:26], v[4:5], off glc dlc
	s_waitcnt vmcnt(0)
	global_atomic_cmpswap_x2 v[4:5], v6, v[25:28], s[26:27] offset:24 glc
	s_waitcnt vmcnt(0)
	buffer_gl1_inv
	buffer_gl0_inv
	v_cmp_eq_u64_e32 vcc_lo, v[4:5], v[27:28]
	s_or_b32 s19, vcc_lo, s19
	s_andn2_b32 exec_lo, exec_lo, s19
	s_cbranch_execnz .LBB5_1201
; %bb.1202:                             ;   in Loop: Header=BB5_1149 Depth=1
	s_or_b32 exec_lo, exec_lo, s19
.LBB5_1203:                             ;   in Loop: Header=BB5_1149 Depth=1
	s_or_b32 exec_lo, exec_lo, s18
.LBB5_1204:                             ;   in Loop: Header=BB5_1149 Depth=1
	s_or_b32 exec_lo, exec_lo, s5
	s_clause 0x1
	global_load_dwordx2 v[9:10], v6, s[26:27] offset:40
	global_load_dwordx4 v[25:28], v6, s[26:27]
	v_readfirstlane_b32 s18, v4
	v_readfirstlane_b32 s19, v5
	s_mov_b32 s5, exec_lo
	s_waitcnt vmcnt(1)
	v_readfirstlane_b32 s20, v9
	v_readfirstlane_b32 s21, v10
	s_and_b64 s[20:21], s[18:19], s[20:21]
	s_mul_i32 s22, s21, 24
	s_mul_hi_u32 s23, s20, 24
	s_mul_i32 s24, s20, 24
	s_add_i32 s23, s23, s22
	s_waitcnt vmcnt(0)
	v_add_co_u32 v29, vcc_lo, v25, s24
	v_add_co_ci_u32_e32 v30, vcc_lo, s23, v26, vcc_lo
	s_and_saveexec_b32 s22, s4
	s_cbranch_execz .LBB5_1206
; %bb.1205:                             ;   in Loop: Header=BB5_1149 Depth=1
	v_mov_b32_e32 v5, s5
	global_store_dwordx4 v[29:30], v[5:8], off offset:8
.LBB5_1206:                             ;   in Loop: Header=BB5_1149 Depth=1
	s_or_b32 exec_lo, exec_lo, s22
	s_lshl_b64 s[20:21], s[20:21], 12
	v_cmp_gt_u64_e64 vcc_lo, s[10:11], 56
	v_or_b32_e32 v5, v2, v31
	v_add_co_u32 v27, s5, v27, s20
	v_add_co_ci_u32_e64 v28, s5, s21, v28, s5
	s_lshl_b32 s5, s16, 2
	v_or_b32_e32 v4, 0, v3
	v_cndmask_b32_e32 v2, v5, v2, vcc_lo
	s_add_i32 s5, s5, 28
	v_readfirstlane_b32 s20, v27
	s_and_b32 s5, s5, 0x1e0
	v_cndmask_b32_e32 v10, v4, v3, vcc_lo
	v_readfirstlane_b32 s21, v28
	v_and_or_b32 v9, 0xffffff1f, v2, s5
	global_store_dwordx4 v39, v[9:12], s[20:21]
	global_store_dwordx4 v39, v[13:16], s[20:21] offset:16
	global_store_dwordx4 v39, v[17:20], s[20:21] offset:32
	;; [unrolled: 1-line block ×3, first 2 shown]
	s_and_saveexec_b32 s5, s4
	s_cbranch_execz .LBB5_1214
; %bb.1207:                             ;   in Loop: Header=BB5_1149 Depth=1
	s_clause 0x1
	global_load_dwordx2 v[13:14], v6, s[26:27] offset:32 glc dlc
	global_load_dwordx2 v[2:3], v6, s[26:27] offset:40
	v_mov_b32_e32 v11, s18
	v_mov_b32_e32 v12, s19
	s_waitcnt vmcnt(0)
	v_readfirstlane_b32 s20, v2
	v_readfirstlane_b32 s21, v3
	s_and_b64 s[20:21], s[20:21], s[18:19]
	s_mul_i32 s21, s21, 24
	s_mul_hi_u32 s22, s20, 24
	s_mul_i32 s20, s20, 24
	s_add_i32 s22, s22, s21
	v_add_co_u32 v9, vcc_lo, v25, s20
	v_add_co_ci_u32_e32 v10, vcc_lo, s22, v26, vcc_lo
	s_mov_b32 s20, exec_lo
	global_store_dwordx2 v[9:10], v[13:14], off
	s_waitcnt_vscnt null, 0x0
	global_atomic_cmpswap_x2 v[4:5], v6, v[11:14], s[26:27] offset:32 glc
	s_waitcnt vmcnt(0)
	v_cmpx_ne_u64_e64 v[4:5], v[13:14]
	s_cbranch_execz .LBB5_1210
; %bb.1208:                             ;   in Loop: Header=BB5_1149 Depth=1
	s_mov_b32 s21, 0
.LBB5_1209:                             ;   Parent Loop BB5_1149 Depth=1
                                        ; =>  This Inner Loop Header: Depth=2
	v_mov_b32_e32 v2, s18
	v_mov_b32_e32 v3, s19
	s_sleep 1
	global_store_dwordx2 v[9:10], v[4:5], off
	s_waitcnt_vscnt null, 0x0
	global_atomic_cmpswap_x2 v[2:3], v6, v[2:5], s[26:27] offset:32 glc
	s_waitcnt vmcnt(0)
	v_cmp_eq_u64_e32 vcc_lo, v[2:3], v[4:5]
	v_mov_b32_e32 v5, v3
	v_mov_b32_e32 v4, v2
	s_or_b32 s21, vcc_lo, s21
	s_andn2_b32 exec_lo, exec_lo, s21
	s_cbranch_execnz .LBB5_1209
.LBB5_1210:                             ;   in Loop: Header=BB5_1149 Depth=1
	s_or_b32 exec_lo, exec_lo, s20
	global_load_dwordx2 v[2:3], v6, s[26:27] offset:16
	s_mov_b32 s21, exec_lo
	s_mov_b32 s20, exec_lo
	v_mbcnt_lo_u32_b32 v4, s21, 0
	v_cmpx_eq_u32_e32 0, v4
	s_cbranch_execz .LBB5_1212
; %bb.1211:                             ;   in Loop: Header=BB5_1149 Depth=1
	s_bcnt1_i32_b32 s21, s21
	v_mov_b32_e32 v5, s21
	s_waitcnt vmcnt(0)
	global_atomic_add_x2 v[2:3], v[5:6], off offset:8
.LBB5_1212:                             ;   in Loop: Header=BB5_1149 Depth=1
	s_or_b32 exec_lo, exec_lo, s20
	s_waitcnt vmcnt(0)
	global_load_dwordx2 v[9:10], v[2:3], off offset:16
	s_waitcnt vmcnt(0)
	v_cmp_eq_u64_e32 vcc_lo, 0, v[9:10]
	s_cbranch_vccnz .LBB5_1214
; %bb.1213:                             ;   in Loop: Header=BB5_1149 Depth=1
	global_load_dword v5, v[2:3], off offset:24
	s_waitcnt vmcnt(0)
	v_and_b32_e32 v2, 0x7fffff, v5
	s_waitcnt_vscnt null, 0x0
	global_store_dwordx2 v[9:10], v[5:6], off
	v_readfirstlane_b32 m0, v2
	s_sendmsg sendmsg(MSG_INTERRUPT)
.LBB5_1214:                             ;   in Loop: Header=BB5_1149 Depth=1
	s_or_b32 exec_lo, exec_lo, s5
	v_add_co_u32 v2, vcc_lo, v27, v39
	v_add_co_ci_u32_e32 v3, vcc_lo, 0, v28, vcc_lo
	s_branch .LBB5_1218
	.p2align	6
.LBB5_1215:                             ;   in Loop: Header=BB5_1218 Depth=2
	s_or_b32 exec_lo, exec_lo, s5
	v_readfirstlane_b32 s5, v4
	s_cmp_eq_u32 s5, 0
	s_cbranch_scc1 .LBB5_1217
; %bb.1216:                             ;   in Loop: Header=BB5_1218 Depth=2
	s_sleep 1
	s_cbranch_execnz .LBB5_1218
	s_branch .LBB5_1220
	.p2align	6
.LBB5_1217:                             ;   in Loop: Header=BB5_1149 Depth=1
	s_branch .LBB5_1220
.LBB5_1218:                             ;   Parent Loop BB5_1149 Depth=1
                                        ; =>  This Inner Loop Header: Depth=2
	v_mov_b32_e32 v4, 1
	s_and_saveexec_b32 s5, s4
	s_cbranch_execz .LBB5_1215
; %bb.1219:                             ;   in Loop: Header=BB5_1218 Depth=2
	global_load_dword v4, v[29:30], off offset:20 glc dlc
	s_waitcnt vmcnt(0)
	buffer_gl1_inv
	buffer_gl0_inv
	v_and_b32_e32 v4, 1, v4
	s_branch .LBB5_1215
.LBB5_1220:                             ;   in Loop: Header=BB5_1149 Depth=1
	global_load_dwordx4 v[2:5], v[2:3], off
	s_and_saveexec_b32 s5, s4
	s_cbranch_execz .LBB5_1148
; %bb.1221:                             ;   in Loop: Header=BB5_1149 Depth=1
	s_clause 0x2
	global_load_dwordx2 v[4:5], v6, s[26:27] offset:40
	global_load_dwordx2 v[13:14], v6, s[26:27] offset:24 glc dlc
	global_load_dwordx2 v[11:12], v6, s[26:27]
	s_waitcnt vmcnt(2)
	v_add_co_u32 v15, vcc_lo, v4, 1
	v_add_co_ci_u32_e32 v16, vcc_lo, 0, v5, vcc_lo
	v_add_co_u32 v9, vcc_lo, v15, s18
	v_add_co_ci_u32_e32 v10, vcc_lo, s19, v16, vcc_lo
	v_cmp_eq_u64_e32 vcc_lo, 0, v[9:10]
	v_cndmask_b32_e32 v10, v10, v16, vcc_lo
	v_cndmask_b32_e32 v9, v9, v15, vcc_lo
	v_and_b32_e32 v5, v10, v5
	v_and_b32_e32 v4, v9, v4
	v_mul_lo_u32 v5, v5, 24
	v_mul_hi_u32 v15, v4, 24
	v_mul_lo_u32 v4, v4, 24
	v_add_nc_u32_e32 v5, v15, v5
	s_waitcnt vmcnt(0)
	v_add_co_u32 v4, vcc_lo, v11, v4
	v_mov_b32_e32 v11, v13
	v_add_co_ci_u32_e32 v5, vcc_lo, v12, v5, vcc_lo
	v_mov_b32_e32 v12, v14
	global_store_dwordx2 v[4:5], v[13:14], off
	s_waitcnt_vscnt null, 0x0
	global_atomic_cmpswap_x2 v[11:12], v6, v[9:12], s[26:27] offset:24 glc
	s_waitcnt vmcnt(0)
	v_cmp_ne_u64_e32 vcc_lo, v[11:12], v[13:14]
	s_and_b32 exec_lo, exec_lo, vcc_lo
	s_cbranch_execz .LBB5_1148
; %bb.1222:                             ;   in Loop: Header=BB5_1149 Depth=1
	s_mov_b32 s4, 0
.LBB5_1223:                             ;   Parent Loop BB5_1149 Depth=1
                                        ; =>  This Inner Loop Header: Depth=2
	s_sleep 1
	global_store_dwordx2 v[4:5], v[11:12], off
	s_waitcnt_vscnt null, 0x0
	global_atomic_cmpswap_x2 v[13:14], v6, v[9:12], s[26:27] offset:24 glc
	s_waitcnt vmcnt(0)
	v_cmp_eq_u64_e32 vcc_lo, v[13:14], v[11:12]
	v_mov_b32_e32 v11, v13
	v_mov_b32_e32 v12, v14
	s_or_b32 s4, vcc_lo, s4
	s_andn2_b32 exec_lo, exec_lo, s4
	s_cbranch_execnz .LBB5_1223
	s_branch .LBB5_1148
.LBB5_1224:
	s_branch .LBB5_1253
.LBB5_1225:
                                        ; implicit-def: $vgpr2_vgpr3
	s_cbranch_execz .LBB5_1253
; %bb.1226:
	v_readfirstlane_b32 s4, v48
	v_mov_b32_e32 v8, 0
	v_mov_b32_e32 v9, 0
	v_cmp_eq_u32_e64 s4, s4, v48
	s_and_saveexec_b32 s5, s4
	s_cbranch_execz .LBB5_1232
; %bb.1227:
	s_waitcnt vmcnt(0)
	v_mov_b32_e32 v2, 0
	s_mov_b32 s6, exec_lo
	global_load_dwordx2 v[5:6], v2, s[26:27] offset:24 glc dlc
	s_waitcnt vmcnt(0)
	buffer_gl1_inv
	buffer_gl0_inv
	s_clause 0x1
	global_load_dwordx2 v[3:4], v2, s[26:27] offset:40
	global_load_dwordx2 v[7:8], v2, s[26:27]
	s_waitcnt vmcnt(1)
	v_and_b32_e32 v4, v4, v6
	v_and_b32_e32 v3, v3, v5
	v_mul_lo_u32 v4, v4, 24
	v_mul_hi_u32 v9, v3, 24
	v_mul_lo_u32 v3, v3, 24
	v_add_nc_u32_e32 v4, v9, v4
	s_waitcnt vmcnt(0)
	v_add_co_u32 v3, vcc_lo, v7, v3
	v_add_co_ci_u32_e32 v4, vcc_lo, v8, v4, vcc_lo
	global_load_dwordx2 v[3:4], v[3:4], off glc dlc
	s_waitcnt vmcnt(0)
	global_atomic_cmpswap_x2 v[8:9], v2, v[3:6], s[26:27] offset:24 glc
	s_waitcnt vmcnt(0)
	buffer_gl1_inv
	buffer_gl0_inv
	v_cmpx_ne_u64_e64 v[8:9], v[5:6]
	s_cbranch_execz .LBB5_1231
; %bb.1228:
	s_mov_b32 s7, 0
	.p2align	6
.LBB5_1229:                             ; =>This Inner Loop Header: Depth=1
	s_sleep 1
	s_clause 0x1
	global_load_dwordx2 v[3:4], v2, s[26:27] offset:40
	global_load_dwordx2 v[10:11], v2, s[26:27]
	v_mov_b32_e32 v5, v8
	v_mov_b32_e32 v6, v9
	s_waitcnt vmcnt(1)
	v_and_b32_e32 v3, v3, v5
	v_and_b32_e32 v4, v4, v6
	s_waitcnt vmcnt(0)
	v_mad_u64_u32 v[7:8], null, v3, 24, v[10:11]
	v_mov_b32_e32 v3, v8
	v_mad_u64_u32 v[3:4], null, v4, 24, v[3:4]
	v_mov_b32_e32 v8, v3
	global_load_dwordx2 v[3:4], v[7:8], off glc dlc
	s_waitcnt vmcnt(0)
	global_atomic_cmpswap_x2 v[8:9], v2, v[3:6], s[26:27] offset:24 glc
	s_waitcnt vmcnt(0)
	buffer_gl1_inv
	buffer_gl0_inv
	v_cmp_eq_u64_e32 vcc_lo, v[8:9], v[5:6]
	s_or_b32 s7, vcc_lo, s7
	s_andn2_b32 exec_lo, exec_lo, s7
	s_cbranch_execnz .LBB5_1229
; %bb.1230:
	s_or_b32 exec_lo, exec_lo, s7
.LBB5_1231:
	s_or_b32 exec_lo, exec_lo, s6
.LBB5_1232:
	s_or_b32 exec_lo, exec_lo, s5
	s_waitcnt vmcnt(0)
	v_mov_b32_e32 v2, 0
	v_readfirstlane_b32 s6, v8
	v_readfirstlane_b32 s7, v9
	s_mov_b32 s5, exec_lo
	s_clause 0x1
	global_load_dwordx2 v[10:11], v2, s[26:27] offset:40
	global_load_dwordx4 v[4:7], v2, s[26:27]
	s_waitcnt vmcnt(1)
	v_readfirstlane_b32 s10, v10
	v_readfirstlane_b32 s11, v11
	s_and_b64 s[10:11], s[6:7], s[10:11]
	s_mul_i32 s16, s11, 24
	s_mul_hi_u32 s17, s10, 24
	s_mul_i32 s18, s10, 24
	s_add_i32 s17, s17, s16
	s_waitcnt vmcnt(0)
	v_add_co_u32 v8, vcc_lo, v4, s18
	v_add_co_ci_u32_e32 v9, vcc_lo, s17, v5, vcc_lo
	s_and_saveexec_b32 s16, s4
	s_cbranch_execz .LBB5_1234
; %bb.1233:
	v_mov_b32_e32 v10, s5
	v_mov_b32_e32 v11, v2
	;; [unrolled: 1-line block ×4, first 2 shown]
	global_store_dwordx4 v[8:9], v[10:13], off offset:8
.LBB5_1234:
	s_or_b32 exec_lo, exec_lo, s16
	s_lshl_b64 s[10:11], s[10:11], 12
	s_mov_b32 s16, 0
	v_add_co_u32 v6, vcc_lo, v6, s10
	v_add_co_ci_u32_e32 v7, vcc_lo, s11, v7, vcc_lo
	s_mov_b32 s17, s16
	v_readfirstlane_b32 s10, v6
	v_add_co_u32 v6, vcc_lo, v6, v39
	s_mov_b32 s18, s16
	s_mov_b32 s19, s16
	v_and_or_b32 v0, 0xffffff1f, v0, 32
	v_mov_b32_e32 v3, v2
	v_readfirstlane_b32 s11, v7
	v_mov_b32_e32 v10, s16
	v_add_co_ci_u32_e32 v7, vcc_lo, 0, v7, vcc_lo
	v_mov_b32_e32 v11, s17
	v_mov_b32_e32 v12, s18
	v_mov_b32_e32 v13, s19
	global_store_dwordx4 v39, v[0:3], s[10:11]
	global_store_dwordx4 v39, v[10:13], s[10:11] offset:16
	global_store_dwordx4 v39, v[10:13], s[10:11] offset:32
	;; [unrolled: 1-line block ×3, first 2 shown]
	s_and_saveexec_b32 s5, s4
	s_cbranch_execz .LBB5_1242
; %bb.1235:
	v_mov_b32_e32 v10, 0
	v_mov_b32_e32 v11, s6
	;; [unrolled: 1-line block ×3, first 2 shown]
	s_clause 0x1
	global_load_dwordx2 v[13:14], v10, s[26:27] offset:32 glc dlc
	global_load_dwordx2 v[0:1], v10, s[26:27] offset:40
	s_waitcnt vmcnt(0)
	v_readfirstlane_b32 s10, v0
	v_readfirstlane_b32 s11, v1
	s_and_b64 s[10:11], s[10:11], s[6:7]
	s_mul_i32 s11, s11, 24
	s_mul_hi_u32 s16, s10, 24
	s_mul_i32 s10, s10, 24
	s_add_i32 s16, s16, s11
	v_add_co_u32 v4, vcc_lo, v4, s10
	v_add_co_ci_u32_e32 v5, vcc_lo, s16, v5, vcc_lo
	s_mov_b32 s10, exec_lo
	global_store_dwordx2 v[4:5], v[13:14], off
	s_waitcnt_vscnt null, 0x0
	global_atomic_cmpswap_x2 v[2:3], v10, v[11:14], s[26:27] offset:32 glc
	s_waitcnt vmcnt(0)
	v_cmpx_ne_u64_e64 v[2:3], v[13:14]
	s_cbranch_execz .LBB5_1238
; %bb.1236:
	s_mov_b32 s11, 0
.LBB5_1237:                             ; =>This Inner Loop Header: Depth=1
	v_mov_b32_e32 v0, s6
	v_mov_b32_e32 v1, s7
	s_sleep 1
	global_store_dwordx2 v[4:5], v[2:3], off
	s_waitcnt_vscnt null, 0x0
	global_atomic_cmpswap_x2 v[0:1], v10, v[0:3], s[26:27] offset:32 glc
	s_waitcnt vmcnt(0)
	v_cmp_eq_u64_e32 vcc_lo, v[0:1], v[2:3]
	v_mov_b32_e32 v3, v1
	v_mov_b32_e32 v2, v0
	s_or_b32 s11, vcc_lo, s11
	s_andn2_b32 exec_lo, exec_lo, s11
	s_cbranch_execnz .LBB5_1237
.LBB5_1238:
	s_or_b32 exec_lo, exec_lo, s10
	v_mov_b32_e32 v3, 0
	s_mov_b32 s11, exec_lo
	s_mov_b32 s10, exec_lo
	v_mbcnt_lo_u32_b32 v2, s11, 0
	global_load_dwordx2 v[0:1], v3, s[26:27] offset:16
	v_cmpx_eq_u32_e32 0, v2
	s_cbranch_execz .LBB5_1240
; %bb.1239:
	s_bcnt1_i32_b32 s11, s11
	v_mov_b32_e32 v2, s11
	s_waitcnt vmcnt(0)
	global_atomic_add_x2 v[0:1], v[2:3], off offset:8
.LBB5_1240:
	s_or_b32 exec_lo, exec_lo, s10
	s_waitcnt vmcnt(0)
	global_load_dwordx2 v[2:3], v[0:1], off offset:16
	s_waitcnt vmcnt(0)
	v_cmp_eq_u64_e32 vcc_lo, 0, v[2:3]
	s_cbranch_vccnz .LBB5_1242
; %bb.1241:
	global_load_dword v0, v[0:1], off offset:24
	v_mov_b32_e32 v1, 0
	s_waitcnt vmcnt(0)
	v_and_b32_e32 v4, 0x7fffff, v0
	s_waitcnt_vscnt null, 0x0
	global_store_dwordx2 v[2:3], v[0:1], off
	v_readfirstlane_b32 m0, v4
	s_sendmsg sendmsg(MSG_INTERRUPT)
.LBB5_1242:
	s_or_b32 exec_lo, exec_lo, s5
	s_branch .LBB5_1246
	.p2align	6
.LBB5_1243:                             ;   in Loop: Header=BB5_1246 Depth=1
	s_or_b32 exec_lo, exec_lo, s5
	v_readfirstlane_b32 s5, v0
	s_cmp_eq_u32 s5, 0
	s_cbranch_scc1 .LBB5_1245
; %bb.1244:                             ;   in Loop: Header=BB5_1246 Depth=1
	s_sleep 1
	s_cbranch_execnz .LBB5_1246
	s_branch .LBB5_1248
	.p2align	6
.LBB5_1245:
	s_branch .LBB5_1248
.LBB5_1246:                             ; =>This Inner Loop Header: Depth=1
	v_mov_b32_e32 v0, 1
	s_and_saveexec_b32 s5, s4
	s_cbranch_execz .LBB5_1243
; %bb.1247:                             ;   in Loop: Header=BB5_1246 Depth=1
	global_load_dword v0, v[8:9], off offset:20 glc dlc
	s_waitcnt vmcnt(0)
	buffer_gl1_inv
	buffer_gl0_inv
	v_and_b32_e32 v0, 1, v0
	s_branch .LBB5_1243
.LBB5_1248:
	global_load_dwordx2 v[2:3], v[6:7], off
	s_and_saveexec_b32 s5, s4
	s_cbranch_execz .LBB5_1252
; %bb.1249:
	v_mov_b32_e32 v8, 0
	s_clause 0x2
	global_load_dwordx2 v[0:1], v8, s[26:27] offset:40
	global_load_dwordx2 v[9:10], v8, s[26:27] offset:24 glc dlc
	global_load_dwordx2 v[6:7], v8, s[26:27]
	s_waitcnt vmcnt(2)
	v_add_co_u32 v11, vcc_lo, v0, 1
	v_add_co_ci_u32_e32 v12, vcc_lo, 0, v1, vcc_lo
	v_add_co_u32 v4, vcc_lo, v11, s6
	v_add_co_ci_u32_e32 v5, vcc_lo, s7, v12, vcc_lo
	v_cmp_eq_u64_e32 vcc_lo, 0, v[4:5]
	v_cndmask_b32_e32 v5, v5, v12, vcc_lo
	v_cndmask_b32_e32 v4, v4, v11, vcc_lo
	v_and_b32_e32 v1, v5, v1
	v_and_b32_e32 v0, v4, v0
	v_mul_lo_u32 v1, v1, 24
	v_mul_hi_u32 v11, v0, 24
	v_mul_lo_u32 v0, v0, 24
	v_add_nc_u32_e32 v1, v11, v1
	s_waitcnt vmcnt(0)
	v_add_co_u32 v0, vcc_lo, v6, v0
	v_mov_b32_e32 v6, v9
	v_add_co_ci_u32_e32 v1, vcc_lo, v7, v1, vcc_lo
	v_mov_b32_e32 v7, v10
	global_store_dwordx2 v[0:1], v[9:10], off
	s_waitcnt_vscnt null, 0x0
	global_atomic_cmpswap_x2 v[6:7], v8, v[4:7], s[26:27] offset:24 glc
	s_waitcnt vmcnt(0)
	v_cmp_ne_u64_e32 vcc_lo, v[6:7], v[9:10]
	s_and_b32 exec_lo, exec_lo, vcc_lo
	s_cbranch_execz .LBB5_1252
; %bb.1250:
	s_mov_b32 s4, 0
.LBB5_1251:                             ; =>This Inner Loop Header: Depth=1
	s_sleep 1
	global_store_dwordx2 v[0:1], v[6:7], off
	s_waitcnt_vscnt null, 0x0
	global_atomic_cmpswap_x2 v[9:10], v8, v[4:7], s[26:27] offset:24 glc
	s_waitcnt vmcnt(0)
	v_cmp_eq_u64_e32 vcc_lo, v[9:10], v[6:7]
	v_mov_b32_e32 v6, v9
	v_mov_b32_e32 v7, v10
	s_or_b32 s4, vcc_lo, s4
	s_andn2_b32 exec_lo, exec_lo, s4
	s_cbranch_execnz .LBB5_1251
.LBB5_1252:
	s_or_b32 exec_lo, exec_lo, s5
.LBB5_1253:
	v_readfirstlane_b32 s4, v48
	s_waitcnt vmcnt(0)
	v_mov_b32_e32 v0, 0
	v_mov_b32_e32 v1, 0
	v_cmp_eq_u32_e64 s4, s4, v48
	s_and_saveexec_b32 s5, s4
	s_cbranch_execz .LBB5_1259
; %bb.1254:
	v_mov_b32_e32 v4, 0
	s_mov_b32 s6, exec_lo
	global_load_dwordx2 v[7:8], v4, s[26:27] offset:24 glc dlc
	s_waitcnt vmcnt(0)
	buffer_gl1_inv
	buffer_gl0_inv
	s_clause 0x1
	global_load_dwordx2 v[0:1], v4, s[26:27] offset:40
	global_load_dwordx2 v[5:6], v4, s[26:27]
	s_waitcnt vmcnt(1)
	v_and_b32_e32 v1, v1, v8
	v_and_b32_e32 v0, v0, v7
	v_mul_lo_u32 v1, v1, 24
	v_mul_hi_u32 v9, v0, 24
	v_mul_lo_u32 v0, v0, 24
	v_add_nc_u32_e32 v1, v9, v1
	s_waitcnt vmcnt(0)
	v_add_co_u32 v0, vcc_lo, v5, v0
	v_add_co_ci_u32_e32 v1, vcc_lo, v6, v1, vcc_lo
	global_load_dwordx2 v[5:6], v[0:1], off glc dlc
	s_waitcnt vmcnt(0)
	global_atomic_cmpswap_x2 v[0:1], v4, v[5:8], s[26:27] offset:24 glc
	s_waitcnt vmcnt(0)
	buffer_gl1_inv
	buffer_gl0_inv
	v_cmpx_ne_u64_e64 v[0:1], v[7:8]
	s_cbranch_execz .LBB5_1258
; %bb.1255:
	s_mov_b32 s7, 0
	.p2align	6
.LBB5_1256:                             ; =>This Inner Loop Header: Depth=1
	s_sleep 1
	s_clause 0x1
	global_load_dwordx2 v[5:6], v4, s[26:27] offset:40
	global_load_dwordx2 v[9:10], v4, s[26:27]
	v_mov_b32_e32 v8, v1
	v_mov_b32_e32 v7, v0
	s_waitcnt vmcnt(1)
	v_and_b32_e32 v0, v5, v7
	v_and_b32_e32 v5, v6, v8
	s_waitcnt vmcnt(0)
	v_mad_u64_u32 v[0:1], null, v0, 24, v[9:10]
	v_mad_u64_u32 v[5:6], null, v5, 24, v[1:2]
	v_mov_b32_e32 v1, v5
	global_load_dwordx2 v[5:6], v[0:1], off glc dlc
	s_waitcnt vmcnt(0)
	global_atomic_cmpswap_x2 v[0:1], v4, v[5:8], s[26:27] offset:24 glc
	s_waitcnt vmcnt(0)
	buffer_gl1_inv
	buffer_gl0_inv
	v_cmp_eq_u64_e32 vcc_lo, v[0:1], v[7:8]
	s_or_b32 s7, vcc_lo, s7
	s_andn2_b32 exec_lo, exec_lo, s7
	s_cbranch_execnz .LBB5_1256
; %bb.1257:
	s_or_b32 exec_lo, exec_lo, s7
.LBB5_1258:
	s_or_b32 exec_lo, exec_lo, s6
.LBB5_1259:
	s_or_b32 exec_lo, exec_lo, s5
	v_mov_b32_e32 v5, 0
	v_readfirstlane_b32 s6, v0
	v_readfirstlane_b32 s7, v1
	s_mov_b32 s5, exec_lo
	s_clause 0x1
	global_load_dwordx2 v[10:11], v5, s[26:27] offset:40
	global_load_dwordx4 v[6:9], v5, s[26:27]
	s_waitcnt vmcnt(1)
	v_readfirstlane_b32 s10, v10
	v_readfirstlane_b32 s11, v11
	s_and_b64 s[10:11], s[6:7], s[10:11]
	s_mul_i32 s16, s11, 24
	s_mul_hi_u32 s17, s10, 24
	s_mul_i32 s18, s10, 24
	s_add_i32 s17, s17, s16
	s_waitcnt vmcnt(0)
	v_add_co_u32 v10, vcc_lo, v6, s18
	v_add_co_ci_u32_e32 v11, vcc_lo, s17, v7, vcc_lo
	s_and_saveexec_b32 s16, s4
	s_cbranch_execz .LBB5_1261
; %bb.1260:
	v_mov_b32_e32 v4, s5
	v_mov_b32_e32 v13, v5
	;; [unrolled: 1-line block ×5, first 2 shown]
	global_store_dwordx4 v[10:11], v[12:15], off offset:8
.LBB5_1261:
	s_or_b32 exec_lo, exec_lo, s16
	s_lshl_b64 s[10:11], s[10:11], 12
	s_mov_b32 s16, 0
	v_add_co_u32 v0, vcc_lo, v8, s10
	v_add_co_ci_u32_e32 v1, vcc_lo, s11, v9, vcc_lo
	s_mov_b32 s17, s16
	s_mov_b32 s18, s16
	;; [unrolled: 1-line block ×3, first 2 shown]
	v_and_or_b32 v2, 0xffffff1d, v2, 34
	v_mov_b32_e32 v4, 10
	v_readfirstlane_b32 s10, v0
	v_readfirstlane_b32 s11, v1
	v_mov_b32_e32 v12, s16
	v_mov_b32_e32 v13, s17
	;; [unrolled: 1-line block ×4, first 2 shown]
	global_store_dwordx4 v39, v[2:5], s[10:11]
	global_store_dwordx4 v39, v[12:15], s[10:11] offset:16
	global_store_dwordx4 v39, v[12:15], s[10:11] offset:32
	global_store_dwordx4 v39, v[12:15], s[10:11] offset:48
	s_and_saveexec_b32 s5, s4
	s_cbranch_execz .LBB5_1269
; %bb.1262:
	v_mov_b32_e32 v8, 0
	v_mov_b32_e32 v12, s6
	;; [unrolled: 1-line block ×3, first 2 shown]
	s_clause 0x1
	global_load_dwordx2 v[14:15], v8, s[26:27] offset:32 glc dlc
	global_load_dwordx2 v[0:1], v8, s[26:27] offset:40
	s_waitcnt vmcnt(0)
	v_readfirstlane_b32 s10, v0
	v_readfirstlane_b32 s11, v1
	s_and_b64 s[10:11], s[10:11], s[6:7]
	s_mul_i32 s11, s11, 24
	s_mul_hi_u32 s16, s10, 24
	s_mul_i32 s10, s10, 24
	s_add_i32 s16, s16, s11
	v_add_co_u32 v4, vcc_lo, v6, s10
	v_add_co_ci_u32_e32 v5, vcc_lo, s16, v7, vcc_lo
	s_mov_b32 s10, exec_lo
	global_store_dwordx2 v[4:5], v[14:15], off
	s_waitcnt_vscnt null, 0x0
	global_atomic_cmpswap_x2 v[2:3], v8, v[12:15], s[26:27] offset:32 glc
	s_waitcnt vmcnt(0)
	v_cmpx_ne_u64_e64 v[2:3], v[14:15]
	s_cbranch_execz .LBB5_1265
; %bb.1263:
	s_mov_b32 s11, 0
.LBB5_1264:                             ; =>This Inner Loop Header: Depth=1
	v_mov_b32_e32 v0, s6
	v_mov_b32_e32 v1, s7
	s_sleep 1
	global_store_dwordx2 v[4:5], v[2:3], off
	s_waitcnt_vscnt null, 0x0
	global_atomic_cmpswap_x2 v[0:1], v8, v[0:3], s[26:27] offset:32 glc
	s_waitcnt vmcnt(0)
	v_cmp_eq_u64_e32 vcc_lo, v[0:1], v[2:3]
	v_mov_b32_e32 v3, v1
	v_mov_b32_e32 v2, v0
	s_or_b32 s11, vcc_lo, s11
	s_andn2_b32 exec_lo, exec_lo, s11
	s_cbranch_execnz .LBB5_1264
.LBB5_1265:
	s_or_b32 exec_lo, exec_lo, s10
	v_mov_b32_e32 v3, 0
	s_mov_b32 s11, exec_lo
	s_mov_b32 s10, exec_lo
	v_mbcnt_lo_u32_b32 v2, s11, 0
	global_load_dwordx2 v[0:1], v3, s[26:27] offset:16
	v_cmpx_eq_u32_e32 0, v2
	s_cbranch_execz .LBB5_1267
; %bb.1266:
	s_bcnt1_i32_b32 s11, s11
	v_mov_b32_e32 v2, s11
	s_waitcnt vmcnt(0)
	global_atomic_add_x2 v[0:1], v[2:3], off offset:8
.LBB5_1267:
	s_or_b32 exec_lo, exec_lo, s10
	s_waitcnt vmcnt(0)
	global_load_dwordx2 v[2:3], v[0:1], off offset:16
	s_waitcnt vmcnt(0)
	v_cmp_eq_u64_e32 vcc_lo, 0, v[2:3]
	s_cbranch_vccnz .LBB5_1269
; %bb.1268:
	global_load_dword v0, v[0:1], off offset:24
	v_mov_b32_e32 v1, 0
	s_waitcnt vmcnt(0)
	v_and_b32_e32 v4, 0x7fffff, v0
	s_waitcnt_vscnt null, 0x0
	global_store_dwordx2 v[2:3], v[0:1], off
	v_readfirstlane_b32 m0, v4
	s_sendmsg sendmsg(MSG_INTERRUPT)
.LBB5_1269:
	s_or_b32 exec_lo, exec_lo, s5
	s_branch .LBB5_1273
	.p2align	6
.LBB5_1270:                             ;   in Loop: Header=BB5_1273 Depth=1
	s_or_b32 exec_lo, exec_lo, s5
	v_readfirstlane_b32 s5, v0
	s_cmp_eq_u32 s5, 0
	s_cbranch_scc1 .LBB5_1272
; %bb.1271:                             ;   in Loop: Header=BB5_1273 Depth=1
	s_sleep 1
	s_cbranch_execnz .LBB5_1273
	s_branch .LBB5_1275
	.p2align	6
.LBB5_1272:
	s_branch .LBB5_1275
.LBB5_1273:                             ; =>This Inner Loop Header: Depth=1
	v_mov_b32_e32 v0, 1
	s_and_saveexec_b32 s5, s4
	s_cbranch_execz .LBB5_1270
; %bb.1274:                             ;   in Loop: Header=BB5_1273 Depth=1
	global_load_dword v0, v[10:11], off offset:20 glc dlc
	s_waitcnt vmcnt(0)
	buffer_gl1_inv
	buffer_gl0_inv
	v_and_b32_e32 v0, 1, v0
	s_branch .LBB5_1270
.LBB5_1275:
	s_and_saveexec_b32 s5, s4
	s_cbranch_execz .LBB5_1279
; %bb.1276:
	v_mov_b32_e32 v6, 0
	s_clause 0x2
	global_load_dwordx2 v[2:3], v6, s[26:27] offset:40
	global_load_dwordx2 v[7:8], v6, s[26:27] offset:24 glc dlc
	global_load_dwordx2 v[4:5], v6, s[26:27]
	s_waitcnt vmcnt(2)
	v_add_co_u32 v9, vcc_lo, v2, 1
	v_add_co_ci_u32_e32 v10, vcc_lo, 0, v3, vcc_lo
	v_add_co_u32 v0, vcc_lo, v9, s6
	v_add_co_ci_u32_e32 v1, vcc_lo, s7, v10, vcc_lo
	v_cmp_eq_u64_e32 vcc_lo, 0, v[0:1]
	v_cndmask_b32_e32 v1, v1, v10, vcc_lo
	v_cndmask_b32_e32 v0, v0, v9, vcc_lo
	v_and_b32_e32 v3, v1, v3
	v_and_b32_e32 v2, v0, v2
	v_mul_lo_u32 v3, v3, 24
	v_mul_hi_u32 v9, v2, 24
	v_mul_lo_u32 v2, v2, 24
	v_add_nc_u32_e32 v3, v9, v3
	s_waitcnt vmcnt(0)
	v_add_co_u32 v4, vcc_lo, v4, v2
	v_mov_b32_e32 v2, v7
	v_add_co_ci_u32_e32 v5, vcc_lo, v5, v3, vcc_lo
	v_mov_b32_e32 v3, v8
	global_store_dwordx2 v[4:5], v[7:8], off
	s_waitcnt_vscnt null, 0x0
	global_atomic_cmpswap_x2 v[2:3], v6, v[0:3], s[26:27] offset:24 glc
	s_waitcnt vmcnt(0)
	v_cmp_ne_u64_e32 vcc_lo, v[2:3], v[7:8]
	s_and_b32 exec_lo, exec_lo, vcc_lo
	s_cbranch_execz .LBB5_1279
; %bb.1277:
	s_mov_b32 s4, 0
.LBB5_1278:                             ; =>This Inner Loop Header: Depth=1
	s_sleep 1
	global_store_dwordx2 v[4:5], v[2:3], off
	s_waitcnt_vscnt null, 0x0
	global_atomic_cmpswap_x2 v[7:8], v6, v[0:3], s[26:27] offset:24 glc
	s_waitcnt vmcnt(0)
	v_cmp_eq_u64_e32 vcc_lo, v[7:8], v[2:3]
	v_mov_b32_e32 v2, v7
	v_mov_b32_e32 v3, v8
	s_or_b32 s4, vcc_lo, s4
	s_andn2_b32 exec_lo, exec_lo, s4
	s_cbranch_execnz .LBB5_1278
.LBB5_1279:
	s_or_b32 exec_lo, exec_lo, s5
	v_readfirstlane_b32 s4, v48
	v_mov_b32_e32 v6, 0
	v_mov_b32_e32 v7, 0
	v_cmp_eq_u32_e64 s4, s4, v48
	s_and_saveexec_b32 s5, s4
	s_cbranch_execz .LBB5_1285
; %bb.1280:
	v_mov_b32_e32 v0, 0
	s_mov_b32 s6, exec_lo
	global_load_dwordx2 v[3:4], v0, s[26:27] offset:24 glc dlc
	s_waitcnt vmcnt(0)
	buffer_gl1_inv
	buffer_gl0_inv
	s_clause 0x1
	global_load_dwordx2 v[1:2], v0, s[26:27] offset:40
	global_load_dwordx2 v[5:6], v0, s[26:27]
	s_waitcnt vmcnt(1)
	v_and_b32_e32 v2, v2, v4
	v_and_b32_e32 v1, v1, v3
	v_mul_lo_u32 v2, v2, 24
	v_mul_hi_u32 v7, v1, 24
	v_mul_lo_u32 v1, v1, 24
	v_add_nc_u32_e32 v2, v7, v2
	s_waitcnt vmcnt(0)
	v_add_co_u32 v1, vcc_lo, v5, v1
	v_add_co_ci_u32_e32 v2, vcc_lo, v6, v2, vcc_lo
	global_load_dwordx2 v[1:2], v[1:2], off glc dlc
	s_waitcnt vmcnt(0)
	global_atomic_cmpswap_x2 v[6:7], v0, v[1:4], s[26:27] offset:24 glc
	s_waitcnt vmcnt(0)
	buffer_gl1_inv
	buffer_gl0_inv
	v_cmpx_ne_u64_e64 v[6:7], v[3:4]
	s_cbranch_execz .LBB5_1284
; %bb.1281:
	s_mov_b32 s7, 0
	.p2align	6
.LBB5_1282:                             ; =>This Inner Loop Header: Depth=1
	s_sleep 1
	s_clause 0x1
	global_load_dwordx2 v[1:2], v0, s[26:27] offset:40
	global_load_dwordx2 v[8:9], v0, s[26:27]
	v_mov_b32_e32 v3, v6
	v_mov_b32_e32 v4, v7
	s_waitcnt vmcnt(1)
	v_and_b32_e32 v1, v1, v3
	v_and_b32_e32 v2, v2, v4
	s_waitcnt vmcnt(0)
	v_mad_u64_u32 v[5:6], null, v1, 24, v[8:9]
	v_mov_b32_e32 v1, v6
	v_mad_u64_u32 v[1:2], null, v2, 24, v[1:2]
	v_mov_b32_e32 v6, v1
	global_load_dwordx2 v[1:2], v[5:6], off glc dlc
	s_waitcnt vmcnt(0)
	global_atomic_cmpswap_x2 v[6:7], v0, v[1:4], s[26:27] offset:24 glc
	s_waitcnt vmcnt(0)
	buffer_gl1_inv
	buffer_gl0_inv
	v_cmp_eq_u64_e32 vcc_lo, v[6:7], v[3:4]
	s_or_b32 s7, vcc_lo, s7
	s_andn2_b32 exec_lo, exec_lo, s7
	s_cbranch_execnz .LBB5_1282
; %bb.1283:
	s_or_b32 exec_lo, exec_lo, s7
.LBB5_1284:
	s_or_b32 exec_lo, exec_lo, s6
.LBB5_1285:
	s_or_b32 exec_lo, exec_lo, s5
	v_mov_b32_e32 v5, 0
	v_readfirstlane_b32 s6, v6
	v_readfirstlane_b32 s7, v7
	s_mov_b32 s5, exec_lo
	s_clause 0x1
	global_load_dwordx2 v[8:9], v5, s[26:27] offset:40
	global_load_dwordx4 v[0:3], v5, s[26:27]
	s_waitcnt vmcnt(1)
	v_readfirstlane_b32 s10, v8
	v_readfirstlane_b32 s11, v9
	s_and_b64 s[10:11], s[6:7], s[10:11]
	s_mul_i32 s16, s11, 24
	s_mul_hi_u32 s17, s10, 24
	s_mul_i32 s18, s10, 24
	s_add_i32 s17, s17, s16
	s_waitcnt vmcnt(0)
	v_add_co_u32 v8, vcc_lo, v0, s18
	v_add_co_ci_u32_e32 v9, vcc_lo, s17, v1, vcc_lo
	s_and_saveexec_b32 s16, s4
	s_cbranch_execz .LBB5_1287
; %bb.1286:
	v_mov_b32_e32 v4, s5
	v_mov_b32_e32 v6, 2
	;; [unrolled: 1-line block ×3, first 2 shown]
	global_store_dwordx4 v[8:9], v[4:7], off offset:8
.LBB5_1287:
	s_or_b32 exec_lo, exec_lo, s16
	s_lshl_b64 s[10:11], s[10:11], 12
	s_mov_b32 s16, 0
	v_add_co_u32 v2, vcc_lo, v2, s10
	v_add_co_ci_u32_e32 v3, vcc_lo, s11, v3, vcc_lo
	s_mov_b32 s17, s16
	v_add_co_u32 v10, vcc_lo, v2, v39
	s_mov_b32 s18, s16
	s_mov_b32 s19, s16
	v_mov_b32_e32 v4, 33
	v_mov_b32_e32 v6, v5
	;; [unrolled: 1-line block ×3, first 2 shown]
	v_readfirstlane_b32 s10, v2
	v_readfirstlane_b32 s11, v3
	v_mov_b32_e32 v12, s16
	v_add_co_ci_u32_e32 v11, vcc_lo, 0, v3, vcc_lo
	v_mov_b32_e32 v13, s17
	v_mov_b32_e32 v14, s18
	;; [unrolled: 1-line block ×3, first 2 shown]
	global_store_dwordx4 v39, v[4:7], s[10:11]
	global_store_dwordx4 v39, v[12:15], s[10:11] offset:16
	global_store_dwordx4 v39, v[12:15], s[10:11] offset:32
	global_store_dwordx4 v39, v[12:15], s[10:11] offset:48
	s_and_saveexec_b32 s5, s4
	s_cbranch_execz .LBB5_1295
; %bb.1288:
	v_mov_b32_e32 v6, 0
	v_mov_b32_e32 v12, s6
	;; [unrolled: 1-line block ×3, first 2 shown]
	s_clause 0x1
	global_load_dwordx2 v[14:15], v6, s[26:27] offset:32 glc dlc
	global_load_dwordx2 v[2:3], v6, s[26:27] offset:40
	s_waitcnt vmcnt(0)
	v_readfirstlane_b32 s10, v2
	v_readfirstlane_b32 s11, v3
	s_and_b64 s[10:11], s[10:11], s[6:7]
	s_mul_i32 s11, s11, 24
	s_mul_hi_u32 s16, s10, 24
	s_mul_i32 s10, s10, 24
	s_add_i32 s16, s16, s11
	v_add_co_u32 v4, vcc_lo, v0, s10
	v_add_co_ci_u32_e32 v5, vcc_lo, s16, v1, vcc_lo
	s_mov_b32 s10, exec_lo
	global_store_dwordx2 v[4:5], v[14:15], off
	s_waitcnt_vscnt null, 0x0
	global_atomic_cmpswap_x2 v[2:3], v6, v[12:15], s[26:27] offset:32 glc
	s_waitcnt vmcnt(0)
	v_cmpx_ne_u64_e64 v[2:3], v[14:15]
	s_cbranch_execz .LBB5_1291
; %bb.1289:
	s_mov_b32 s11, 0
.LBB5_1290:                             ; =>This Inner Loop Header: Depth=1
	v_mov_b32_e32 v0, s6
	v_mov_b32_e32 v1, s7
	s_sleep 1
	global_store_dwordx2 v[4:5], v[2:3], off
	s_waitcnt_vscnt null, 0x0
	global_atomic_cmpswap_x2 v[0:1], v6, v[0:3], s[26:27] offset:32 glc
	s_waitcnt vmcnt(0)
	v_cmp_eq_u64_e32 vcc_lo, v[0:1], v[2:3]
	v_mov_b32_e32 v3, v1
	v_mov_b32_e32 v2, v0
	s_or_b32 s11, vcc_lo, s11
	s_andn2_b32 exec_lo, exec_lo, s11
	s_cbranch_execnz .LBB5_1290
.LBB5_1291:
	s_or_b32 exec_lo, exec_lo, s10
	v_mov_b32_e32 v3, 0
	s_mov_b32 s11, exec_lo
	s_mov_b32 s10, exec_lo
	v_mbcnt_lo_u32_b32 v2, s11, 0
	global_load_dwordx2 v[0:1], v3, s[26:27] offset:16
	v_cmpx_eq_u32_e32 0, v2
	s_cbranch_execz .LBB5_1293
; %bb.1292:
	s_bcnt1_i32_b32 s11, s11
	v_mov_b32_e32 v2, s11
	s_waitcnt vmcnt(0)
	global_atomic_add_x2 v[0:1], v[2:3], off offset:8
.LBB5_1293:
	s_or_b32 exec_lo, exec_lo, s10
	s_waitcnt vmcnt(0)
	global_load_dwordx2 v[2:3], v[0:1], off offset:16
	s_waitcnt vmcnt(0)
	v_cmp_eq_u64_e32 vcc_lo, 0, v[2:3]
	s_cbranch_vccnz .LBB5_1295
; %bb.1294:
	global_load_dword v0, v[0:1], off offset:24
	v_mov_b32_e32 v1, 0
	s_waitcnt vmcnt(0)
	v_and_b32_e32 v4, 0x7fffff, v0
	s_waitcnt_vscnt null, 0x0
	global_store_dwordx2 v[2:3], v[0:1], off
	v_readfirstlane_b32 m0, v4
	s_sendmsg sendmsg(MSG_INTERRUPT)
.LBB5_1295:
	s_or_b32 exec_lo, exec_lo, s5
	s_branch .LBB5_1299
	.p2align	6
.LBB5_1296:                             ;   in Loop: Header=BB5_1299 Depth=1
	s_or_b32 exec_lo, exec_lo, s5
	v_readfirstlane_b32 s5, v0
	s_cmp_eq_u32 s5, 0
	s_cbranch_scc1 .LBB5_1298
; %bb.1297:                             ;   in Loop: Header=BB5_1299 Depth=1
	s_sleep 1
	s_cbranch_execnz .LBB5_1299
	s_branch .LBB5_1301
	.p2align	6
.LBB5_1298:
	s_branch .LBB5_1301
.LBB5_1299:                             ; =>This Inner Loop Header: Depth=1
	v_mov_b32_e32 v0, 1
	s_and_saveexec_b32 s5, s4
	s_cbranch_execz .LBB5_1296
; %bb.1300:                             ;   in Loop: Header=BB5_1299 Depth=1
	global_load_dword v0, v[8:9], off offset:20 glc dlc
	s_waitcnt vmcnt(0)
	buffer_gl1_inv
	buffer_gl0_inv
	v_and_b32_e32 v0, 1, v0
	s_branch .LBB5_1296
.LBB5_1301:
	global_load_dwordx2 v[4:5], v[10:11], off
	s_and_saveexec_b32 s5, s4
	s_cbranch_execz .LBB5_1305
; %bb.1302:
	v_mov_b32_e32 v8, 0
	s_clause 0x2
	global_load_dwordx2 v[2:3], v8, s[26:27] offset:40
	global_load_dwordx2 v[9:10], v8, s[26:27] offset:24 glc dlc
	global_load_dwordx2 v[6:7], v8, s[26:27]
	s_waitcnt vmcnt(2)
	v_add_co_u32 v11, vcc_lo, v2, 1
	v_add_co_ci_u32_e32 v12, vcc_lo, 0, v3, vcc_lo
	v_add_co_u32 v0, vcc_lo, v11, s6
	v_add_co_ci_u32_e32 v1, vcc_lo, s7, v12, vcc_lo
	v_cmp_eq_u64_e32 vcc_lo, 0, v[0:1]
	v_cndmask_b32_e32 v1, v1, v12, vcc_lo
	v_cndmask_b32_e32 v0, v0, v11, vcc_lo
	v_and_b32_e32 v3, v1, v3
	v_and_b32_e32 v2, v0, v2
	v_mul_lo_u32 v3, v3, 24
	v_mul_hi_u32 v11, v2, 24
	v_mul_lo_u32 v2, v2, 24
	v_add_nc_u32_e32 v3, v11, v3
	s_waitcnt vmcnt(0)
	v_add_co_u32 v6, vcc_lo, v6, v2
	v_mov_b32_e32 v2, v9
	v_add_co_ci_u32_e32 v7, vcc_lo, v7, v3, vcc_lo
	v_mov_b32_e32 v3, v10
	global_store_dwordx2 v[6:7], v[9:10], off
	s_waitcnt_vscnt null, 0x0
	global_atomic_cmpswap_x2 v[2:3], v8, v[0:3], s[26:27] offset:24 glc
	s_waitcnt vmcnt(0)
	v_cmp_ne_u64_e32 vcc_lo, v[2:3], v[9:10]
	s_and_b32 exec_lo, exec_lo, vcc_lo
	s_cbranch_execz .LBB5_1305
; %bb.1303:
	s_mov_b32 s4, 0
.LBB5_1304:                             ; =>This Inner Loop Header: Depth=1
	s_sleep 1
	global_store_dwordx2 v[6:7], v[2:3], off
	s_waitcnt_vscnt null, 0x0
	global_atomic_cmpswap_x2 v[9:10], v8, v[0:3], s[26:27] offset:24 glc
	s_waitcnt vmcnt(0)
	v_cmp_eq_u64_e32 vcc_lo, v[9:10], v[2:3]
	v_mov_b32_e32 v2, v9
	v_mov_b32_e32 v3, v10
	s_or_b32 s4, vcc_lo, s4
	s_andn2_b32 exec_lo, exec_lo, s4
	s_cbranch_execnz .LBB5_1304
.LBB5_1305:
	s_or_b32 exec_lo, exec_lo, s5
	s_and_b32 vcc_lo, exec_lo, s15
	s_cbranch_vccz .LBB5_1384
; %bb.1306:
	s_waitcnt vmcnt(0)
	v_and_b32_e32 v28, 2, v4
	v_mov_b32_e32 v7, 0
	v_and_b32_e32 v0, -3, v4
	v_mov_b32_e32 v1, v5
	v_mov_b32_e32 v8, 2
	;; [unrolled: 1-line block ×3, first 2 shown]
	s_mov_b64 s[10:11], 3
	s_getpc_b64 s[6:7]
	s_add_u32 s6, s6, .str.5@rel32@lo+4
	s_addc_u32 s7, s7, .str.5@rel32@hi+12
	s_branch .LBB5_1308
.LBB5_1307:                             ;   in Loop: Header=BB5_1308 Depth=1
	s_or_b32 exec_lo, exec_lo, s5
	s_sub_u32 s10, s10, s16
	s_subb_u32 s11, s11, s17
	s_add_u32 s6, s6, s16
	s_addc_u32 s7, s7, s17
	s_cmp_lg_u64 s[10:11], 0
	s_cbranch_scc0 .LBB5_1383
.LBB5_1308:                             ; =>This Loop Header: Depth=1
                                        ;     Child Loop BB5_1317 Depth 2
                                        ;     Child Loop BB5_1313 Depth 2
	;; [unrolled: 1-line block ×11, first 2 shown]
	v_cmp_lt_u64_e64 s4, s[10:11], 56
	v_cmp_gt_u64_e64 s5, s[10:11], 7
                                        ; implicit-def: $vgpr2_vgpr3
                                        ; implicit-def: $sgpr15
	s_and_b32 s4, s4, exec_lo
	s_cselect_b32 s17, s11, 0
	s_cselect_b32 s16, s10, 56
	s_and_b32 vcc_lo, exec_lo, s5
	s_mov_b32 s4, -1
	s_cbranch_vccz .LBB5_1315
; %bb.1309:                             ;   in Loop: Header=BB5_1308 Depth=1
	s_andn2_b32 vcc_lo, exec_lo, s4
	s_mov_b64 s[4:5], s[6:7]
	s_cbranch_vccz .LBB5_1319
.LBB5_1310:                             ;   in Loop: Header=BB5_1308 Depth=1
	s_cmp_gt_u32 s15, 7
	s_cbranch_scc1 .LBB5_1320
.LBB5_1311:                             ;   in Loop: Header=BB5_1308 Depth=1
	v_mov_b32_e32 v10, 0
	v_mov_b32_e32 v11, 0
	s_cmp_eq_u32 s15, 0
	s_cbranch_scc1 .LBB5_1314
; %bb.1312:                             ;   in Loop: Header=BB5_1308 Depth=1
	s_mov_b64 s[18:19], 0
	s_mov_b64 s[20:21], 0
.LBB5_1313:                             ;   Parent Loop BB5_1308 Depth=1
                                        ; =>  This Inner Loop Header: Depth=2
	s_add_u32 s22, s4, s20
	s_addc_u32 s23, s5, s21
	s_add_u32 s20, s20, 1
	global_load_ubyte v6, v7, s[22:23]
	s_addc_u32 s21, s21, 0
	s_waitcnt vmcnt(0)
	v_and_b32_e32 v6, 0xffff, v6
	v_lshlrev_b64 v[12:13], s18, v[6:7]
	s_add_u32 s18, s18, 8
	s_addc_u32 s19, s19, 0
	s_cmp_lg_u32 s15, s20
	v_or_b32_e32 v10, v12, v10
	v_or_b32_e32 v11, v13, v11
	s_cbranch_scc1 .LBB5_1313
.LBB5_1314:                             ;   in Loop: Header=BB5_1308 Depth=1
	s_mov_b32 s22, 0
	s_cbranch_execz .LBB5_1321
	s_branch .LBB5_1322
.LBB5_1315:                             ;   in Loop: Header=BB5_1308 Depth=1
	s_waitcnt vmcnt(0)
	v_mov_b32_e32 v2, 0
	v_mov_b32_e32 v3, 0
	s_cmp_eq_u64 s[10:11], 0
	s_mov_b64 s[4:5], 0
	s_cbranch_scc1 .LBB5_1318
; %bb.1316:                             ;   in Loop: Header=BB5_1308 Depth=1
	v_mov_b32_e32 v2, 0
	v_mov_b32_e32 v3, 0
	s_lshl_b64 s[18:19], s[16:17], 3
	s_mov_b64 s[20:21], s[6:7]
.LBB5_1317:                             ;   Parent Loop BB5_1308 Depth=1
                                        ; =>  This Inner Loop Header: Depth=2
	global_load_ubyte v6, v7, s[20:21]
	s_waitcnt vmcnt(0)
	v_and_b32_e32 v6, 0xffff, v6
	v_lshlrev_b64 v[10:11], s4, v[6:7]
	s_add_u32 s4, s4, 8
	s_addc_u32 s5, s5, 0
	s_add_u32 s20, s20, 1
	s_addc_u32 s21, s21, 0
	s_cmp_lg_u32 s18, s4
	v_or_b32_e32 v2, v10, v2
	v_or_b32_e32 v3, v11, v3
	s_cbranch_scc1 .LBB5_1317
.LBB5_1318:                             ;   in Loop: Header=BB5_1308 Depth=1
	s_mov_b32 s15, 0
	s_mov_b64 s[4:5], s[6:7]
	s_cbranch_execnz .LBB5_1310
.LBB5_1319:                             ;   in Loop: Header=BB5_1308 Depth=1
	global_load_dwordx2 v[2:3], v7, s[6:7]
	s_add_i32 s15, s16, -8
	s_add_u32 s4, s6, 8
	s_addc_u32 s5, s7, 0
	s_cmp_gt_u32 s15, 7
	s_cbranch_scc0 .LBB5_1311
.LBB5_1320:                             ;   in Loop: Header=BB5_1308 Depth=1
                                        ; implicit-def: $vgpr10_vgpr11
                                        ; implicit-def: $sgpr22
.LBB5_1321:                             ;   in Loop: Header=BB5_1308 Depth=1
	global_load_dwordx2 v[10:11], v7, s[4:5]
	s_add_i32 s22, s15, -8
	s_add_u32 s4, s4, 8
	s_addc_u32 s5, s5, 0
.LBB5_1322:                             ;   in Loop: Header=BB5_1308 Depth=1
	s_cmp_gt_u32 s22, 7
	s_cbranch_scc1 .LBB5_1327
; %bb.1323:                             ;   in Loop: Header=BB5_1308 Depth=1
	v_mov_b32_e32 v12, 0
	v_mov_b32_e32 v13, 0
	s_cmp_eq_u32 s22, 0
	s_cbranch_scc1 .LBB5_1326
; %bb.1324:                             ;   in Loop: Header=BB5_1308 Depth=1
	s_mov_b64 s[18:19], 0
	s_mov_b64 s[20:21], 0
.LBB5_1325:                             ;   Parent Loop BB5_1308 Depth=1
                                        ; =>  This Inner Loop Header: Depth=2
	s_add_u32 s24, s4, s20
	s_addc_u32 s25, s5, s21
	s_add_u32 s20, s20, 1
	global_load_ubyte v6, v7, s[24:25]
	s_addc_u32 s21, s21, 0
	s_waitcnt vmcnt(0)
	v_and_b32_e32 v6, 0xffff, v6
	v_lshlrev_b64 v[14:15], s18, v[6:7]
	s_add_u32 s18, s18, 8
	s_addc_u32 s19, s19, 0
	s_cmp_lg_u32 s22, s20
	v_or_b32_e32 v12, v14, v12
	v_or_b32_e32 v13, v15, v13
	s_cbranch_scc1 .LBB5_1325
.LBB5_1326:                             ;   in Loop: Header=BB5_1308 Depth=1
	s_mov_b32 s15, 0
	s_cbranch_execz .LBB5_1328
	s_branch .LBB5_1329
.LBB5_1327:                             ;   in Loop: Header=BB5_1308 Depth=1
                                        ; implicit-def: $sgpr15
.LBB5_1328:                             ;   in Loop: Header=BB5_1308 Depth=1
	global_load_dwordx2 v[12:13], v7, s[4:5]
	s_add_i32 s15, s22, -8
	s_add_u32 s4, s4, 8
	s_addc_u32 s5, s5, 0
.LBB5_1329:                             ;   in Loop: Header=BB5_1308 Depth=1
	s_cmp_gt_u32 s15, 7
	s_cbranch_scc1 .LBB5_1334
; %bb.1330:                             ;   in Loop: Header=BB5_1308 Depth=1
	v_mov_b32_e32 v14, 0
	v_mov_b32_e32 v15, 0
	s_cmp_eq_u32 s15, 0
	s_cbranch_scc1 .LBB5_1333
; %bb.1331:                             ;   in Loop: Header=BB5_1308 Depth=1
	s_mov_b64 s[18:19], 0
	s_mov_b64 s[20:21], 0
.LBB5_1332:                             ;   Parent Loop BB5_1308 Depth=1
                                        ; =>  This Inner Loop Header: Depth=2
	s_add_u32 s22, s4, s20
	s_addc_u32 s23, s5, s21
	s_add_u32 s20, s20, 1
	global_load_ubyte v6, v7, s[22:23]
	s_addc_u32 s21, s21, 0
	s_waitcnt vmcnt(0)
	v_and_b32_e32 v6, 0xffff, v6
	v_lshlrev_b64 v[16:17], s18, v[6:7]
	s_add_u32 s18, s18, 8
	s_addc_u32 s19, s19, 0
	s_cmp_lg_u32 s15, s20
	v_or_b32_e32 v14, v16, v14
	v_or_b32_e32 v15, v17, v15
	s_cbranch_scc1 .LBB5_1332
.LBB5_1333:                             ;   in Loop: Header=BB5_1308 Depth=1
	s_mov_b32 s22, 0
	s_cbranch_execz .LBB5_1335
	s_branch .LBB5_1336
.LBB5_1334:                             ;   in Loop: Header=BB5_1308 Depth=1
                                        ; implicit-def: $vgpr14_vgpr15
                                        ; implicit-def: $sgpr22
.LBB5_1335:                             ;   in Loop: Header=BB5_1308 Depth=1
	global_load_dwordx2 v[14:15], v7, s[4:5]
	s_add_i32 s22, s15, -8
	s_add_u32 s4, s4, 8
	s_addc_u32 s5, s5, 0
.LBB5_1336:                             ;   in Loop: Header=BB5_1308 Depth=1
	s_cmp_gt_u32 s22, 7
	s_cbranch_scc1 .LBB5_1341
; %bb.1337:                             ;   in Loop: Header=BB5_1308 Depth=1
	v_mov_b32_e32 v16, 0
	v_mov_b32_e32 v17, 0
	s_cmp_eq_u32 s22, 0
	s_cbranch_scc1 .LBB5_1340
; %bb.1338:                             ;   in Loop: Header=BB5_1308 Depth=1
	s_mov_b64 s[18:19], 0
	s_mov_b64 s[20:21], 0
.LBB5_1339:                             ;   Parent Loop BB5_1308 Depth=1
                                        ; =>  This Inner Loop Header: Depth=2
	s_add_u32 s24, s4, s20
	s_addc_u32 s25, s5, s21
	s_add_u32 s20, s20, 1
	global_load_ubyte v6, v7, s[24:25]
	s_addc_u32 s21, s21, 0
	s_waitcnt vmcnt(0)
	v_and_b32_e32 v6, 0xffff, v6
	v_lshlrev_b64 v[18:19], s18, v[6:7]
	s_add_u32 s18, s18, 8
	s_addc_u32 s19, s19, 0
	s_cmp_lg_u32 s22, s20
	v_or_b32_e32 v16, v18, v16
	v_or_b32_e32 v17, v19, v17
	s_cbranch_scc1 .LBB5_1339
.LBB5_1340:                             ;   in Loop: Header=BB5_1308 Depth=1
	s_mov_b32 s15, 0
	s_cbranch_execz .LBB5_1342
	s_branch .LBB5_1343
.LBB5_1341:                             ;   in Loop: Header=BB5_1308 Depth=1
                                        ; implicit-def: $sgpr15
.LBB5_1342:                             ;   in Loop: Header=BB5_1308 Depth=1
	global_load_dwordx2 v[16:17], v7, s[4:5]
	s_add_i32 s15, s22, -8
	s_add_u32 s4, s4, 8
	s_addc_u32 s5, s5, 0
.LBB5_1343:                             ;   in Loop: Header=BB5_1308 Depth=1
	s_cmp_gt_u32 s15, 7
	s_cbranch_scc1 .LBB5_1348
; %bb.1344:                             ;   in Loop: Header=BB5_1308 Depth=1
	v_mov_b32_e32 v18, 0
	v_mov_b32_e32 v19, 0
	s_cmp_eq_u32 s15, 0
	s_cbranch_scc1 .LBB5_1347
; %bb.1345:                             ;   in Loop: Header=BB5_1308 Depth=1
	s_mov_b64 s[18:19], 0
	s_mov_b64 s[20:21], 0
.LBB5_1346:                             ;   Parent Loop BB5_1308 Depth=1
                                        ; =>  This Inner Loop Header: Depth=2
	s_add_u32 s22, s4, s20
	s_addc_u32 s23, s5, s21
	s_add_u32 s20, s20, 1
	global_load_ubyte v6, v7, s[22:23]
	s_addc_u32 s21, s21, 0
	s_waitcnt vmcnt(0)
	v_and_b32_e32 v6, 0xffff, v6
	v_lshlrev_b64 v[20:21], s18, v[6:7]
	s_add_u32 s18, s18, 8
	s_addc_u32 s19, s19, 0
	s_cmp_lg_u32 s15, s20
	v_or_b32_e32 v18, v20, v18
	v_or_b32_e32 v19, v21, v19
	s_cbranch_scc1 .LBB5_1346
.LBB5_1347:                             ;   in Loop: Header=BB5_1308 Depth=1
	s_mov_b32 s22, 0
	s_cbranch_execz .LBB5_1349
	s_branch .LBB5_1350
.LBB5_1348:                             ;   in Loop: Header=BB5_1308 Depth=1
                                        ; implicit-def: $vgpr18_vgpr19
                                        ; implicit-def: $sgpr22
.LBB5_1349:                             ;   in Loop: Header=BB5_1308 Depth=1
	global_load_dwordx2 v[18:19], v7, s[4:5]
	s_add_i32 s22, s15, -8
	s_add_u32 s4, s4, 8
	s_addc_u32 s5, s5, 0
.LBB5_1350:                             ;   in Loop: Header=BB5_1308 Depth=1
	s_cmp_gt_u32 s22, 7
	s_cbranch_scc1 .LBB5_1355
; %bb.1351:                             ;   in Loop: Header=BB5_1308 Depth=1
	v_mov_b32_e32 v20, 0
	v_mov_b32_e32 v21, 0
	s_cmp_eq_u32 s22, 0
	s_cbranch_scc1 .LBB5_1354
; %bb.1352:                             ;   in Loop: Header=BB5_1308 Depth=1
	s_mov_b64 s[18:19], 0
	s_mov_b64 s[20:21], s[4:5]
.LBB5_1353:                             ;   Parent Loop BB5_1308 Depth=1
                                        ; =>  This Inner Loop Header: Depth=2
	global_load_ubyte v6, v7, s[20:21]
	s_add_i32 s22, s22, -1
	s_waitcnt vmcnt(0)
	v_and_b32_e32 v6, 0xffff, v6
	v_lshlrev_b64 v[22:23], s18, v[6:7]
	s_add_u32 s18, s18, 8
	s_addc_u32 s19, s19, 0
	s_add_u32 s20, s20, 1
	s_addc_u32 s21, s21, 0
	s_cmp_lg_u32 s22, 0
	v_or_b32_e32 v20, v22, v20
	v_or_b32_e32 v21, v23, v21
	s_cbranch_scc1 .LBB5_1353
.LBB5_1354:                             ;   in Loop: Header=BB5_1308 Depth=1
	s_cbranch_execz .LBB5_1356
	s_branch .LBB5_1357
.LBB5_1355:                             ;   in Loop: Header=BB5_1308 Depth=1
.LBB5_1356:                             ;   in Loop: Header=BB5_1308 Depth=1
	global_load_dwordx2 v[20:21], v7, s[4:5]
.LBB5_1357:                             ;   in Loop: Header=BB5_1308 Depth=1
	v_readfirstlane_b32 s4, v48
	v_mov_b32_e32 v26, 0
	v_mov_b32_e32 v27, 0
	v_cmp_eq_u32_e64 s4, s4, v48
	s_and_saveexec_b32 s5, s4
	s_cbranch_execz .LBB5_1363
; %bb.1358:                             ;   in Loop: Header=BB5_1308 Depth=1
	global_load_dwordx2 v[24:25], v7, s[26:27] offset:24 glc dlc
	s_waitcnt vmcnt(0)
	buffer_gl1_inv
	buffer_gl0_inv
	s_clause 0x1
	global_load_dwordx2 v[22:23], v7, s[26:27] offset:40
	global_load_dwordx2 v[26:27], v7, s[26:27]
	s_mov_b32 s15, exec_lo
	s_waitcnt vmcnt(1)
	v_and_b32_e32 v6, v23, v25
	v_and_b32_e32 v22, v22, v24
	v_mul_lo_u32 v6, v6, 24
	v_mul_hi_u32 v23, v22, 24
	v_mul_lo_u32 v22, v22, 24
	v_add_nc_u32_e32 v6, v23, v6
	s_waitcnt vmcnt(0)
	v_add_co_u32 v22, vcc_lo, v26, v22
	v_add_co_ci_u32_e32 v23, vcc_lo, v27, v6, vcc_lo
	global_load_dwordx2 v[22:23], v[22:23], off glc dlc
	s_waitcnt vmcnt(0)
	global_atomic_cmpswap_x2 v[26:27], v7, v[22:25], s[26:27] offset:24 glc
	s_waitcnt vmcnt(0)
	buffer_gl1_inv
	buffer_gl0_inv
	v_cmpx_ne_u64_e64 v[26:27], v[24:25]
	s_cbranch_execz .LBB5_1362
; %bb.1359:                             ;   in Loop: Header=BB5_1308 Depth=1
	s_mov_b32 s18, 0
	.p2align	6
.LBB5_1360:                             ;   Parent Loop BB5_1308 Depth=1
                                        ; =>  This Inner Loop Header: Depth=2
	s_sleep 1
	s_clause 0x1
	global_load_dwordx2 v[22:23], v7, s[26:27] offset:40
	global_load_dwordx2 v[29:30], v7, s[26:27]
	v_mov_b32_e32 v24, v26
	v_mov_b32_e32 v25, v27
	s_waitcnt vmcnt(1)
	v_and_b32_e32 v6, v22, v24
	v_and_b32_e32 v22, v23, v25
	s_waitcnt vmcnt(0)
	v_mad_u64_u32 v[26:27], null, v6, 24, v[29:30]
	v_mov_b32_e32 v6, v27
	v_mad_u64_u32 v[22:23], null, v22, 24, v[6:7]
	v_mov_b32_e32 v27, v22
	global_load_dwordx2 v[22:23], v[26:27], off glc dlc
	s_waitcnt vmcnt(0)
	global_atomic_cmpswap_x2 v[26:27], v7, v[22:25], s[26:27] offset:24 glc
	s_waitcnt vmcnt(0)
	buffer_gl1_inv
	buffer_gl0_inv
	v_cmp_eq_u64_e32 vcc_lo, v[26:27], v[24:25]
	s_or_b32 s18, vcc_lo, s18
	s_andn2_b32 exec_lo, exec_lo, s18
	s_cbranch_execnz .LBB5_1360
; %bb.1361:                             ;   in Loop: Header=BB5_1308 Depth=1
	s_or_b32 exec_lo, exec_lo, s18
.LBB5_1362:                             ;   in Loop: Header=BB5_1308 Depth=1
	s_or_b32 exec_lo, exec_lo, s15
.LBB5_1363:                             ;   in Loop: Header=BB5_1308 Depth=1
	s_or_b32 exec_lo, exec_lo, s5
	s_clause 0x1
	global_load_dwordx2 v[29:30], v7, s[26:27] offset:40
	global_load_dwordx4 v[22:25], v7, s[26:27]
	v_readfirstlane_b32 s18, v26
	v_readfirstlane_b32 s19, v27
	s_mov_b32 s5, exec_lo
	s_waitcnt vmcnt(1)
	v_readfirstlane_b32 s20, v29
	v_readfirstlane_b32 s21, v30
	s_and_b64 s[20:21], s[18:19], s[20:21]
	s_mul_i32 s15, s21, 24
	s_mul_hi_u32 s22, s20, 24
	s_mul_i32 s23, s20, 24
	s_add_i32 s22, s22, s15
	s_waitcnt vmcnt(0)
	v_add_co_u32 v26, vcc_lo, v22, s23
	v_add_co_ci_u32_e32 v27, vcc_lo, s22, v23, vcc_lo
	s_and_saveexec_b32 s15, s4
	s_cbranch_execz .LBB5_1365
; %bb.1364:                             ;   in Loop: Header=BB5_1308 Depth=1
	v_mov_b32_e32 v6, s5
	global_store_dwordx4 v[26:27], v[6:9], off offset:8
.LBB5_1365:                             ;   in Loop: Header=BB5_1308 Depth=1
	s_or_b32 exec_lo, exec_lo, s15
	s_lshl_b64 s[20:21], s[20:21], 12
	v_cmp_gt_u64_e64 vcc_lo, s[10:11], 56
	v_or_b32_e32 v29, v0, v28
	v_add_co_u32 v24, s5, v24, s20
	v_add_co_ci_u32_e64 v25, s5, s21, v25, s5
	s_lshl_b32 s5, s16, 2
	v_or_b32_e32 v6, 0, v1
	v_cndmask_b32_e32 v0, v29, v0, vcc_lo
	s_add_i32 s5, s5, 28
	v_readfirstlane_b32 s20, v24
	s_and_b32 s5, s5, 0x1e0
	v_cndmask_b32_e32 v1, v6, v1, vcc_lo
	v_readfirstlane_b32 s21, v25
	v_and_or_b32 v0, 0xffffff1f, v0, s5
	global_store_dwordx4 v39, v[0:3], s[20:21]
	global_store_dwordx4 v39, v[10:13], s[20:21] offset:16
	global_store_dwordx4 v39, v[14:17], s[20:21] offset:32
	;; [unrolled: 1-line block ×3, first 2 shown]
	s_and_saveexec_b32 s5, s4
	s_cbranch_execz .LBB5_1373
; %bb.1366:                             ;   in Loop: Header=BB5_1308 Depth=1
	s_clause 0x1
	global_load_dwordx2 v[14:15], v7, s[26:27] offset:32 glc dlc
	global_load_dwordx2 v[0:1], v7, s[26:27] offset:40
	v_mov_b32_e32 v12, s18
	v_mov_b32_e32 v13, s19
	s_waitcnt vmcnt(0)
	v_readfirstlane_b32 s20, v0
	v_readfirstlane_b32 s21, v1
	s_and_b64 s[20:21], s[20:21], s[18:19]
	s_mul_i32 s15, s21, 24
	s_mul_hi_u32 s21, s20, 24
	s_mul_i32 s20, s20, 24
	s_add_i32 s21, s21, s15
	v_add_co_u32 v10, vcc_lo, v22, s20
	v_add_co_ci_u32_e32 v11, vcc_lo, s21, v23, vcc_lo
	s_mov_b32 s15, exec_lo
	global_store_dwordx2 v[10:11], v[14:15], off
	s_waitcnt_vscnt null, 0x0
	global_atomic_cmpswap_x2 v[2:3], v7, v[12:15], s[26:27] offset:32 glc
	s_waitcnt vmcnt(0)
	v_cmpx_ne_u64_e64 v[2:3], v[14:15]
	s_cbranch_execz .LBB5_1369
; %bb.1367:                             ;   in Loop: Header=BB5_1308 Depth=1
	s_mov_b32 s20, 0
.LBB5_1368:                             ;   Parent Loop BB5_1308 Depth=1
                                        ; =>  This Inner Loop Header: Depth=2
	v_mov_b32_e32 v0, s18
	v_mov_b32_e32 v1, s19
	s_sleep 1
	global_store_dwordx2 v[10:11], v[2:3], off
	s_waitcnt_vscnt null, 0x0
	global_atomic_cmpswap_x2 v[0:1], v7, v[0:3], s[26:27] offset:32 glc
	s_waitcnt vmcnt(0)
	v_cmp_eq_u64_e32 vcc_lo, v[0:1], v[2:3]
	v_mov_b32_e32 v3, v1
	v_mov_b32_e32 v2, v0
	s_or_b32 s20, vcc_lo, s20
	s_andn2_b32 exec_lo, exec_lo, s20
	s_cbranch_execnz .LBB5_1368
.LBB5_1369:                             ;   in Loop: Header=BB5_1308 Depth=1
	s_or_b32 exec_lo, exec_lo, s15
	global_load_dwordx2 v[0:1], v7, s[26:27] offset:16
	s_mov_b32 s20, exec_lo
	s_mov_b32 s15, exec_lo
	v_mbcnt_lo_u32_b32 v2, s20, 0
	v_cmpx_eq_u32_e32 0, v2
	s_cbranch_execz .LBB5_1371
; %bb.1370:                             ;   in Loop: Header=BB5_1308 Depth=1
	s_bcnt1_i32_b32 s20, s20
	v_mov_b32_e32 v6, s20
	s_waitcnt vmcnt(0)
	global_atomic_add_x2 v[0:1], v[6:7], off offset:8
.LBB5_1371:                             ;   in Loop: Header=BB5_1308 Depth=1
	s_or_b32 exec_lo, exec_lo, s15
	s_waitcnt vmcnt(0)
	global_load_dwordx2 v[2:3], v[0:1], off offset:16
	s_waitcnt vmcnt(0)
	v_cmp_eq_u64_e32 vcc_lo, 0, v[2:3]
	s_cbranch_vccnz .LBB5_1373
; %bb.1372:                             ;   in Loop: Header=BB5_1308 Depth=1
	global_load_dword v6, v[0:1], off offset:24
	s_waitcnt vmcnt(0)
	v_and_b32_e32 v0, 0x7fffff, v6
	s_waitcnt_vscnt null, 0x0
	global_store_dwordx2 v[2:3], v[6:7], off
	v_readfirstlane_b32 m0, v0
	s_sendmsg sendmsg(MSG_INTERRUPT)
.LBB5_1373:                             ;   in Loop: Header=BB5_1308 Depth=1
	s_or_b32 exec_lo, exec_lo, s5
	v_add_co_u32 v0, vcc_lo, v24, v39
	v_add_co_ci_u32_e32 v1, vcc_lo, 0, v25, vcc_lo
	s_branch .LBB5_1377
	.p2align	6
.LBB5_1374:                             ;   in Loop: Header=BB5_1377 Depth=2
	s_or_b32 exec_lo, exec_lo, s5
	v_readfirstlane_b32 s5, v2
	s_cmp_eq_u32 s5, 0
	s_cbranch_scc1 .LBB5_1376
; %bb.1375:                             ;   in Loop: Header=BB5_1377 Depth=2
	s_sleep 1
	s_cbranch_execnz .LBB5_1377
	s_branch .LBB5_1379
	.p2align	6
.LBB5_1376:                             ;   in Loop: Header=BB5_1308 Depth=1
	s_branch .LBB5_1379
.LBB5_1377:                             ;   Parent Loop BB5_1308 Depth=1
                                        ; =>  This Inner Loop Header: Depth=2
	v_mov_b32_e32 v2, 1
	s_and_saveexec_b32 s5, s4
	s_cbranch_execz .LBB5_1374
; %bb.1378:                             ;   in Loop: Header=BB5_1377 Depth=2
	global_load_dword v2, v[26:27], off offset:20 glc dlc
	s_waitcnt vmcnt(0)
	buffer_gl1_inv
	buffer_gl0_inv
	v_and_b32_e32 v2, 1, v2
	s_branch .LBB5_1374
.LBB5_1379:                             ;   in Loop: Header=BB5_1308 Depth=1
	global_load_dwordx4 v[0:3], v[0:1], off
	s_and_saveexec_b32 s5, s4
	s_cbranch_execz .LBB5_1307
; %bb.1380:                             ;   in Loop: Header=BB5_1308 Depth=1
	s_clause 0x2
	global_load_dwordx2 v[2:3], v7, s[26:27] offset:40
	global_load_dwordx2 v[14:15], v7, s[26:27] offset:24 glc dlc
	global_load_dwordx2 v[12:13], v7, s[26:27]
	s_waitcnt vmcnt(2)
	v_add_co_u32 v6, vcc_lo, v2, 1
	v_add_co_ci_u32_e32 v16, vcc_lo, 0, v3, vcc_lo
	v_add_co_u32 v10, vcc_lo, v6, s18
	v_add_co_ci_u32_e32 v11, vcc_lo, s19, v16, vcc_lo
	v_cmp_eq_u64_e32 vcc_lo, 0, v[10:11]
	v_cndmask_b32_e32 v11, v11, v16, vcc_lo
	v_cndmask_b32_e32 v10, v10, v6, vcc_lo
	v_and_b32_e32 v3, v11, v3
	v_and_b32_e32 v2, v10, v2
	v_mul_lo_u32 v3, v3, 24
	v_mul_hi_u32 v6, v2, 24
	v_mul_lo_u32 v2, v2, 24
	v_add_nc_u32_e32 v3, v6, v3
	s_waitcnt vmcnt(0)
	v_add_co_u32 v2, vcc_lo, v12, v2
	v_mov_b32_e32 v12, v14
	v_add_co_ci_u32_e32 v3, vcc_lo, v13, v3, vcc_lo
	v_mov_b32_e32 v13, v15
	global_store_dwordx2 v[2:3], v[14:15], off
	s_waitcnt_vscnt null, 0x0
	global_atomic_cmpswap_x2 v[12:13], v7, v[10:13], s[26:27] offset:24 glc
	s_waitcnt vmcnt(0)
	v_cmp_ne_u64_e32 vcc_lo, v[12:13], v[14:15]
	s_and_b32 exec_lo, exec_lo, vcc_lo
	s_cbranch_execz .LBB5_1307
; %bb.1381:                             ;   in Loop: Header=BB5_1308 Depth=1
	s_mov_b32 s4, 0
.LBB5_1382:                             ;   Parent Loop BB5_1308 Depth=1
                                        ; =>  This Inner Loop Header: Depth=2
	s_sleep 1
	global_store_dwordx2 v[2:3], v[12:13], off
	s_waitcnt_vscnt null, 0x0
	global_atomic_cmpswap_x2 v[14:15], v7, v[10:13], s[26:27] offset:24 glc
	s_waitcnt vmcnt(0)
	v_cmp_eq_u64_e32 vcc_lo, v[14:15], v[12:13]
	v_mov_b32_e32 v12, v14
	v_mov_b32_e32 v13, v15
	s_or_b32 s4, vcc_lo, s4
	s_andn2_b32 exec_lo, exec_lo, s4
	s_cbranch_execnz .LBB5_1382
	s_branch .LBB5_1307
.LBB5_1383:
	s_branch .LBB5_1412
.LBB5_1384:
                                        ; implicit-def: $vgpr0_vgpr1
	s_cbranch_execz .LBB5_1412
; %bb.1385:
	v_readfirstlane_b32 s4, v48
	v_mov_b32_e32 v7, 0
	v_mov_b32_e32 v8, 0
	v_cmp_eq_u32_e64 s4, s4, v48
	s_and_saveexec_b32 s5, s4
	s_cbranch_execz .LBB5_1391
; %bb.1386:
	s_waitcnt vmcnt(0)
	v_mov_b32_e32 v0, 0
	s_mov_b32 s6, exec_lo
	global_load_dwordx2 v[9:10], v0, s[26:27] offset:24 glc dlc
	s_waitcnt vmcnt(0)
	buffer_gl1_inv
	buffer_gl0_inv
	s_clause 0x1
	global_load_dwordx2 v[1:2], v0, s[26:27] offset:40
	global_load_dwordx2 v[6:7], v0, s[26:27]
	s_waitcnt vmcnt(1)
	v_and_b32_e32 v2, v2, v10
	v_and_b32_e32 v1, v1, v9
	v_mul_lo_u32 v2, v2, 24
	v_mul_hi_u32 v3, v1, 24
	v_mul_lo_u32 v1, v1, 24
	v_add_nc_u32_e32 v2, v3, v2
	s_waitcnt vmcnt(0)
	v_add_co_u32 v1, vcc_lo, v6, v1
	v_add_co_ci_u32_e32 v2, vcc_lo, v7, v2, vcc_lo
	global_load_dwordx2 v[7:8], v[1:2], off glc dlc
	s_waitcnt vmcnt(0)
	global_atomic_cmpswap_x2 v[7:8], v0, v[7:10], s[26:27] offset:24 glc
	s_waitcnt vmcnt(0)
	buffer_gl1_inv
	buffer_gl0_inv
	v_cmpx_ne_u64_e64 v[7:8], v[9:10]
	s_cbranch_execz .LBB5_1390
; %bb.1387:
	s_mov_b32 s7, 0
	.p2align	6
.LBB5_1388:                             ; =>This Inner Loop Header: Depth=1
	s_sleep 1
	s_clause 0x1
	global_load_dwordx2 v[1:2], v0, s[26:27] offset:40
	global_load_dwordx2 v[11:12], v0, s[26:27]
	v_mov_b32_e32 v10, v8
	v_mov_b32_e32 v9, v7
	s_waitcnt vmcnt(1)
	v_and_b32_e32 v1, v1, v9
	v_and_b32_e32 v2, v2, v10
	s_waitcnt vmcnt(0)
	v_mad_u64_u32 v[6:7], null, v1, 24, v[11:12]
	v_mov_b32_e32 v1, v7
	v_mad_u64_u32 v[1:2], null, v2, 24, v[1:2]
	v_mov_b32_e32 v7, v1
	global_load_dwordx2 v[7:8], v[6:7], off glc dlc
	s_waitcnt vmcnt(0)
	global_atomic_cmpswap_x2 v[7:8], v0, v[7:10], s[26:27] offset:24 glc
	s_waitcnt vmcnt(0)
	buffer_gl1_inv
	buffer_gl0_inv
	v_cmp_eq_u64_e32 vcc_lo, v[7:8], v[9:10]
	s_or_b32 s7, vcc_lo, s7
	s_andn2_b32 exec_lo, exec_lo, s7
	s_cbranch_execnz .LBB5_1388
; %bb.1389:
	s_or_b32 exec_lo, exec_lo, s7
.LBB5_1390:
	s_or_b32 exec_lo, exec_lo, s6
.LBB5_1391:
	s_or_b32 exec_lo, exec_lo, s5
	v_mov_b32_e32 v6, 0
	v_readfirstlane_b32 s6, v7
	v_readfirstlane_b32 s7, v8
	s_mov_b32 s5, exec_lo
	s_clause 0x1
	global_load_dwordx2 v[9:10], v6, s[26:27] offset:40
	global_load_dwordx4 v[0:3], v6, s[26:27]
	s_waitcnt vmcnt(1)
	v_readfirstlane_b32 s10, v9
	v_readfirstlane_b32 s11, v10
	s_and_b64 s[10:11], s[6:7], s[10:11]
	s_mul_i32 s15, s11, 24
	s_mul_hi_u32 s16, s10, 24
	s_mul_i32 s17, s10, 24
	s_add_i32 s16, s16, s15
	s_waitcnt vmcnt(0)
	v_add_co_u32 v8, vcc_lo, v0, s17
	v_add_co_ci_u32_e32 v9, vcc_lo, s16, v1, vcc_lo
	s_and_saveexec_b32 s15, s4
	s_cbranch_execz .LBB5_1393
; %bb.1392:
	v_mov_b32_e32 v10, s5
	v_mov_b32_e32 v11, v6
	;; [unrolled: 1-line block ×4, first 2 shown]
	global_store_dwordx4 v[8:9], v[10:13], off offset:8
.LBB5_1393:
	s_or_b32 exec_lo, exec_lo, s15
	s_lshl_b64 s[10:11], s[10:11], 12
	s_mov_b32 s16, 0
	v_add_co_u32 v2, vcc_lo, v2, s10
	v_add_co_ci_u32_e32 v3, vcc_lo, s11, v3, vcc_lo
	s_mov_b32 s17, s16
	v_add_co_u32 v10, vcc_lo, v2, v39
	s_mov_b32 s18, s16
	s_mov_b32 s19, s16
	v_and_or_b32 v4, 0xffffff1f, v4, 32
	v_mov_b32_e32 v7, v6
	v_readfirstlane_b32 s10, v2
	v_readfirstlane_b32 s11, v3
	v_mov_b32_e32 v12, s16
	v_add_co_ci_u32_e32 v11, vcc_lo, 0, v3, vcc_lo
	v_mov_b32_e32 v13, s17
	v_mov_b32_e32 v14, s18
	;; [unrolled: 1-line block ×3, first 2 shown]
	global_store_dwordx4 v39, v[4:7], s[10:11]
	global_store_dwordx4 v39, v[12:15], s[10:11] offset:16
	global_store_dwordx4 v39, v[12:15], s[10:11] offset:32
	;; [unrolled: 1-line block ×3, first 2 shown]
	s_and_saveexec_b32 s5, s4
	s_cbranch_execz .LBB5_1401
; %bb.1394:
	v_mov_b32_e32 v6, 0
	v_mov_b32_e32 v12, s6
	;; [unrolled: 1-line block ×3, first 2 shown]
	s_clause 0x1
	global_load_dwordx2 v[14:15], v6, s[26:27] offset:32 glc dlc
	global_load_dwordx2 v[2:3], v6, s[26:27] offset:40
	s_waitcnt vmcnt(0)
	v_readfirstlane_b32 s10, v2
	v_readfirstlane_b32 s11, v3
	s_and_b64 s[10:11], s[10:11], s[6:7]
	s_mul_i32 s11, s11, 24
	s_mul_hi_u32 s15, s10, 24
	s_mul_i32 s10, s10, 24
	s_add_i32 s15, s15, s11
	v_add_co_u32 v4, vcc_lo, v0, s10
	v_add_co_ci_u32_e32 v5, vcc_lo, s15, v1, vcc_lo
	s_mov_b32 s10, exec_lo
	global_store_dwordx2 v[4:5], v[14:15], off
	s_waitcnt_vscnt null, 0x0
	global_atomic_cmpswap_x2 v[2:3], v6, v[12:15], s[26:27] offset:32 glc
	s_waitcnt vmcnt(0)
	v_cmpx_ne_u64_e64 v[2:3], v[14:15]
	s_cbranch_execz .LBB5_1397
; %bb.1395:
	s_mov_b32 s11, 0
.LBB5_1396:                             ; =>This Inner Loop Header: Depth=1
	v_mov_b32_e32 v0, s6
	v_mov_b32_e32 v1, s7
	s_sleep 1
	global_store_dwordx2 v[4:5], v[2:3], off
	s_waitcnt_vscnt null, 0x0
	global_atomic_cmpswap_x2 v[0:1], v6, v[0:3], s[26:27] offset:32 glc
	s_waitcnt vmcnt(0)
	v_cmp_eq_u64_e32 vcc_lo, v[0:1], v[2:3]
	v_mov_b32_e32 v3, v1
	v_mov_b32_e32 v2, v0
	s_or_b32 s11, vcc_lo, s11
	s_andn2_b32 exec_lo, exec_lo, s11
	s_cbranch_execnz .LBB5_1396
.LBB5_1397:
	s_or_b32 exec_lo, exec_lo, s10
	v_mov_b32_e32 v3, 0
	s_mov_b32 s11, exec_lo
	s_mov_b32 s10, exec_lo
	v_mbcnt_lo_u32_b32 v2, s11, 0
	global_load_dwordx2 v[0:1], v3, s[26:27] offset:16
	v_cmpx_eq_u32_e32 0, v2
	s_cbranch_execz .LBB5_1399
; %bb.1398:
	s_bcnt1_i32_b32 s11, s11
	v_mov_b32_e32 v2, s11
	s_waitcnt vmcnt(0)
	global_atomic_add_x2 v[0:1], v[2:3], off offset:8
.LBB5_1399:
	s_or_b32 exec_lo, exec_lo, s10
	s_waitcnt vmcnt(0)
	global_load_dwordx2 v[2:3], v[0:1], off offset:16
	s_waitcnt vmcnt(0)
	v_cmp_eq_u64_e32 vcc_lo, 0, v[2:3]
	s_cbranch_vccnz .LBB5_1401
; %bb.1400:
	global_load_dword v0, v[0:1], off offset:24
	v_mov_b32_e32 v1, 0
	s_waitcnt vmcnt(0)
	v_and_b32_e32 v4, 0x7fffff, v0
	s_waitcnt_vscnt null, 0x0
	global_store_dwordx2 v[2:3], v[0:1], off
	v_readfirstlane_b32 m0, v4
	s_sendmsg sendmsg(MSG_INTERRUPT)
.LBB5_1401:
	s_or_b32 exec_lo, exec_lo, s5
	s_branch .LBB5_1405
	.p2align	6
.LBB5_1402:                             ;   in Loop: Header=BB5_1405 Depth=1
	s_or_b32 exec_lo, exec_lo, s5
	v_readfirstlane_b32 s5, v0
	s_cmp_eq_u32 s5, 0
	s_cbranch_scc1 .LBB5_1404
; %bb.1403:                             ;   in Loop: Header=BB5_1405 Depth=1
	s_sleep 1
	s_cbranch_execnz .LBB5_1405
	s_branch .LBB5_1407
	.p2align	6
.LBB5_1404:
	s_branch .LBB5_1407
.LBB5_1405:                             ; =>This Inner Loop Header: Depth=1
	v_mov_b32_e32 v0, 1
	s_and_saveexec_b32 s5, s4
	s_cbranch_execz .LBB5_1402
; %bb.1406:                             ;   in Loop: Header=BB5_1405 Depth=1
	global_load_dword v0, v[8:9], off offset:20 glc dlc
	s_waitcnt vmcnt(0)
	buffer_gl1_inv
	buffer_gl0_inv
	v_and_b32_e32 v0, 1, v0
	s_branch .LBB5_1402
.LBB5_1407:
	global_load_dwordx2 v[0:1], v[10:11], off
	s_and_saveexec_b32 s5, s4
	s_cbranch_execz .LBB5_1411
; %bb.1408:
	v_mov_b32_e32 v8, 0
	s_clause 0x2
	global_load_dwordx2 v[4:5], v8, s[26:27] offset:40
	global_load_dwordx2 v[9:10], v8, s[26:27] offset:24 glc dlc
	global_load_dwordx2 v[6:7], v8, s[26:27]
	s_waitcnt vmcnt(2)
	v_add_co_u32 v11, vcc_lo, v4, 1
	v_add_co_ci_u32_e32 v12, vcc_lo, 0, v5, vcc_lo
	v_add_co_u32 v2, vcc_lo, v11, s6
	v_add_co_ci_u32_e32 v3, vcc_lo, s7, v12, vcc_lo
	v_cmp_eq_u64_e32 vcc_lo, 0, v[2:3]
	v_cndmask_b32_e32 v3, v3, v12, vcc_lo
	v_cndmask_b32_e32 v2, v2, v11, vcc_lo
	v_and_b32_e32 v5, v3, v5
	v_and_b32_e32 v4, v2, v4
	v_mul_lo_u32 v5, v5, 24
	v_mul_hi_u32 v11, v4, 24
	v_mul_lo_u32 v4, v4, 24
	v_add_nc_u32_e32 v5, v11, v5
	s_waitcnt vmcnt(0)
	v_add_co_u32 v6, vcc_lo, v6, v4
	v_mov_b32_e32 v4, v9
	v_add_co_ci_u32_e32 v7, vcc_lo, v7, v5, vcc_lo
	v_mov_b32_e32 v5, v10
	global_store_dwordx2 v[6:7], v[9:10], off
	s_waitcnt_vscnt null, 0x0
	global_atomic_cmpswap_x2 v[4:5], v8, v[2:5], s[26:27] offset:24 glc
	s_waitcnt vmcnt(0)
	v_cmp_ne_u64_e32 vcc_lo, v[4:5], v[9:10]
	s_and_b32 exec_lo, exec_lo, vcc_lo
	s_cbranch_execz .LBB5_1411
; %bb.1409:
	s_mov_b32 s4, 0
.LBB5_1410:                             ; =>This Inner Loop Header: Depth=1
	s_sleep 1
	global_store_dwordx2 v[6:7], v[4:5], off
	s_waitcnt_vscnt null, 0x0
	global_atomic_cmpswap_x2 v[9:10], v8, v[2:5], s[26:27] offset:24 glc
	s_waitcnt vmcnt(0)
	v_cmp_eq_u64_e32 vcc_lo, v[9:10], v[4:5]
	v_mov_b32_e32 v4, v9
	v_mov_b32_e32 v5, v10
	s_or_b32 s4, vcc_lo, s4
	s_andn2_b32 exec_lo, exec_lo, s4
	s_cbranch_execnz .LBB5_1410
.LBB5_1411:
	s_or_b32 exec_lo, exec_lo, s5
.LBB5_1412:
	s_getpc_b64 s[6:7]
	s_add_u32 s6, s6, .str.2@rel32@lo+4
	s_addc_u32 s7, s7, .str.2@rel32@hi+12
	s_cmp_lg_u64 s[6:7], 0
	s_cbranch_scc0 .LBB5_1491
; %bb.1413:
	s_waitcnt vmcnt(0)
	v_and_b32_e32 v6, -3, v0
	v_mov_b32_e32 v7, v1
	v_mov_b32_e32 v3, 0
	;; [unrolled: 1-line block ×4, first 2 shown]
	s_mov_b64 s[10:11], 13
	s_branch .LBB5_1415
.LBB5_1414:                             ;   in Loop: Header=BB5_1415 Depth=1
	s_or_b32 exec_lo, exec_lo, s5
	s_sub_u32 s10, s10, s16
	s_subb_u32 s11, s11, s17
	s_add_u32 s6, s6, s16
	s_addc_u32 s7, s7, s17
	s_cmp_lg_u64 s[10:11], 0
	s_cbranch_scc0 .LBB5_1490
.LBB5_1415:                             ; =>This Loop Header: Depth=1
                                        ;     Child Loop BB5_1424 Depth 2
                                        ;     Child Loop BB5_1420 Depth 2
	;; [unrolled: 1-line block ×11, first 2 shown]
	v_cmp_lt_u64_e64 s4, s[10:11], 56
	v_cmp_gt_u64_e64 s5, s[10:11], 7
                                        ; implicit-def: $sgpr15
	s_and_b32 s4, s4, exec_lo
	s_cselect_b32 s17, s11, 0
	s_cselect_b32 s16, s10, 56
	s_and_b32 vcc_lo, exec_lo, s5
	s_mov_b32 s4, -1
	s_cbranch_vccz .LBB5_1422
; %bb.1416:                             ;   in Loop: Header=BB5_1415 Depth=1
	s_andn2_b32 vcc_lo, exec_lo, s4
	s_mov_b64 s[4:5], s[6:7]
	s_cbranch_vccz .LBB5_1426
.LBB5_1417:                             ;   in Loop: Header=BB5_1415 Depth=1
	s_cmp_gt_u32 s15, 7
	s_cbranch_scc1 .LBB5_1427
.LBB5_1418:                             ;   in Loop: Header=BB5_1415 Depth=1
	v_mov_b32_e32 v10, 0
	v_mov_b32_e32 v11, 0
	s_cmp_eq_u32 s15, 0
	s_cbranch_scc1 .LBB5_1421
; %bb.1419:                             ;   in Loop: Header=BB5_1415 Depth=1
	s_mov_b64 s[18:19], 0
	s_mov_b64 s[20:21], 0
.LBB5_1420:                             ;   Parent Loop BB5_1415 Depth=1
                                        ; =>  This Inner Loop Header: Depth=2
	s_add_u32 s22, s4, s20
	s_addc_u32 s23, s5, s21
	s_add_u32 s20, s20, 1
	global_load_ubyte v2, v3, s[22:23]
	s_addc_u32 s21, s21, 0
	s_waitcnt vmcnt(0)
	v_and_b32_e32 v2, 0xffff, v2
	v_lshlrev_b64 v[12:13], s18, v[2:3]
	s_add_u32 s18, s18, 8
	s_addc_u32 s19, s19, 0
	s_cmp_lg_u32 s15, s20
	v_or_b32_e32 v10, v12, v10
	v_or_b32_e32 v11, v13, v11
	s_cbranch_scc1 .LBB5_1420
.LBB5_1421:                             ;   in Loop: Header=BB5_1415 Depth=1
	s_mov_b32 s22, 0
	s_cbranch_execz .LBB5_1428
	s_branch .LBB5_1429
.LBB5_1422:                             ;   in Loop: Header=BB5_1415 Depth=1
	s_waitcnt vmcnt(0)
	v_mov_b32_e32 v8, 0
	v_mov_b32_e32 v9, 0
	s_cmp_eq_u64 s[10:11], 0
	s_mov_b64 s[4:5], 0
	s_cbranch_scc1 .LBB5_1425
; %bb.1423:                             ;   in Loop: Header=BB5_1415 Depth=1
	v_mov_b32_e32 v8, 0
	v_mov_b32_e32 v9, 0
	s_lshl_b64 s[18:19], s[16:17], 3
	s_mov_b64 s[20:21], s[6:7]
.LBB5_1424:                             ;   Parent Loop BB5_1415 Depth=1
                                        ; =>  This Inner Loop Header: Depth=2
	global_load_ubyte v2, v3, s[20:21]
	s_waitcnt vmcnt(0)
	v_and_b32_e32 v2, 0xffff, v2
	v_lshlrev_b64 v[10:11], s4, v[2:3]
	s_add_u32 s4, s4, 8
	s_addc_u32 s5, s5, 0
	s_add_u32 s20, s20, 1
	s_addc_u32 s21, s21, 0
	s_cmp_lg_u32 s18, s4
	v_or_b32_e32 v8, v10, v8
	v_or_b32_e32 v9, v11, v9
	s_cbranch_scc1 .LBB5_1424
.LBB5_1425:                             ;   in Loop: Header=BB5_1415 Depth=1
	s_mov_b32 s15, 0
	s_mov_b64 s[4:5], s[6:7]
	s_cbranch_execnz .LBB5_1417
.LBB5_1426:                             ;   in Loop: Header=BB5_1415 Depth=1
	global_load_dwordx2 v[8:9], v3, s[6:7]
	s_add_i32 s15, s16, -8
	s_add_u32 s4, s6, 8
	s_addc_u32 s5, s7, 0
	s_cmp_gt_u32 s15, 7
	s_cbranch_scc0 .LBB5_1418
.LBB5_1427:                             ;   in Loop: Header=BB5_1415 Depth=1
                                        ; implicit-def: $vgpr10_vgpr11
                                        ; implicit-def: $sgpr22
.LBB5_1428:                             ;   in Loop: Header=BB5_1415 Depth=1
	global_load_dwordx2 v[10:11], v3, s[4:5]
	s_add_i32 s22, s15, -8
	s_add_u32 s4, s4, 8
	s_addc_u32 s5, s5, 0
.LBB5_1429:                             ;   in Loop: Header=BB5_1415 Depth=1
	s_cmp_gt_u32 s22, 7
	s_cbranch_scc1 .LBB5_1434
; %bb.1430:                             ;   in Loop: Header=BB5_1415 Depth=1
	v_mov_b32_e32 v12, 0
	v_mov_b32_e32 v13, 0
	s_cmp_eq_u32 s22, 0
	s_cbranch_scc1 .LBB5_1433
; %bb.1431:                             ;   in Loop: Header=BB5_1415 Depth=1
	s_mov_b64 s[18:19], 0
	s_mov_b64 s[20:21], 0
.LBB5_1432:                             ;   Parent Loop BB5_1415 Depth=1
                                        ; =>  This Inner Loop Header: Depth=2
	s_add_u32 s24, s4, s20
	s_addc_u32 s25, s5, s21
	s_add_u32 s20, s20, 1
	global_load_ubyte v2, v3, s[24:25]
	s_addc_u32 s21, s21, 0
	s_waitcnt vmcnt(0)
	v_and_b32_e32 v2, 0xffff, v2
	v_lshlrev_b64 v[14:15], s18, v[2:3]
	s_add_u32 s18, s18, 8
	s_addc_u32 s19, s19, 0
	s_cmp_lg_u32 s22, s20
	v_or_b32_e32 v12, v14, v12
	v_or_b32_e32 v13, v15, v13
	s_cbranch_scc1 .LBB5_1432
.LBB5_1433:                             ;   in Loop: Header=BB5_1415 Depth=1
	s_mov_b32 s15, 0
	s_cbranch_execz .LBB5_1435
	s_branch .LBB5_1436
.LBB5_1434:                             ;   in Loop: Header=BB5_1415 Depth=1
                                        ; implicit-def: $sgpr15
.LBB5_1435:                             ;   in Loop: Header=BB5_1415 Depth=1
	global_load_dwordx2 v[12:13], v3, s[4:5]
	s_add_i32 s15, s22, -8
	s_add_u32 s4, s4, 8
	s_addc_u32 s5, s5, 0
.LBB5_1436:                             ;   in Loop: Header=BB5_1415 Depth=1
	s_cmp_gt_u32 s15, 7
	s_cbranch_scc1 .LBB5_1441
; %bb.1437:                             ;   in Loop: Header=BB5_1415 Depth=1
	v_mov_b32_e32 v14, 0
	v_mov_b32_e32 v15, 0
	s_cmp_eq_u32 s15, 0
	s_cbranch_scc1 .LBB5_1440
; %bb.1438:                             ;   in Loop: Header=BB5_1415 Depth=1
	s_mov_b64 s[18:19], 0
	s_mov_b64 s[20:21], 0
.LBB5_1439:                             ;   Parent Loop BB5_1415 Depth=1
                                        ; =>  This Inner Loop Header: Depth=2
	s_add_u32 s22, s4, s20
	s_addc_u32 s23, s5, s21
	s_add_u32 s20, s20, 1
	global_load_ubyte v2, v3, s[22:23]
	s_addc_u32 s21, s21, 0
	s_waitcnt vmcnt(0)
	v_and_b32_e32 v2, 0xffff, v2
	v_lshlrev_b64 v[16:17], s18, v[2:3]
	s_add_u32 s18, s18, 8
	s_addc_u32 s19, s19, 0
	s_cmp_lg_u32 s15, s20
	v_or_b32_e32 v14, v16, v14
	v_or_b32_e32 v15, v17, v15
	s_cbranch_scc1 .LBB5_1439
.LBB5_1440:                             ;   in Loop: Header=BB5_1415 Depth=1
	s_mov_b32 s22, 0
	s_cbranch_execz .LBB5_1442
	s_branch .LBB5_1443
.LBB5_1441:                             ;   in Loop: Header=BB5_1415 Depth=1
                                        ; implicit-def: $vgpr14_vgpr15
                                        ; implicit-def: $sgpr22
.LBB5_1442:                             ;   in Loop: Header=BB5_1415 Depth=1
	global_load_dwordx2 v[14:15], v3, s[4:5]
	s_add_i32 s22, s15, -8
	s_add_u32 s4, s4, 8
	s_addc_u32 s5, s5, 0
.LBB5_1443:                             ;   in Loop: Header=BB5_1415 Depth=1
	s_cmp_gt_u32 s22, 7
	s_cbranch_scc1 .LBB5_1448
; %bb.1444:                             ;   in Loop: Header=BB5_1415 Depth=1
	v_mov_b32_e32 v16, 0
	v_mov_b32_e32 v17, 0
	s_cmp_eq_u32 s22, 0
	s_cbranch_scc1 .LBB5_1447
; %bb.1445:                             ;   in Loop: Header=BB5_1415 Depth=1
	s_mov_b64 s[18:19], 0
	s_mov_b64 s[20:21], 0
.LBB5_1446:                             ;   Parent Loop BB5_1415 Depth=1
                                        ; =>  This Inner Loop Header: Depth=2
	s_add_u32 s24, s4, s20
	s_addc_u32 s25, s5, s21
	s_add_u32 s20, s20, 1
	global_load_ubyte v2, v3, s[24:25]
	s_addc_u32 s21, s21, 0
	s_waitcnt vmcnt(0)
	v_and_b32_e32 v2, 0xffff, v2
	v_lshlrev_b64 v[18:19], s18, v[2:3]
	s_add_u32 s18, s18, 8
	s_addc_u32 s19, s19, 0
	s_cmp_lg_u32 s22, s20
	v_or_b32_e32 v16, v18, v16
	v_or_b32_e32 v17, v19, v17
	s_cbranch_scc1 .LBB5_1446
.LBB5_1447:                             ;   in Loop: Header=BB5_1415 Depth=1
	s_mov_b32 s15, 0
	s_cbranch_execz .LBB5_1449
	s_branch .LBB5_1450
.LBB5_1448:                             ;   in Loop: Header=BB5_1415 Depth=1
                                        ; implicit-def: $sgpr15
.LBB5_1449:                             ;   in Loop: Header=BB5_1415 Depth=1
	global_load_dwordx2 v[16:17], v3, s[4:5]
	s_add_i32 s15, s22, -8
	s_add_u32 s4, s4, 8
	s_addc_u32 s5, s5, 0
.LBB5_1450:                             ;   in Loop: Header=BB5_1415 Depth=1
	s_cmp_gt_u32 s15, 7
	s_cbranch_scc1 .LBB5_1455
; %bb.1451:                             ;   in Loop: Header=BB5_1415 Depth=1
	v_mov_b32_e32 v18, 0
	v_mov_b32_e32 v19, 0
	s_cmp_eq_u32 s15, 0
	s_cbranch_scc1 .LBB5_1454
; %bb.1452:                             ;   in Loop: Header=BB5_1415 Depth=1
	s_mov_b64 s[18:19], 0
	s_mov_b64 s[20:21], 0
.LBB5_1453:                             ;   Parent Loop BB5_1415 Depth=1
                                        ; =>  This Inner Loop Header: Depth=2
	s_add_u32 s22, s4, s20
	s_addc_u32 s23, s5, s21
	s_add_u32 s20, s20, 1
	global_load_ubyte v2, v3, s[22:23]
	s_addc_u32 s21, s21, 0
	s_waitcnt vmcnt(0)
	v_and_b32_e32 v2, 0xffff, v2
	v_lshlrev_b64 v[20:21], s18, v[2:3]
	s_add_u32 s18, s18, 8
	s_addc_u32 s19, s19, 0
	s_cmp_lg_u32 s15, s20
	v_or_b32_e32 v18, v20, v18
	v_or_b32_e32 v19, v21, v19
	s_cbranch_scc1 .LBB5_1453
.LBB5_1454:                             ;   in Loop: Header=BB5_1415 Depth=1
	s_mov_b32 s22, 0
	s_cbranch_execz .LBB5_1456
	s_branch .LBB5_1457
.LBB5_1455:                             ;   in Loop: Header=BB5_1415 Depth=1
                                        ; implicit-def: $vgpr18_vgpr19
                                        ; implicit-def: $sgpr22
.LBB5_1456:                             ;   in Loop: Header=BB5_1415 Depth=1
	global_load_dwordx2 v[18:19], v3, s[4:5]
	s_add_i32 s22, s15, -8
	s_add_u32 s4, s4, 8
	s_addc_u32 s5, s5, 0
.LBB5_1457:                             ;   in Loop: Header=BB5_1415 Depth=1
	s_cmp_gt_u32 s22, 7
	s_cbranch_scc1 .LBB5_1462
; %bb.1458:                             ;   in Loop: Header=BB5_1415 Depth=1
	v_mov_b32_e32 v20, 0
	v_mov_b32_e32 v21, 0
	s_cmp_eq_u32 s22, 0
	s_cbranch_scc1 .LBB5_1461
; %bb.1459:                             ;   in Loop: Header=BB5_1415 Depth=1
	s_mov_b64 s[18:19], 0
	s_mov_b64 s[20:21], s[4:5]
.LBB5_1460:                             ;   Parent Loop BB5_1415 Depth=1
                                        ; =>  This Inner Loop Header: Depth=2
	global_load_ubyte v2, v3, s[20:21]
	s_add_i32 s22, s22, -1
	s_waitcnt vmcnt(0)
	v_and_b32_e32 v2, 0xffff, v2
	v_lshlrev_b64 v[22:23], s18, v[2:3]
	s_add_u32 s18, s18, 8
	s_addc_u32 s19, s19, 0
	s_add_u32 s20, s20, 1
	s_addc_u32 s21, s21, 0
	s_cmp_lg_u32 s22, 0
	v_or_b32_e32 v20, v22, v20
	v_or_b32_e32 v21, v23, v21
	s_cbranch_scc1 .LBB5_1460
.LBB5_1461:                             ;   in Loop: Header=BB5_1415 Depth=1
	s_cbranch_execz .LBB5_1463
	s_branch .LBB5_1464
.LBB5_1462:                             ;   in Loop: Header=BB5_1415 Depth=1
.LBB5_1463:                             ;   in Loop: Header=BB5_1415 Depth=1
	global_load_dwordx2 v[20:21], v3, s[4:5]
.LBB5_1464:                             ;   in Loop: Header=BB5_1415 Depth=1
	v_readfirstlane_b32 s4, v48
	v_mov_b32_e32 v26, 0
	v_mov_b32_e32 v27, 0
	v_cmp_eq_u32_e64 s4, s4, v48
	s_and_saveexec_b32 s5, s4
	s_cbranch_execz .LBB5_1470
; %bb.1465:                             ;   in Loop: Header=BB5_1415 Depth=1
	global_load_dwordx2 v[24:25], v3, s[26:27] offset:24 glc dlc
	s_waitcnt vmcnt(0)
	buffer_gl1_inv
	buffer_gl0_inv
	s_clause 0x1
	global_load_dwordx2 v[22:23], v3, s[26:27] offset:40
	global_load_dwordx2 v[26:27], v3, s[26:27]
	s_mov_b32 s15, exec_lo
	s_waitcnt vmcnt(1)
	v_and_b32_e32 v2, v23, v25
	v_and_b32_e32 v22, v22, v24
	v_mul_lo_u32 v2, v2, 24
	v_mul_hi_u32 v23, v22, 24
	v_mul_lo_u32 v22, v22, 24
	v_add_nc_u32_e32 v2, v23, v2
	s_waitcnt vmcnt(0)
	v_add_co_u32 v22, vcc_lo, v26, v22
	v_add_co_ci_u32_e32 v23, vcc_lo, v27, v2, vcc_lo
	global_load_dwordx2 v[22:23], v[22:23], off glc dlc
	s_waitcnt vmcnt(0)
	global_atomic_cmpswap_x2 v[26:27], v3, v[22:25], s[26:27] offset:24 glc
	s_waitcnt vmcnt(0)
	buffer_gl1_inv
	buffer_gl0_inv
	v_cmpx_ne_u64_e64 v[26:27], v[24:25]
	s_cbranch_execz .LBB5_1469
; %bb.1466:                             ;   in Loop: Header=BB5_1415 Depth=1
	s_mov_b32 s18, 0
	.p2align	6
.LBB5_1467:                             ;   Parent Loop BB5_1415 Depth=1
                                        ; =>  This Inner Loop Header: Depth=2
	s_sleep 1
	s_clause 0x1
	global_load_dwordx2 v[22:23], v3, s[26:27] offset:40
	global_load_dwordx2 v[28:29], v3, s[26:27]
	v_mov_b32_e32 v24, v26
	v_mov_b32_e32 v25, v27
	s_waitcnt vmcnt(1)
	v_and_b32_e32 v2, v22, v24
	v_and_b32_e32 v22, v23, v25
	s_waitcnt vmcnt(0)
	v_mad_u64_u32 v[26:27], null, v2, 24, v[28:29]
	v_mov_b32_e32 v2, v27
	v_mad_u64_u32 v[22:23], null, v22, 24, v[2:3]
	v_mov_b32_e32 v27, v22
	global_load_dwordx2 v[22:23], v[26:27], off glc dlc
	s_waitcnt vmcnt(0)
	global_atomic_cmpswap_x2 v[26:27], v3, v[22:25], s[26:27] offset:24 glc
	s_waitcnt vmcnt(0)
	buffer_gl1_inv
	buffer_gl0_inv
	v_cmp_eq_u64_e32 vcc_lo, v[26:27], v[24:25]
	s_or_b32 s18, vcc_lo, s18
	s_andn2_b32 exec_lo, exec_lo, s18
	s_cbranch_execnz .LBB5_1467
; %bb.1468:                             ;   in Loop: Header=BB5_1415 Depth=1
	s_or_b32 exec_lo, exec_lo, s18
.LBB5_1469:                             ;   in Loop: Header=BB5_1415 Depth=1
	s_or_b32 exec_lo, exec_lo, s15
.LBB5_1470:                             ;   in Loop: Header=BB5_1415 Depth=1
	s_or_b32 exec_lo, exec_lo, s5
	s_clause 0x1
	global_load_dwordx2 v[28:29], v3, s[26:27] offset:40
	global_load_dwordx4 v[22:25], v3, s[26:27]
	v_readfirstlane_b32 s18, v26
	v_readfirstlane_b32 s19, v27
	s_mov_b32 s5, exec_lo
	s_waitcnt vmcnt(1)
	v_readfirstlane_b32 s20, v28
	v_readfirstlane_b32 s21, v29
	s_and_b64 s[20:21], s[18:19], s[20:21]
	s_mul_i32 s15, s21, 24
	s_mul_hi_u32 s22, s20, 24
	s_mul_i32 s23, s20, 24
	s_add_i32 s22, s22, s15
	s_waitcnt vmcnt(0)
	v_add_co_u32 v26, vcc_lo, v22, s23
	v_add_co_ci_u32_e32 v27, vcc_lo, s22, v23, vcc_lo
	s_and_saveexec_b32 s15, s4
	s_cbranch_execz .LBB5_1472
; %bb.1471:                             ;   in Loop: Header=BB5_1415 Depth=1
	v_mov_b32_e32 v2, s5
	global_store_dwordx4 v[26:27], v[2:5], off offset:8
.LBB5_1472:                             ;   in Loop: Header=BB5_1415 Depth=1
	s_or_b32 exec_lo, exec_lo, s15
	s_lshl_b64 s[20:21], s[20:21], 12
	v_or_b32_e32 v2, 2, v6
	v_add_co_u32 v24, vcc_lo, v24, s20
	v_add_co_ci_u32_e32 v25, vcc_lo, s21, v25, vcc_lo
	v_cmp_gt_u64_e64 vcc_lo, s[10:11], 56
	s_lshl_b32 s5, s16, 2
	v_readfirstlane_b32 s20, v24
	s_add_i32 s5, s5, 28
	v_readfirstlane_b32 s21, v25
	s_and_b32 s5, s5, 0x1e0
	v_cndmask_b32_e32 v2, v2, v6, vcc_lo
	v_and_or_b32 v6, 0xffffff1f, v2, s5
	global_store_dwordx4 v39, v[10:13], s[20:21] offset:16
	global_store_dwordx4 v39, v[6:9], s[20:21]
	global_store_dwordx4 v39, v[14:17], s[20:21] offset:32
	global_store_dwordx4 v39, v[18:21], s[20:21] offset:48
	s_and_saveexec_b32 s5, s4
	s_cbranch_execz .LBB5_1480
; %bb.1473:                             ;   in Loop: Header=BB5_1415 Depth=1
	s_clause 0x1
	global_load_dwordx2 v[14:15], v3, s[26:27] offset:32 glc dlc
	global_load_dwordx2 v[6:7], v3, s[26:27] offset:40
	v_mov_b32_e32 v12, s18
	v_mov_b32_e32 v13, s19
	s_waitcnt vmcnt(0)
	v_readfirstlane_b32 s20, v6
	v_readfirstlane_b32 s21, v7
	s_and_b64 s[20:21], s[20:21], s[18:19]
	s_mul_i32 s15, s21, 24
	s_mul_hi_u32 s21, s20, 24
	s_mul_i32 s20, s20, 24
	s_add_i32 s21, s21, s15
	v_add_co_u32 v10, vcc_lo, v22, s20
	v_add_co_ci_u32_e32 v11, vcc_lo, s21, v23, vcc_lo
	s_mov_b32 s15, exec_lo
	global_store_dwordx2 v[10:11], v[14:15], off
	s_waitcnt_vscnt null, 0x0
	global_atomic_cmpswap_x2 v[8:9], v3, v[12:15], s[26:27] offset:32 glc
	s_waitcnt vmcnt(0)
	v_cmpx_ne_u64_e64 v[8:9], v[14:15]
	s_cbranch_execz .LBB5_1476
; %bb.1474:                             ;   in Loop: Header=BB5_1415 Depth=1
	s_mov_b32 s20, 0
.LBB5_1475:                             ;   Parent Loop BB5_1415 Depth=1
                                        ; =>  This Inner Loop Header: Depth=2
	v_mov_b32_e32 v6, s18
	v_mov_b32_e32 v7, s19
	s_sleep 1
	global_store_dwordx2 v[10:11], v[8:9], off
	s_waitcnt_vscnt null, 0x0
	global_atomic_cmpswap_x2 v[6:7], v3, v[6:9], s[26:27] offset:32 glc
	s_waitcnt vmcnt(0)
	v_cmp_eq_u64_e32 vcc_lo, v[6:7], v[8:9]
	v_mov_b32_e32 v9, v7
	v_mov_b32_e32 v8, v6
	s_or_b32 s20, vcc_lo, s20
	s_andn2_b32 exec_lo, exec_lo, s20
	s_cbranch_execnz .LBB5_1475
.LBB5_1476:                             ;   in Loop: Header=BB5_1415 Depth=1
	s_or_b32 exec_lo, exec_lo, s15
	global_load_dwordx2 v[6:7], v3, s[26:27] offset:16
	s_mov_b32 s20, exec_lo
	s_mov_b32 s15, exec_lo
	v_mbcnt_lo_u32_b32 v2, s20, 0
	v_cmpx_eq_u32_e32 0, v2
	s_cbranch_execz .LBB5_1478
; %bb.1477:                             ;   in Loop: Header=BB5_1415 Depth=1
	s_bcnt1_i32_b32 s20, s20
	v_mov_b32_e32 v2, s20
	s_waitcnt vmcnt(0)
	global_atomic_add_x2 v[6:7], v[2:3], off offset:8
.LBB5_1478:                             ;   in Loop: Header=BB5_1415 Depth=1
	s_or_b32 exec_lo, exec_lo, s15
	s_waitcnt vmcnt(0)
	global_load_dwordx2 v[8:9], v[6:7], off offset:16
	s_waitcnt vmcnt(0)
	v_cmp_eq_u64_e32 vcc_lo, 0, v[8:9]
	s_cbranch_vccnz .LBB5_1480
; %bb.1479:                             ;   in Loop: Header=BB5_1415 Depth=1
	global_load_dword v2, v[6:7], off offset:24
	s_waitcnt vmcnt(0)
	v_and_b32_e32 v6, 0x7fffff, v2
	s_waitcnt_vscnt null, 0x0
	global_store_dwordx2 v[8:9], v[2:3], off
	v_readfirstlane_b32 m0, v6
	s_sendmsg sendmsg(MSG_INTERRUPT)
.LBB5_1480:                             ;   in Loop: Header=BB5_1415 Depth=1
	s_or_b32 exec_lo, exec_lo, s5
	v_add_co_u32 v6, vcc_lo, v24, v39
	v_add_co_ci_u32_e32 v7, vcc_lo, 0, v25, vcc_lo
	s_branch .LBB5_1484
	.p2align	6
.LBB5_1481:                             ;   in Loop: Header=BB5_1484 Depth=2
	s_or_b32 exec_lo, exec_lo, s5
	v_readfirstlane_b32 s5, v2
	s_cmp_eq_u32 s5, 0
	s_cbranch_scc1 .LBB5_1483
; %bb.1482:                             ;   in Loop: Header=BB5_1484 Depth=2
	s_sleep 1
	s_cbranch_execnz .LBB5_1484
	s_branch .LBB5_1486
	.p2align	6
.LBB5_1483:                             ;   in Loop: Header=BB5_1415 Depth=1
	s_branch .LBB5_1486
.LBB5_1484:                             ;   Parent Loop BB5_1415 Depth=1
                                        ; =>  This Inner Loop Header: Depth=2
	v_mov_b32_e32 v2, 1
	s_and_saveexec_b32 s5, s4
	s_cbranch_execz .LBB5_1481
; %bb.1485:                             ;   in Loop: Header=BB5_1484 Depth=2
	global_load_dword v2, v[26:27], off offset:20 glc dlc
	s_waitcnt vmcnt(0)
	buffer_gl1_inv
	buffer_gl0_inv
	v_and_b32_e32 v2, 1, v2
	s_branch .LBB5_1481
.LBB5_1486:                             ;   in Loop: Header=BB5_1415 Depth=1
	global_load_dwordx4 v[6:9], v[6:7], off
	s_and_saveexec_b32 s5, s4
	s_cbranch_execz .LBB5_1414
; %bb.1487:                             ;   in Loop: Header=BB5_1415 Depth=1
	s_clause 0x2
	global_load_dwordx2 v[10:11], v3, s[26:27] offset:40
	global_load_dwordx2 v[14:15], v3, s[26:27] offset:24 glc dlc
	global_load_dwordx2 v[12:13], v3, s[26:27]
	s_waitcnt vmcnt(2)
	v_add_co_u32 v2, vcc_lo, v10, 1
	v_add_co_ci_u32_e32 v16, vcc_lo, 0, v11, vcc_lo
	v_add_co_u32 v8, vcc_lo, v2, s18
	v_add_co_ci_u32_e32 v9, vcc_lo, s19, v16, vcc_lo
	v_cmp_eq_u64_e32 vcc_lo, 0, v[8:9]
	v_cndmask_b32_e32 v9, v9, v16, vcc_lo
	v_cndmask_b32_e32 v8, v8, v2, vcc_lo
	v_and_b32_e32 v2, v9, v11
	v_and_b32_e32 v10, v8, v10
	v_mul_lo_u32 v2, v2, 24
	v_mul_hi_u32 v11, v10, 24
	v_mul_lo_u32 v10, v10, 24
	v_add_nc_u32_e32 v2, v11, v2
	s_waitcnt vmcnt(0)
	v_add_co_u32 v12, vcc_lo, v12, v10
	v_mov_b32_e32 v10, v14
	v_mov_b32_e32 v11, v15
	v_add_co_ci_u32_e32 v13, vcc_lo, v13, v2, vcc_lo
	global_store_dwordx2 v[12:13], v[14:15], off
	s_waitcnt_vscnt null, 0x0
	global_atomic_cmpswap_x2 v[10:11], v3, v[8:11], s[26:27] offset:24 glc
	s_waitcnt vmcnt(0)
	v_cmp_ne_u64_e32 vcc_lo, v[10:11], v[14:15]
	s_and_b32 exec_lo, exec_lo, vcc_lo
	s_cbranch_execz .LBB5_1414
; %bb.1488:                             ;   in Loop: Header=BB5_1415 Depth=1
	s_mov_b32 s4, 0
.LBB5_1489:                             ;   Parent Loop BB5_1415 Depth=1
                                        ; =>  This Inner Loop Header: Depth=2
	s_sleep 1
	global_store_dwordx2 v[12:13], v[10:11], off
	s_waitcnt_vscnt null, 0x0
	global_atomic_cmpswap_x2 v[14:15], v3, v[8:11], s[26:27] offset:24 glc
	s_waitcnt vmcnt(0)
	v_cmp_eq_u64_e32 vcc_lo, v[14:15], v[10:11]
	v_mov_b32_e32 v10, v14
	v_mov_b32_e32 v11, v15
	s_or_b32 s4, vcc_lo, s4
	s_andn2_b32 exec_lo, exec_lo, s4
	s_cbranch_execnz .LBB5_1489
	s_branch .LBB5_1414
.LBB5_1490:
	s_mov_b32 s4, 0
	s_branch .LBB5_1492
.LBB5_1491:
	s_mov_b32 s4, -1
.LBB5_1492:
	s_mov_b32 s35, s12
	s_mov_b32 s36, s13
	s_mov_b32 s37, s14
	s_and_b32 vcc_lo, exec_lo, s4
	s_cbranch_vccz .LBB5_1520
; %bb.1493:
	v_readfirstlane_b32 s4, v48
	s_waitcnt vmcnt(0)
	v_mov_b32_e32 v8, 0
	v_mov_b32_e32 v9, 0
	v_cmp_eq_u32_e64 s4, s4, v48
	s_and_saveexec_b32 s5, s4
	s_cbranch_execz .LBB5_1499
; %bb.1494:
	v_mov_b32_e32 v2, 0
	s_mov_b32 s6, exec_lo
	global_load_dwordx2 v[5:6], v2, s[26:27] offset:24 glc dlc
	s_waitcnt vmcnt(0)
	buffer_gl1_inv
	buffer_gl0_inv
	s_clause 0x1
	global_load_dwordx2 v[3:4], v2, s[26:27] offset:40
	global_load_dwordx2 v[7:8], v2, s[26:27]
	s_waitcnt vmcnt(1)
	v_and_b32_e32 v4, v4, v6
	v_and_b32_e32 v3, v3, v5
	v_mul_lo_u32 v4, v4, 24
	v_mul_hi_u32 v9, v3, 24
	v_mul_lo_u32 v3, v3, 24
	v_add_nc_u32_e32 v4, v9, v4
	s_waitcnt vmcnt(0)
	v_add_co_u32 v3, vcc_lo, v7, v3
	v_add_co_ci_u32_e32 v4, vcc_lo, v8, v4, vcc_lo
	global_load_dwordx2 v[3:4], v[3:4], off glc dlc
	s_waitcnt vmcnt(0)
	global_atomic_cmpswap_x2 v[8:9], v2, v[3:6], s[26:27] offset:24 glc
	s_waitcnt vmcnt(0)
	buffer_gl1_inv
	buffer_gl0_inv
	v_cmpx_ne_u64_e64 v[8:9], v[5:6]
	s_cbranch_execz .LBB5_1498
; %bb.1495:
	s_mov_b32 s7, 0
	.p2align	6
.LBB5_1496:                             ; =>This Inner Loop Header: Depth=1
	s_sleep 1
	s_clause 0x1
	global_load_dwordx2 v[3:4], v2, s[26:27] offset:40
	global_load_dwordx2 v[10:11], v2, s[26:27]
	v_mov_b32_e32 v5, v8
	v_mov_b32_e32 v6, v9
	s_waitcnt vmcnt(1)
	v_and_b32_e32 v3, v3, v5
	v_and_b32_e32 v4, v4, v6
	s_waitcnt vmcnt(0)
	v_mad_u64_u32 v[7:8], null, v3, 24, v[10:11]
	v_mov_b32_e32 v3, v8
	v_mad_u64_u32 v[3:4], null, v4, 24, v[3:4]
	v_mov_b32_e32 v8, v3
	global_load_dwordx2 v[3:4], v[7:8], off glc dlc
	s_waitcnt vmcnt(0)
	global_atomic_cmpswap_x2 v[8:9], v2, v[3:6], s[26:27] offset:24 glc
	s_waitcnt vmcnt(0)
	buffer_gl1_inv
	buffer_gl0_inv
	v_cmp_eq_u64_e32 vcc_lo, v[8:9], v[5:6]
	s_or_b32 s7, vcc_lo, s7
	s_andn2_b32 exec_lo, exec_lo, s7
	s_cbranch_execnz .LBB5_1496
; %bb.1497:
	s_or_b32 exec_lo, exec_lo, s7
.LBB5_1498:
	s_or_b32 exec_lo, exec_lo, s6
.LBB5_1499:
	s_or_b32 exec_lo, exec_lo, s5
	v_mov_b32_e32 v2, 0
	v_readfirstlane_b32 s6, v8
	v_readfirstlane_b32 s7, v9
	s_mov_b32 s5, exec_lo
	s_clause 0x1
	global_load_dwordx2 v[10:11], v2, s[26:27] offset:40
	global_load_dwordx4 v[4:7], v2, s[26:27]
	s_waitcnt vmcnt(1)
	v_readfirstlane_b32 s10, v10
	v_readfirstlane_b32 s11, v11
	s_and_b64 s[10:11], s[6:7], s[10:11]
	s_mul_i32 s12, s11, 24
	s_mul_hi_u32 s13, s10, 24
	s_mul_i32 s14, s10, 24
	s_add_i32 s13, s13, s12
	s_waitcnt vmcnt(0)
	v_add_co_u32 v8, vcc_lo, v4, s14
	v_add_co_ci_u32_e32 v9, vcc_lo, s13, v5, vcc_lo
	s_and_saveexec_b32 s12, s4
	s_cbranch_execz .LBB5_1501
; %bb.1500:
	v_mov_b32_e32 v10, s5
	v_mov_b32_e32 v11, v2
	;; [unrolled: 1-line block ×4, first 2 shown]
	global_store_dwordx4 v[8:9], v[10:13], off offset:8
.LBB5_1501:
	s_or_b32 exec_lo, exec_lo, s12
	s_lshl_b64 s[10:11], s[10:11], 12
	s_mov_b32 s12, 0
	v_add_co_u32 v6, vcc_lo, v6, s10
	v_add_co_ci_u32_e32 v7, vcc_lo, s11, v7, vcc_lo
	s_mov_b32 s13, s12
	s_mov_b32 s14, s12
	s_mov_b32 s15, s12
	v_and_or_b32 v0, 0xffffff1d, v0, 34
	v_mov_b32_e32 v3, v2
	v_readfirstlane_b32 s10, v6
	v_readfirstlane_b32 s11, v7
	v_mov_b32_e32 v10, s12
	v_mov_b32_e32 v11, s13
	v_mov_b32_e32 v12, s14
	v_mov_b32_e32 v13, s15
	global_store_dwordx4 v39, v[0:3], s[10:11]
	global_store_dwordx4 v39, v[10:13], s[10:11] offset:16
	global_store_dwordx4 v39, v[10:13], s[10:11] offset:32
	;; [unrolled: 1-line block ×3, first 2 shown]
	s_and_saveexec_b32 s5, s4
	s_cbranch_execz .LBB5_1509
; %bb.1502:
	v_mov_b32_e32 v6, 0
	v_mov_b32_e32 v10, s6
	;; [unrolled: 1-line block ×3, first 2 shown]
	s_clause 0x1
	global_load_dwordx2 v[12:13], v6, s[26:27] offset:32 glc dlc
	global_load_dwordx2 v[0:1], v6, s[26:27] offset:40
	s_waitcnt vmcnt(0)
	v_readfirstlane_b32 s10, v0
	v_readfirstlane_b32 s11, v1
	s_and_b64 s[10:11], s[10:11], s[6:7]
	s_mul_i32 s11, s11, 24
	s_mul_hi_u32 s12, s10, 24
	s_mul_i32 s10, s10, 24
	s_add_i32 s12, s12, s11
	v_add_co_u32 v4, vcc_lo, v4, s10
	v_add_co_ci_u32_e32 v5, vcc_lo, s12, v5, vcc_lo
	s_mov_b32 s10, exec_lo
	global_store_dwordx2 v[4:5], v[12:13], off
	s_waitcnt_vscnt null, 0x0
	global_atomic_cmpswap_x2 v[2:3], v6, v[10:13], s[26:27] offset:32 glc
	s_waitcnt vmcnt(0)
	v_cmpx_ne_u64_e64 v[2:3], v[12:13]
	s_cbranch_execz .LBB5_1505
; %bb.1503:
	s_mov_b32 s11, 0
.LBB5_1504:                             ; =>This Inner Loop Header: Depth=1
	v_mov_b32_e32 v0, s6
	v_mov_b32_e32 v1, s7
	s_sleep 1
	global_store_dwordx2 v[4:5], v[2:3], off
	s_waitcnt_vscnt null, 0x0
	global_atomic_cmpswap_x2 v[0:1], v6, v[0:3], s[26:27] offset:32 glc
	s_waitcnt vmcnt(0)
	v_cmp_eq_u64_e32 vcc_lo, v[0:1], v[2:3]
	v_mov_b32_e32 v3, v1
	v_mov_b32_e32 v2, v0
	s_or_b32 s11, vcc_lo, s11
	s_andn2_b32 exec_lo, exec_lo, s11
	s_cbranch_execnz .LBB5_1504
.LBB5_1505:
	s_or_b32 exec_lo, exec_lo, s10
	v_mov_b32_e32 v3, 0
	s_mov_b32 s11, exec_lo
	s_mov_b32 s10, exec_lo
	v_mbcnt_lo_u32_b32 v2, s11, 0
	global_load_dwordx2 v[0:1], v3, s[26:27] offset:16
	v_cmpx_eq_u32_e32 0, v2
	s_cbranch_execz .LBB5_1507
; %bb.1506:
	s_bcnt1_i32_b32 s11, s11
	v_mov_b32_e32 v2, s11
	s_waitcnt vmcnt(0)
	global_atomic_add_x2 v[0:1], v[2:3], off offset:8
.LBB5_1507:
	s_or_b32 exec_lo, exec_lo, s10
	s_waitcnt vmcnt(0)
	global_load_dwordx2 v[2:3], v[0:1], off offset:16
	s_waitcnt vmcnt(0)
	v_cmp_eq_u64_e32 vcc_lo, 0, v[2:3]
	s_cbranch_vccnz .LBB5_1509
; %bb.1508:
	global_load_dword v0, v[0:1], off offset:24
	v_mov_b32_e32 v1, 0
	s_waitcnt vmcnt(0)
	v_and_b32_e32 v4, 0x7fffff, v0
	s_waitcnt_vscnt null, 0x0
	global_store_dwordx2 v[2:3], v[0:1], off
	v_readfirstlane_b32 m0, v4
	s_sendmsg sendmsg(MSG_INTERRUPT)
.LBB5_1509:
	s_or_b32 exec_lo, exec_lo, s5
	s_branch .LBB5_1513
	.p2align	6
.LBB5_1510:                             ;   in Loop: Header=BB5_1513 Depth=1
	s_or_b32 exec_lo, exec_lo, s5
	v_readfirstlane_b32 s5, v0
	s_cmp_eq_u32 s5, 0
	s_cbranch_scc1 .LBB5_1512
; %bb.1511:                             ;   in Loop: Header=BB5_1513 Depth=1
	s_sleep 1
	s_cbranch_execnz .LBB5_1513
	s_branch .LBB5_1515
	.p2align	6
.LBB5_1512:
	s_branch .LBB5_1515
.LBB5_1513:                             ; =>This Inner Loop Header: Depth=1
	v_mov_b32_e32 v0, 1
	s_and_saveexec_b32 s5, s4
	s_cbranch_execz .LBB5_1510
; %bb.1514:                             ;   in Loop: Header=BB5_1513 Depth=1
	global_load_dword v0, v[8:9], off offset:20 glc dlc
	s_waitcnt vmcnt(0)
	buffer_gl1_inv
	buffer_gl0_inv
	v_and_b32_e32 v0, 1, v0
	s_branch .LBB5_1510
.LBB5_1515:
	s_and_saveexec_b32 s5, s4
	s_cbranch_execz .LBB5_1519
; %bb.1516:
	v_mov_b32_e32 v6, 0
	s_clause 0x2
	global_load_dwordx2 v[2:3], v6, s[26:27] offset:40
	global_load_dwordx2 v[7:8], v6, s[26:27] offset:24 glc dlc
	global_load_dwordx2 v[4:5], v6, s[26:27]
	s_waitcnt vmcnt(2)
	v_add_co_u32 v9, vcc_lo, v2, 1
	v_add_co_ci_u32_e32 v10, vcc_lo, 0, v3, vcc_lo
	v_add_co_u32 v0, vcc_lo, v9, s6
	v_add_co_ci_u32_e32 v1, vcc_lo, s7, v10, vcc_lo
	v_cmp_eq_u64_e32 vcc_lo, 0, v[0:1]
	v_cndmask_b32_e32 v1, v1, v10, vcc_lo
	v_cndmask_b32_e32 v0, v0, v9, vcc_lo
	v_and_b32_e32 v3, v1, v3
	v_and_b32_e32 v2, v0, v2
	v_mul_lo_u32 v3, v3, 24
	v_mul_hi_u32 v9, v2, 24
	v_mul_lo_u32 v2, v2, 24
	v_add_nc_u32_e32 v3, v9, v3
	s_waitcnt vmcnt(0)
	v_add_co_u32 v4, vcc_lo, v4, v2
	v_mov_b32_e32 v2, v7
	v_add_co_ci_u32_e32 v5, vcc_lo, v5, v3, vcc_lo
	v_mov_b32_e32 v3, v8
	global_store_dwordx2 v[4:5], v[7:8], off
	s_waitcnt_vscnt null, 0x0
	global_atomic_cmpswap_x2 v[2:3], v6, v[0:3], s[26:27] offset:24 glc
	s_waitcnt vmcnt(0)
	v_cmp_ne_u64_e32 vcc_lo, v[2:3], v[7:8]
	s_and_b32 exec_lo, exec_lo, vcc_lo
	s_cbranch_execz .LBB5_1519
; %bb.1517:
	s_mov_b32 s4, 0
.LBB5_1518:                             ; =>This Inner Loop Header: Depth=1
	s_sleep 1
	global_store_dwordx2 v[4:5], v[2:3], off
	s_waitcnt_vscnt null, 0x0
	global_atomic_cmpswap_x2 v[7:8], v6, v[0:3], s[26:27] offset:24 glc
	s_waitcnt vmcnt(0)
	v_cmp_eq_u64_e32 vcc_lo, v[7:8], v[2:3]
	v_mov_b32_e32 v2, v7
	v_mov_b32_e32 v3, v8
	s_or_b32 s4, vcc_lo, s4
	s_andn2_b32 exec_lo, exec_lo, s4
	s_cbranch_execnz .LBB5_1518
.LBB5_1519:
	s_or_b32 exec_lo, exec_lo, s5
.LBB5_1520:
	s_getpc_b64 s[4:5]
	s_add_u32 s4, s4, .str@rel32@lo+4
	s_addc_u32 s5, s5, .str@rel32@hi+12
	s_waitcnt vmcnt(0)
	v_mov_b32_e32 v0, s4
	v_mov_b32_e32 v1, s5
	s_mov_b64 s[38:39], src_private_base
	s_getpc_b64 s[40:41]
	s_add_u32 s40, s40, _ZNK8migraphx13basic_printerIZNS_4coutEvEUlT_E_ElsEPKc@rel32@lo+4
	s_addc_u32 s41, s41, _ZNK8migraphx13basic_printerIZNS_4coutEvEUlT_E_ElsEPKc@rel32@hi+12
	s_mov_b64 s[24:25], s[8:9]
	s_swappc_b64 s[30:31], s[40:41]
	s_getpc_b64 s[4:5]
	s_add_u32 s4, s4, .str.3@rel32@lo+4
	s_addc_u32 s5, s5, .str.3@rel32@hi+12
	v_mov_b32_e32 v0, s4
	v_mov_b32_e32 v1, s5
	s_mov_b64 s[8:9], s[24:25]
	s_swappc_b64 s[30:31], s[40:41]
	v_mov_b32_e32 v0, v38
	v_mov_b32_e32 v1, s39
	s_mov_b64 s[8:9], s[24:25]
	s_getpc_b64 s[42:43]
	s_add_u32 s42, s42, _ZN8migraphx4test12print_streamIKNS_13basic_printerIZNS_4coutEvEUlT_E_EEPiEEvRS3_RKT0_@rel32@lo+4
	s_addc_u32 s43, s43, _ZN8migraphx4test12print_streamIKNS_13basic_printerIZNS_4coutEvEUlT_E_EEPiEEvRS3_RKT0_@rel32@hi+12
	s_swappc_b64 s[30:31], s[42:43]
	s_getpc_b64 s[22:23]
	s_add_u32 s22, s22, .str.8@rel32@lo+4
	s_addc_u32 s23, s23, .str.8@rel32@hi+12
	v_mov_b32_e32 v0, s22
	v_mov_b32_e32 v1, s23
	s_mov_b64 s[8:9], s[24:25]
	s_swappc_b64 s[30:31], s[40:41]
	s_getpc_b64 s[4:5]
	s_add_u32 s4, s4, .str.10@rel32@lo+4
	s_addc_u32 s5, s5, .str.10@rel32@hi+12
	v_mov_b32_e32 v0, s4
	v_mov_b32_e32 v1, s5
	s_mov_b64 s[8:9], s[24:25]
	s_swappc_b64 s[30:31], s[40:41]
	v_mov_b32_e32 v0, s22
	v_mov_b32_e32 v1, s23
	s_mov_b64 s[8:9], s[24:25]
	s_swappc_b64 s[30:31], s[40:41]
	v_lshrrev_b32_e64 v0, 5, s33
	v_mov_b32_e32 v1, s39
	s_mov_b64 s[8:9], s[24:25]
	s_swappc_b64 s[30:31], s[42:43]
	s_getpc_b64 s[4:5]
	s_add_u32 s4, s4, .str.4@rel32@lo+4
	s_addc_u32 s5, s5, .str.4@rel32@hi+12
	v_mov_b32_e32 v0, s4
	v_mov_b32_e32 v1, s5
	s_mov_b64 s[8:9], s[24:25]
	s_mov_b64 s[22:23], s[24:25]
	s_swappc_b64 s[30:31], s[40:41]
	v_readfirstlane_b32 s4, v48
	v_mov_b32_e32 v6, 0
	v_mov_b32_e32 v7, 0
	v_cmp_eq_u32_e64 s4, s4, v48
	s_and_saveexec_b32 s5, s4
	s_mov_b32 s14, s37
	s_mov_b32 s13, s36
	;; [unrolled: 1-line block ×3, first 2 shown]
	s_cbranch_execz .LBB5_1526
; %bb.1521:
	v_mov_b32_e32 v0, 0
	s_mov_b32 s6, exec_lo
	global_load_dwordx2 v[3:4], v0, s[26:27] offset:24 glc dlc
	s_waitcnt vmcnt(0)
	buffer_gl1_inv
	buffer_gl0_inv
	s_clause 0x1
	global_load_dwordx2 v[1:2], v0, s[26:27] offset:40
	global_load_dwordx2 v[5:6], v0, s[26:27]
	s_waitcnt vmcnt(1)
	v_and_b32_e32 v2, v2, v4
	v_and_b32_e32 v1, v1, v3
	v_mul_lo_u32 v2, v2, 24
	v_mul_hi_u32 v7, v1, 24
	v_mul_lo_u32 v1, v1, 24
	v_add_nc_u32_e32 v2, v7, v2
	s_waitcnt vmcnt(0)
	v_add_co_u32 v1, vcc_lo, v5, v1
	v_add_co_ci_u32_e32 v2, vcc_lo, v6, v2, vcc_lo
	global_load_dwordx2 v[1:2], v[1:2], off glc dlc
	s_waitcnt vmcnt(0)
	global_atomic_cmpswap_x2 v[6:7], v0, v[1:4], s[26:27] offset:24 glc
	s_waitcnt vmcnt(0)
	buffer_gl1_inv
	buffer_gl0_inv
	v_cmpx_ne_u64_e64 v[6:7], v[3:4]
	s_cbranch_execz .LBB5_1525
; %bb.1522:
	s_mov_b32 s7, 0
	.p2align	6
.LBB5_1523:                             ; =>This Inner Loop Header: Depth=1
	s_sleep 1
	s_clause 0x1
	global_load_dwordx2 v[1:2], v0, s[26:27] offset:40
	global_load_dwordx2 v[8:9], v0, s[26:27]
	v_mov_b32_e32 v3, v6
	v_mov_b32_e32 v4, v7
	s_waitcnt vmcnt(1)
	v_and_b32_e32 v1, v1, v3
	v_and_b32_e32 v2, v2, v4
	s_waitcnt vmcnt(0)
	v_mad_u64_u32 v[5:6], null, v1, 24, v[8:9]
	v_mov_b32_e32 v1, v6
	v_mad_u64_u32 v[1:2], null, v2, 24, v[1:2]
	v_mov_b32_e32 v6, v1
	global_load_dwordx2 v[1:2], v[5:6], off glc dlc
	s_waitcnt vmcnt(0)
	global_atomic_cmpswap_x2 v[6:7], v0, v[1:4], s[26:27] offset:24 glc
	s_waitcnt vmcnt(0)
	buffer_gl1_inv
	buffer_gl0_inv
	v_cmp_eq_u64_e32 vcc_lo, v[6:7], v[3:4]
	s_or_b32 s7, vcc_lo, s7
	s_andn2_b32 exec_lo, exec_lo, s7
	s_cbranch_execnz .LBB5_1523
; %bb.1524:
	s_or_b32 exec_lo, exec_lo, s7
.LBB5_1525:
	s_or_b32 exec_lo, exec_lo, s6
.LBB5_1526:
	s_or_b32 exec_lo, exec_lo, s5
	v_mov_b32_e32 v5, 0
	v_readfirstlane_b32 s6, v6
	v_readfirstlane_b32 s7, v7
	s_mov_b32 s5, exec_lo
	s_clause 0x1
	global_load_dwordx2 v[8:9], v5, s[26:27] offset:40
	global_load_dwordx4 v[0:3], v5, s[26:27]
	s_waitcnt vmcnt(1)
	v_readfirstlane_b32 s8, v8
	v_readfirstlane_b32 s9, v9
	s_and_b64 s[8:9], s[6:7], s[8:9]
	s_mul_i32 s10, s9, 24
	s_mul_hi_u32 s11, s8, 24
	s_mul_i32 s15, s8, 24
	s_add_i32 s11, s11, s10
	s_waitcnt vmcnt(0)
	v_add_co_u32 v8, vcc_lo, v0, s15
	v_add_co_ci_u32_e32 v9, vcc_lo, s11, v1, vcc_lo
	s_and_saveexec_b32 s10, s4
	s_cbranch_execz .LBB5_1528
; %bb.1527:
	v_mov_b32_e32 v4, s5
	v_mov_b32_e32 v6, 2
	;; [unrolled: 1-line block ×3, first 2 shown]
	global_store_dwordx4 v[8:9], v[4:7], off offset:8
.LBB5_1528:
	s_or_b32 exec_lo, exec_lo, s10
	s_lshl_b64 s[8:9], s[8:9], 12
	v_mov_b32_e32 v4, 33
	v_add_co_u32 v2, vcc_lo, v2, s8
	v_add_co_ci_u32_e32 v3, vcc_lo, s9, v3, vcc_lo
	s_mov_b32 s8, 0
	v_add_co_u32 v10, vcc_lo, v2, v39
	s_mov_b32 s11, s8
	s_mov_b32 s9, s8
	;; [unrolled: 1-line block ×3, first 2 shown]
	v_mov_b32_e32 v6, v5
	v_mov_b32_e32 v7, v5
	v_readfirstlane_b32 s16, v2
	v_readfirstlane_b32 s17, v3
	v_mov_b32_e32 v15, s11
	v_add_co_ci_u32_e32 v11, vcc_lo, 0, v3, vcc_lo
	v_mov_b32_e32 v14, s10
	v_mov_b32_e32 v13, s9
	;; [unrolled: 1-line block ×3, first 2 shown]
	global_store_dwordx4 v39, v[4:7], s[16:17]
	global_store_dwordx4 v39, v[12:15], s[16:17] offset:16
	global_store_dwordx4 v39, v[12:15], s[16:17] offset:32
	;; [unrolled: 1-line block ×3, first 2 shown]
	s_and_saveexec_b32 s5, s4
	s_mov_b64 s[8:9], s[22:23]
	s_cbranch_execz .LBB5_1536
; %bb.1529:
	v_mov_b32_e32 v6, 0
	v_mov_b32_e32 v12, s6
	;; [unrolled: 1-line block ×3, first 2 shown]
	s_clause 0x1
	global_load_dwordx2 v[14:15], v6, s[26:27] offset:32 glc dlc
	global_load_dwordx2 v[2:3], v6, s[26:27] offset:40
	s_waitcnt vmcnt(0)
	v_readfirstlane_b32 s10, v2
	v_readfirstlane_b32 s11, v3
	s_and_b64 s[10:11], s[10:11], s[6:7]
	s_mul_i32 s11, s11, 24
	s_mul_hi_u32 s15, s10, 24
	s_mul_i32 s10, s10, 24
	s_add_i32 s15, s15, s11
	v_add_co_u32 v4, vcc_lo, v0, s10
	v_add_co_ci_u32_e32 v5, vcc_lo, s15, v1, vcc_lo
	s_mov_b32 s10, exec_lo
	global_store_dwordx2 v[4:5], v[14:15], off
	s_waitcnt_vscnt null, 0x0
	global_atomic_cmpswap_x2 v[2:3], v6, v[12:15], s[26:27] offset:32 glc
	s_waitcnt vmcnt(0)
	v_cmpx_ne_u64_e64 v[2:3], v[14:15]
	s_cbranch_execz .LBB5_1532
; %bb.1530:
	s_mov_b32 s11, 0
.LBB5_1531:                             ; =>This Inner Loop Header: Depth=1
	v_mov_b32_e32 v0, s6
	v_mov_b32_e32 v1, s7
	s_sleep 1
	global_store_dwordx2 v[4:5], v[2:3], off
	s_waitcnt_vscnt null, 0x0
	global_atomic_cmpswap_x2 v[0:1], v6, v[0:3], s[26:27] offset:32 glc
	s_waitcnt vmcnt(0)
	v_cmp_eq_u64_e32 vcc_lo, v[0:1], v[2:3]
	v_mov_b32_e32 v3, v1
	v_mov_b32_e32 v2, v0
	s_or_b32 s11, vcc_lo, s11
	s_andn2_b32 exec_lo, exec_lo, s11
	s_cbranch_execnz .LBB5_1531
.LBB5_1532:
	s_or_b32 exec_lo, exec_lo, s10
	v_mov_b32_e32 v3, 0
	s_mov_b32 s11, exec_lo
	s_mov_b32 s10, exec_lo
	v_mbcnt_lo_u32_b32 v2, s11, 0
	global_load_dwordx2 v[0:1], v3, s[26:27] offset:16
	v_cmpx_eq_u32_e32 0, v2
	s_cbranch_execz .LBB5_1534
; %bb.1533:
	s_bcnt1_i32_b32 s11, s11
	v_mov_b32_e32 v2, s11
	s_waitcnt vmcnt(0)
	global_atomic_add_x2 v[0:1], v[2:3], off offset:8
.LBB5_1534:
	s_or_b32 exec_lo, exec_lo, s10
	s_waitcnt vmcnt(0)
	global_load_dwordx2 v[2:3], v[0:1], off offset:16
	s_waitcnt vmcnt(0)
	v_cmp_eq_u64_e32 vcc_lo, 0, v[2:3]
	s_cbranch_vccnz .LBB5_1536
; %bb.1535:
	global_load_dword v0, v[0:1], off offset:24
	v_mov_b32_e32 v1, 0
	s_waitcnt vmcnt(0)
	v_and_b32_e32 v4, 0x7fffff, v0
	s_waitcnt_vscnt null, 0x0
	global_store_dwordx2 v[2:3], v[0:1], off
	v_readfirstlane_b32 m0, v4
	s_sendmsg sendmsg(MSG_INTERRUPT)
.LBB5_1536:
	s_or_b32 exec_lo, exec_lo, s5
	s_branch .LBB5_1540
	.p2align	6
.LBB5_1537:                             ;   in Loop: Header=BB5_1540 Depth=1
	s_or_b32 exec_lo, exec_lo, s5
	v_readfirstlane_b32 s5, v0
	s_cmp_eq_u32 s5, 0
	s_cbranch_scc1 .LBB5_1539
; %bb.1538:                             ;   in Loop: Header=BB5_1540 Depth=1
	s_sleep 1
	s_cbranch_execnz .LBB5_1540
	s_branch .LBB5_1542
	.p2align	6
.LBB5_1539:
	s_branch .LBB5_1542
.LBB5_1540:                             ; =>This Inner Loop Header: Depth=1
	v_mov_b32_e32 v0, 1
	s_and_saveexec_b32 s5, s4
	s_cbranch_execz .LBB5_1537
; %bb.1541:                             ;   in Loop: Header=BB5_1540 Depth=1
	global_load_dword v0, v[8:9], off offset:20 glc dlc
	s_waitcnt vmcnt(0)
	buffer_gl1_inv
	buffer_gl0_inv
	v_and_b32_e32 v0, 1, v0
	s_branch .LBB5_1537
.LBB5_1542:
	global_load_dwordx2 v[0:1], v[10:11], off
	s_and_saveexec_b32 s5, s4
	s_cbranch_execz .LBB5_1546
; %bb.1543:
	v_mov_b32_e32 v8, 0
	s_clause 0x2
	global_load_dwordx2 v[4:5], v8, s[26:27] offset:40
	global_load_dwordx2 v[9:10], v8, s[26:27] offset:24 glc dlc
	global_load_dwordx2 v[6:7], v8, s[26:27]
	s_waitcnt vmcnt(2)
	v_add_co_u32 v11, vcc_lo, v4, 1
	v_add_co_ci_u32_e32 v12, vcc_lo, 0, v5, vcc_lo
	v_add_co_u32 v2, vcc_lo, v11, s6
	v_add_co_ci_u32_e32 v3, vcc_lo, s7, v12, vcc_lo
	v_cmp_eq_u64_e32 vcc_lo, 0, v[2:3]
	v_cndmask_b32_e32 v3, v3, v12, vcc_lo
	v_cndmask_b32_e32 v2, v2, v11, vcc_lo
	v_and_b32_e32 v5, v3, v5
	v_and_b32_e32 v4, v2, v4
	v_mul_lo_u32 v5, v5, 24
	v_mul_hi_u32 v11, v4, 24
	v_mul_lo_u32 v4, v4, 24
	v_add_nc_u32_e32 v5, v11, v5
	s_waitcnt vmcnt(0)
	v_add_co_u32 v6, vcc_lo, v6, v4
	v_mov_b32_e32 v4, v9
	v_add_co_ci_u32_e32 v7, vcc_lo, v7, v5, vcc_lo
	v_mov_b32_e32 v5, v10
	global_store_dwordx2 v[6:7], v[9:10], off
	s_waitcnt_vscnt null, 0x0
	global_atomic_cmpswap_x2 v[4:5], v8, v[2:5], s[26:27] offset:24 glc
	s_waitcnt vmcnt(0)
	v_cmp_ne_u64_e32 vcc_lo, v[4:5], v[9:10]
	s_and_b32 exec_lo, exec_lo, vcc_lo
	s_cbranch_execz .LBB5_1546
; %bb.1544:
	s_mov_b32 s4, 0
.LBB5_1545:                             ; =>This Inner Loop Header: Depth=1
	s_sleep 1
	global_store_dwordx2 v[6:7], v[4:5], off
	s_waitcnt_vscnt null, 0x0
	global_atomic_cmpswap_x2 v[9:10], v8, v[2:5], s[26:27] offset:24 glc
	s_waitcnt vmcnt(0)
	v_cmp_eq_u64_e32 vcc_lo, v[9:10], v[4:5]
	v_mov_b32_e32 v4, v9
	v_mov_b32_e32 v5, v10
	s_or_b32 s4, vcc_lo, s4
	s_andn2_b32 exec_lo, exec_lo, s4
	s_cbranch_execnz .LBB5_1545
.LBB5_1546:
	s_or_b32 exec_lo, exec_lo, s5
	s_and_b32 vcc_lo, exec_lo, s34
	s_cbranch_vccz .LBB5_1625
; %bb.1547:
	s_waitcnt vmcnt(0)
	v_and_b32_e32 v31, 2, v0
	v_mov_b32_e32 v6, 0
	v_and_b32_e32 v2, -3, v0
	v_mov_b32_e32 v3, v1
	v_mov_b32_e32 v7, 2
	;; [unrolled: 1-line block ×3, first 2 shown]
	s_mov_b64 s[10:11], 3
	s_getpc_b64 s[6:7]
	s_add_u32 s6, s6, .str.6@rel32@lo+4
	s_addc_u32 s7, s7, .str.6@rel32@hi+12
	s_branch .LBB5_1549
.LBB5_1548:                             ;   in Loop: Header=BB5_1549 Depth=1
	s_or_b32 exec_lo, exec_lo, s5
	s_sub_u32 s10, s10, s16
	s_subb_u32 s11, s11, s17
	s_add_u32 s6, s6, s16
	s_addc_u32 s7, s7, s17
	s_cmp_lg_u64 s[10:11], 0
	s_cbranch_scc0 .LBB5_1624
.LBB5_1549:                             ; =>This Loop Header: Depth=1
                                        ;     Child Loop BB5_1558 Depth 2
                                        ;     Child Loop BB5_1554 Depth 2
	;; [unrolled: 1-line block ×11, first 2 shown]
	v_cmp_lt_u64_e64 s4, s[10:11], 56
	v_cmp_gt_u64_e64 s5, s[10:11], 7
                                        ; implicit-def: $vgpr11_vgpr12
                                        ; implicit-def: $sgpr15
	s_and_b32 s4, s4, exec_lo
	s_cselect_b32 s17, s11, 0
	s_cselect_b32 s16, s10, 56
	s_and_b32 vcc_lo, exec_lo, s5
	s_mov_b32 s4, -1
	s_cbranch_vccz .LBB5_1556
; %bb.1550:                             ;   in Loop: Header=BB5_1549 Depth=1
	s_andn2_b32 vcc_lo, exec_lo, s4
	s_mov_b64 s[4:5], s[6:7]
	s_cbranch_vccz .LBB5_1560
.LBB5_1551:                             ;   in Loop: Header=BB5_1549 Depth=1
	s_cmp_gt_u32 s15, 7
	s_cbranch_scc1 .LBB5_1561
.LBB5_1552:                             ;   in Loop: Header=BB5_1549 Depth=1
	v_mov_b32_e32 v13, 0
	v_mov_b32_e32 v14, 0
	s_cmp_eq_u32 s15, 0
	s_cbranch_scc1 .LBB5_1555
; %bb.1553:                             ;   in Loop: Header=BB5_1549 Depth=1
	s_mov_b64 s[18:19], 0
	s_mov_b64 s[20:21], 0
.LBB5_1554:                             ;   Parent Loop BB5_1549 Depth=1
                                        ; =>  This Inner Loop Header: Depth=2
	s_add_u32 s22, s4, s20
	s_addc_u32 s23, s5, s21
	s_add_u32 s20, s20, 1
	global_load_ubyte v4, v6, s[22:23]
	s_addc_u32 s21, s21, 0
	s_waitcnt vmcnt(0)
	v_and_b32_e32 v5, 0xffff, v4
	v_lshlrev_b64 v[4:5], s18, v[5:6]
	s_add_u32 s18, s18, 8
	s_addc_u32 s19, s19, 0
	s_cmp_lg_u32 s15, s20
	v_or_b32_e32 v13, v4, v13
	v_or_b32_e32 v14, v5, v14
	s_cbranch_scc1 .LBB5_1554
.LBB5_1555:                             ;   in Loop: Header=BB5_1549 Depth=1
	s_mov_b32 s22, 0
	s_cbranch_execz .LBB5_1562
	s_branch .LBB5_1563
.LBB5_1556:                             ;   in Loop: Header=BB5_1549 Depth=1
	v_mov_b32_e32 v11, 0
	v_mov_b32_e32 v12, 0
	s_cmp_eq_u64 s[10:11], 0
	s_mov_b64 s[4:5], 0
	s_cbranch_scc1 .LBB5_1559
; %bb.1557:                             ;   in Loop: Header=BB5_1549 Depth=1
	v_mov_b32_e32 v11, 0
	v_mov_b32_e32 v12, 0
	s_lshl_b64 s[18:19], s[16:17], 3
	s_mov_b64 s[20:21], s[6:7]
.LBB5_1558:                             ;   Parent Loop BB5_1549 Depth=1
                                        ; =>  This Inner Loop Header: Depth=2
	global_load_ubyte v4, v6, s[20:21]
	s_waitcnt vmcnt(0)
	v_and_b32_e32 v5, 0xffff, v4
	v_lshlrev_b64 v[4:5], s4, v[5:6]
	s_add_u32 s4, s4, 8
	s_addc_u32 s5, s5, 0
	s_add_u32 s20, s20, 1
	s_addc_u32 s21, s21, 0
	s_cmp_lg_u32 s18, s4
	v_or_b32_e32 v11, v4, v11
	v_or_b32_e32 v12, v5, v12
	s_cbranch_scc1 .LBB5_1558
.LBB5_1559:                             ;   in Loop: Header=BB5_1549 Depth=1
	s_mov_b32 s15, 0
	s_mov_b64 s[4:5], s[6:7]
	s_cbranch_execnz .LBB5_1551
.LBB5_1560:                             ;   in Loop: Header=BB5_1549 Depth=1
	global_load_dwordx2 v[11:12], v6, s[6:7]
	s_add_i32 s15, s16, -8
	s_add_u32 s4, s6, 8
	s_addc_u32 s5, s7, 0
	s_cmp_gt_u32 s15, 7
	s_cbranch_scc0 .LBB5_1552
.LBB5_1561:                             ;   in Loop: Header=BB5_1549 Depth=1
                                        ; implicit-def: $vgpr13_vgpr14
                                        ; implicit-def: $sgpr22
.LBB5_1562:                             ;   in Loop: Header=BB5_1549 Depth=1
	global_load_dwordx2 v[13:14], v6, s[4:5]
	s_add_i32 s22, s15, -8
	s_add_u32 s4, s4, 8
	s_addc_u32 s5, s5, 0
.LBB5_1563:                             ;   in Loop: Header=BB5_1549 Depth=1
	s_cmp_gt_u32 s22, 7
	s_cbranch_scc1 .LBB5_1568
; %bb.1564:                             ;   in Loop: Header=BB5_1549 Depth=1
	v_mov_b32_e32 v15, 0
	v_mov_b32_e32 v16, 0
	s_cmp_eq_u32 s22, 0
	s_cbranch_scc1 .LBB5_1567
; %bb.1565:                             ;   in Loop: Header=BB5_1549 Depth=1
	s_mov_b64 s[18:19], 0
	s_mov_b64 s[20:21], 0
.LBB5_1566:                             ;   Parent Loop BB5_1549 Depth=1
                                        ; =>  This Inner Loop Header: Depth=2
	s_add_u32 s24, s4, s20
	s_addc_u32 s25, s5, s21
	s_add_u32 s20, s20, 1
	global_load_ubyte v4, v6, s[24:25]
	s_addc_u32 s21, s21, 0
	s_waitcnt vmcnt(0)
	v_and_b32_e32 v5, 0xffff, v4
	v_lshlrev_b64 v[4:5], s18, v[5:6]
	s_add_u32 s18, s18, 8
	s_addc_u32 s19, s19, 0
	s_cmp_lg_u32 s22, s20
	v_or_b32_e32 v15, v4, v15
	v_or_b32_e32 v16, v5, v16
	s_cbranch_scc1 .LBB5_1566
.LBB5_1567:                             ;   in Loop: Header=BB5_1549 Depth=1
	s_mov_b32 s15, 0
	s_cbranch_execz .LBB5_1569
	s_branch .LBB5_1570
.LBB5_1568:                             ;   in Loop: Header=BB5_1549 Depth=1
                                        ; implicit-def: $sgpr15
.LBB5_1569:                             ;   in Loop: Header=BB5_1549 Depth=1
	global_load_dwordx2 v[15:16], v6, s[4:5]
	s_add_i32 s15, s22, -8
	s_add_u32 s4, s4, 8
	s_addc_u32 s5, s5, 0
.LBB5_1570:                             ;   in Loop: Header=BB5_1549 Depth=1
	s_cmp_gt_u32 s15, 7
	s_cbranch_scc1 .LBB5_1575
; %bb.1571:                             ;   in Loop: Header=BB5_1549 Depth=1
	v_mov_b32_e32 v17, 0
	v_mov_b32_e32 v18, 0
	s_cmp_eq_u32 s15, 0
	s_cbranch_scc1 .LBB5_1574
; %bb.1572:                             ;   in Loop: Header=BB5_1549 Depth=1
	s_mov_b64 s[18:19], 0
	s_mov_b64 s[20:21], 0
.LBB5_1573:                             ;   Parent Loop BB5_1549 Depth=1
                                        ; =>  This Inner Loop Header: Depth=2
	s_add_u32 s22, s4, s20
	s_addc_u32 s23, s5, s21
	s_add_u32 s20, s20, 1
	global_load_ubyte v4, v6, s[22:23]
	s_addc_u32 s21, s21, 0
	s_waitcnt vmcnt(0)
	v_and_b32_e32 v5, 0xffff, v4
	v_lshlrev_b64 v[4:5], s18, v[5:6]
	s_add_u32 s18, s18, 8
	s_addc_u32 s19, s19, 0
	s_cmp_lg_u32 s15, s20
	v_or_b32_e32 v17, v4, v17
	v_or_b32_e32 v18, v5, v18
	s_cbranch_scc1 .LBB5_1573
.LBB5_1574:                             ;   in Loop: Header=BB5_1549 Depth=1
	s_mov_b32 s22, 0
	s_cbranch_execz .LBB5_1576
	s_branch .LBB5_1577
.LBB5_1575:                             ;   in Loop: Header=BB5_1549 Depth=1
                                        ; implicit-def: $vgpr17_vgpr18
                                        ; implicit-def: $sgpr22
.LBB5_1576:                             ;   in Loop: Header=BB5_1549 Depth=1
	global_load_dwordx2 v[17:18], v6, s[4:5]
	s_add_i32 s22, s15, -8
	s_add_u32 s4, s4, 8
	s_addc_u32 s5, s5, 0
.LBB5_1577:                             ;   in Loop: Header=BB5_1549 Depth=1
	s_cmp_gt_u32 s22, 7
	s_cbranch_scc1 .LBB5_1582
; %bb.1578:                             ;   in Loop: Header=BB5_1549 Depth=1
	v_mov_b32_e32 v19, 0
	v_mov_b32_e32 v20, 0
	s_cmp_eq_u32 s22, 0
	s_cbranch_scc1 .LBB5_1581
; %bb.1579:                             ;   in Loop: Header=BB5_1549 Depth=1
	s_mov_b64 s[18:19], 0
	s_mov_b64 s[20:21], 0
.LBB5_1580:                             ;   Parent Loop BB5_1549 Depth=1
                                        ; =>  This Inner Loop Header: Depth=2
	s_add_u32 s24, s4, s20
	s_addc_u32 s25, s5, s21
	s_add_u32 s20, s20, 1
	global_load_ubyte v4, v6, s[24:25]
	s_addc_u32 s21, s21, 0
	s_waitcnt vmcnt(0)
	v_and_b32_e32 v5, 0xffff, v4
	v_lshlrev_b64 v[4:5], s18, v[5:6]
	s_add_u32 s18, s18, 8
	s_addc_u32 s19, s19, 0
	s_cmp_lg_u32 s22, s20
	v_or_b32_e32 v19, v4, v19
	v_or_b32_e32 v20, v5, v20
	s_cbranch_scc1 .LBB5_1580
.LBB5_1581:                             ;   in Loop: Header=BB5_1549 Depth=1
	s_mov_b32 s15, 0
	s_cbranch_execz .LBB5_1583
	s_branch .LBB5_1584
.LBB5_1582:                             ;   in Loop: Header=BB5_1549 Depth=1
                                        ; implicit-def: $sgpr15
.LBB5_1583:                             ;   in Loop: Header=BB5_1549 Depth=1
	global_load_dwordx2 v[19:20], v6, s[4:5]
	s_add_i32 s15, s22, -8
	s_add_u32 s4, s4, 8
	s_addc_u32 s5, s5, 0
.LBB5_1584:                             ;   in Loop: Header=BB5_1549 Depth=1
	s_cmp_gt_u32 s15, 7
	s_cbranch_scc1 .LBB5_1589
; %bb.1585:                             ;   in Loop: Header=BB5_1549 Depth=1
	v_mov_b32_e32 v21, 0
	v_mov_b32_e32 v22, 0
	s_cmp_eq_u32 s15, 0
	s_cbranch_scc1 .LBB5_1588
; %bb.1586:                             ;   in Loop: Header=BB5_1549 Depth=1
	s_mov_b64 s[18:19], 0
	s_mov_b64 s[20:21], 0
.LBB5_1587:                             ;   Parent Loop BB5_1549 Depth=1
                                        ; =>  This Inner Loop Header: Depth=2
	s_add_u32 s22, s4, s20
	s_addc_u32 s23, s5, s21
	s_add_u32 s20, s20, 1
	global_load_ubyte v4, v6, s[22:23]
	s_addc_u32 s21, s21, 0
	s_waitcnt vmcnt(0)
	v_and_b32_e32 v5, 0xffff, v4
	v_lshlrev_b64 v[4:5], s18, v[5:6]
	s_add_u32 s18, s18, 8
	s_addc_u32 s19, s19, 0
	s_cmp_lg_u32 s15, s20
	v_or_b32_e32 v21, v4, v21
	v_or_b32_e32 v22, v5, v22
	s_cbranch_scc1 .LBB5_1587
.LBB5_1588:                             ;   in Loop: Header=BB5_1549 Depth=1
	s_mov_b32 s22, 0
	s_cbranch_execz .LBB5_1590
	s_branch .LBB5_1591
.LBB5_1589:                             ;   in Loop: Header=BB5_1549 Depth=1
                                        ; implicit-def: $vgpr21_vgpr22
                                        ; implicit-def: $sgpr22
.LBB5_1590:                             ;   in Loop: Header=BB5_1549 Depth=1
	global_load_dwordx2 v[21:22], v6, s[4:5]
	s_add_i32 s22, s15, -8
	s_add_u32 s4, s4, 8
	s_addc_u32 s5, s5, 0
.LBB5_1591:                             ;   in Loop: Header=BB5_1549 Depth=1
	s_cmp_gt_u32 s22, 7
	s_cbranch_scc1 .LBB5_1596
; %bb.1592:                             ;   in Loop: Header=BB5_1549 Depth=1
	v_mov_b32_e32 v23, 0
	v_mov_b32_e32 v24, 0
	s_cmp_eq_u32 s22, 0
	s_cbranch_scc1 .LBB5_1595
; %bb.1593:                             ;   in Loop: Header=BB5_1549 Depth=1
	s_mov_b64 s[18:19], 0
	s_mov_b64 s[20:21], s[4:5]
.LBB5_1594:                             ;   Parent Loop BB5_1549 Depth=1
                                        ; =>  This Inner Loop Header: Depth=2
	global_load_ubyte v4, v6, s[20:21]
	s_add_i32 s22, s22, -1
	s_waitcnt vmcnt(0)
	v_and_b32_e32 v5, 0xffff, v4
	v_lshlrev_b64 v[4:5], s18, v[5:6]
	s_add_u32 s18, s18, 8
	s_addc_u32 s19, s19, 0
	s_add_u32 s20, s20, 1
	s_addc_u32 s21, s21, 0
	s_cmp_lg_u32 s22, 0
	v_or_b32_e32 v23, v4, v23
	v_or_b32_e32 v24, v5, v24
	s_cbranch_scc1 .LBB5_1594
.LBB5_1595:                             ;   in Loop: Header=BB5_1549 Depth=1
	s_cbranch_execz .LBB5_1597
	s_branch .LBB5_1598
.LBB5_1596:                             ;   in Loop: Header=BB5_1549 Depth=1
.LBB5_1597:                             ;   in Loop: Header=BB5_1549 Depth=1
	global_load_dwordx2 v[23:24], v6, s[4:5]
.LBB5_1598:                             ;   in Loop: Header=BB5_1549 Depth=1
	v_readfirstlane_b32 s4, v48
	s_waitcnt vmcnt(0)
	v_mov_b32_e32 v4, 0
	v_mov_b32_e32 v5, 0
	v_cmp_eq_u32_e64 s4, s4, v48
	s_and_saveexec_b32 s5, s4
	s_cbranch_execz .LBB5_1604
; %bb.1599:                             ;   in Loop: Header=BB5_1549 Depth=1
	global_load_dwordx2 v[27:28], v6, s[26:27] offset:24 glc dlc
	s_waitcnt vmcnt(0)
	buffer_gl1_inv
	buffer_gl0_inv
	s_clause 0x1
	global_load_dwordx2 v[4:5], v6, s[26:27] offset:40
	global_load_dwordx2 v[9:10], v6, s[26:27]
	s_mov_b32 s15, exec_lo
	s_waitcnt vmcnt(1)
	v_and_b32_e32 v5, v5, v28
	v_and_b32_e32 v4, v4, v27
	v_mul_lo_u32 v5, v5, 24
	v_mul_hi_u32 v25, v4, 24
	v_mul_lo_u32 v4, v4, 24
	v_add_nc_u32_e32 v5, v25, v5
	s_waitcnt vmcnt(0)
	v_add_co_u32 v4, vcc_lo, v9, v4
	v_add_co_ci_u32_e32 v5, vcc_lo, v10, v5, vcc_lo
	global_load_dwordx2 v[25:26], v[4:5], off glc dlc
	s_waitcnt vmcnt(0)
	global_atomic_cmpswap_x2 v[4:5], v6, v[25:28], s[26:27] offset:24 glc
	s_waitcnt vmcnt(0)
	buffer_gl1_inv
	buffer_gl0_inv
	v_cmpx_ne_u64_e64 v[4:5], v[27:28]
	s_cbranch_execz .LBB5_1603
; %bb.1600:                             ;   in Loop: Header=BB5_1549 Depth=1
	s_mov_b32 s18, 0
	.p2align	6
.LBB5_1601:                             ;   Parent Loop BB5_1549 Depth=1
                                        ; =>  This Inner Loop Header: Depth=2
	s_sleep 1
	s_clause 0x1
	global_load_dwordx2 v[9:10], v6, s[26:27] offset:40
	global_load_dwordx2 v[25:26], v6, s[26:27]
	v_mov_b32_e32 v28, v5
	v_mov_b32_e32 v27, v4
	s_waitcnt vmcnt(1)
	v_and_b32_e32 v4, v9, v27
	v_and_b32_e32 v9, v10, v28
	s_waitcnt vmcnt(0)
	v_mad_u64_u32 v[4:5], null, v4, 24, v[25:26]
	v_mad_u64_u32 v[9:10], null, v9, 24, v[5:6]
	v_mov_b32_e32 v5, v9
	global_load_dwordx2 v[25:26], v[4:5], off glc dlc
	s_waitcnt vmcnt(0)
	global_atomic_cmpswap_x2 v[4:5], v6, v[25:28], s[26:27] offset:24 glc
	s_waitcnt vmcnt(0)
	buffer_gl1_inv
	buffer_gl0_inv
	v_cmp_eq_u64_e32 vcc_lo, v[4:5], v[27:28]
	s_or_b32 s18, vcc_lo, s18
	s_andn2_b32 exec_lo, exec_lo, s18
	s_cbranch_execnz .LBB5_1601
; %bb.1602:                             ;   in Loop: Header=BB5_1549 Depth=1
	s_or_b32 exec_lo, exec_lo, s18
.LBB5_1603:                             ;   in Loop: Header=BB5_1549 Depth=1
	s_or_b32 exec_lo, exec_lo, s15
.LBB5_1604:                             ;   in Loop: Header=BB5_1549 Depth=1
	s_or_b32 exec_lo, exec_lo, s5
	s_clause 0x1
	global_load_dwordx2 v[9:10], v6, s[26:27] offset:40
	global_load_dwordx4 v[25:28], v6, s[26:27]
	v_readfirstlane_b32 s18, v4
	v_readfirstlane_b32 s19, v5
	s_mov_b32 s5, exec_lo
	s_waitcnt vmcnt(1)
	v_readfirstlane_b32 s20, v9
	v_readfirstlane_b32 s21, v10
	s_and_b64 s[20:21], s[18:19], s[20:21]
	s_mul_i32 s15, s21, 24
	s_mul_hi_u32 s22, s20, 24
	s_mul_i32 s23, s20, 24
	s_add_i32 s22, s22, s15
	s_waitcnt vmcnt(0)
	v_add_co_u32 v29, vcc_lo, v25, s23
	v_add_co_ci_u32_e32 v30, vcc_lo, s22, v26, vcc_lo
	s_and_saveexec_b32 s15, s4
	s_cbranch_execz .LBB5_1606
; %bb.1605:                             ;   in Loop: Header=BB5_1549 Depth=1
	v_mov_b32_e32 v5, s5
	global_store_dwordx4 v[29:30], v[5:8], off offset:8
.LBB5_1606:                             ;   in Loop: Header=BB5_1549 Depth=1
	s_or_b32 exec_lo, exec_lo, s15
	s_lshl_b64 s[20:21], s[20:21], 12
	v_cmp_gt_u64_e64 vcc_lo, s[10:11], 56
	v_or_b32_e32 v5, v2, v31
	v_add_co_u32 v27, s5, v27, s20
	v_add_co_ci_u32_e64 v28, s5, s21, v28, s5
	s_lshl_b32 s5, s16, 2
	v_or_b32_e32 v4, 0, v3
	v_cndmask_b32_e32 v2, v5, v2, vcc_lo
	s_add_i32 s5, s5, 28
	v_readfirstlane_b32 s20, v27
	s_and_b32 s5, s5, 0x1e0
	v_cndmask_b32_e32 v10, v4, v3, vcc_lo
	v_readfirstlane_b32 s21, v28
	v_and_or_b32 v9, 0xffffff1f, v2, s5
	global_store_dwordx4 v39, v[9:12], s[20:21]
	global_store_dwordx4 v39, v[13:16], s[20:21] offset:16
	global_store_dwordx4 v39, v[17:20], s[20:21] offset:32
	;; [unrolled: 1-line block ×3, first 2 shown]
	s_and_saveexec_b32 s5, s4
	s_cbranch_execz .LBB5_1614
; %bb.1607:                             ;   in Loop: Header=BB5_1549 Depth=1
	s_clause 0x1
	global_load_dwordx2 v[13:14], v6, s[26:27] offset:32 glc dlc
	global_load_dwordx2 v[2:3], v6, s[26:27] offset:40
	v_mov_b32_e32 v11, s18
	v_mov_b32_e32 v12, s19
	s_waitcnt vmcnt(0)
	v_readfirstlane_b32 s20, v2
	v_readfirstlane_b32 s21, v3
	s_and_b64 s[20:21], s[20:21], s[18:19]
	s_mul_i32 s15, s21, 24
	s_mul_hi_u32 s21, s20, 24
	s_mul_i32 s20, s20, 24
	s_add_i32 s21, s21, s15
	v_add_co_u32 v9, vcc_lo, v25, s20
	v_add_co_ci_u32_e32 v10, vcc_lo, s21, v26, vcc_lo
	s_mov_b32 s15, exec_lo
	global_store_dwordx2 v[9:10], v[13:14], off
	s_waitcnt_vscnt null, 0x0
	global_atomic_cmpswap_x2 v[4:5], v6, v[11:14], s[26:27] offset:32 glc
	s_waitcnt vmcnt(0)
	v_cmpx_ne_u64_e64 v[4:5], v[13:14]
	s_cbranch_execz .LBB5_1610
; %bb.1608:                             ;   in Loop: Header=BB5_1549 Depth=1
	s_mov_b32 s20, 0
.LBB5_1609:                             ;   Parent Loop BB5_1549 Depth=1
                                        ; =>  This Inner Loop Header: Depth=2
	v_mov_b32_e32 v2, s18
	v_mov_b32_e32 v3, s19
	s_sleep 1
	global_store_dwordx2 v[9:10], v[4:5], off
	s_waitcnt_vscnt null, 0x0
	global_atomic_cmpswap_x2 v[2:3], v6, v[2:5], s[26:27] offset:32 glc
	s_waitcnt vmcnt(0)
	v_cmp_eq_u64_e32 vcc_lo, v[2:3], v[4:5]
	v_mov_b32_e32 v5, v3
	v_mov_b32_e32 v4, v2
	s_or_b32 s20, vcc_lo, s20
	s_andn2_b32 exec_lo, exec_lo, s20
	s_cbranch_execnz .LBB5_1609
.LBB5_1610:                             ;   in Loop: Header=BB5_1549 Depth=1
	s_or_b32 exec_lo, exec_lo, s15
	global_load_dwordx2 v[2:3], v6, s[26:27] offset:16
	s_mov_b32 s20, exec_lo
	s_mov_b32 s15, exec_lo
	v_mbcnt_lo_u32_b32 v4, s20, 0
	v_cmpx_eq_u32_e32 0, v4
	s_cbranch_execz .LBB5_1612
; %bb.1611:                             ;   in Loop: Header=BB5_1549 Depth=1
	s_bcnt1_i32_b32 s20, s20
	v_mov_b32_e32 v5, s20
	s_waitcnt vmcnt(0)
	global_atomic_add_x2 v[2:3], v[5:6], off offset:8
.LBB5_1612:                             ;   in Loop: Header=BB5_1549 Depth=1
	s_or_b32 exec_lo, exec_lo, s15
	s_waitcnt vmcnt(0)
	global_load_dwordx2 v[9:10], v[2:3], off offset:16
	s_waitcnt vmcnt(0)
	v_cmp_eq_u64_e32 vcc_lo, 0, v[9:10]
	s_cbranch_vccnz .LBB5_1614
; %bb.1613:                             ;   in Loop: Header=BB5_1549 Depth=1
	global_load_dword v5, v[2:3], off offset:24
	s_waitcnt vmcnt(0)
	v_and_b32_e32 v2, 0x7fffff, v5
	s_waitcnt_vscnt null, 0x0
	global_store_dwordx2 v[9:10], v[5:6], off
	v_readfirstlane_b32 m0, v2
	s_sendmsg sendmsg(MSG_INTERRUPT)
.LBB5_1614:                             ;   in Loop: Header=BB5_1549 Depth=1
	s_or_b32 exec_lo, exec_lo, s5
	v_add_co_u32 v2, vcc_lo, v27, v39
	v_add_co_ci_u32_e32 v3, vcc_lo, 0, v28, vcc_lo
	s_branch .LBB5_1618
	.p2align	6
.LBB5_1615:                             ;   in Loop: Header=BB5_1618 Depth=2
	s_or_b32 exec_lo, exec_lo, s5
	v_readfirstlane_b32 s5, v4
	s_cmp_eq_u32 s5, 0
	s_cbranch_scc1 .LBB5_1617
; %bb.1616:                             ;   in Loop: Header=BB5_1618 Depth=2
	s_sleep 1
	s_cbranch_execnz .LBB5_1618
	s_branch .LBB5_1620
	.p2align	6
.LBB5_1617:                             ;   in Loop: Header=BB5_1549 Depth=1
	s_branch .LBB5_1620
.LBB5_1618:                             ;   Parent Loop BB5_1549 Depth=1
                                        ; =>  This Inner Loop Header: Depth=2
	v_mov_b32_e32 v4, 1
	s_and_saveexec_b32 s5, s4
	s_cbranch_execz .LBB5_1615
; %bb.1619:                             ;   in Loop: Header=BB5_1618 Depth=2
	global_load_dword v4, v[29:30], off offset:20 glc dlc
	s_waitcnt vmcnt(0)
	buffer_gl1_inv
	buffer_gl0_inv
	v_and_b32_e32 v4, 1, v4
	s_branch .LBB5_1615
.LBB5_1620:                             ;   in Loop: Header=BB5_1549 Depth=1
	global_load_dwordx4 v[2:5], v[2:3], off
	s_and_saveexec_b32 s5, s4
	s_cbranch_execz .LBB5_1548
; %bb.1621:                             ;   in Loop: Header=BB5_1549 Depth=1
	s_clause 0x2
	global_load_dwordx2 v[4:5], v6, s[26:27] offset:40
	global_load_dwordx2 v[13:14], v6, s[26:27] offset:24 glc dlc
	global_load_dwordx2 v[11:12], v6, s[26:27]
	s_waitcnt vmcnt(2)
	v_add_co_u32 v15, vcc_lo, v4, 1
	v_add_co_ci_u32_e32 v16, vcc_lo, 0, v5, vcc_lo
	v_add_co_u32 v9, vcc_lo, v15, s18
	v_add_co_ci_u32_e32 v10, vcc_lo, s19, v16, vcc_lo
	v_cmp_eq_u64_e32 vcc_lo, 0, v[9:10]
	v_cndmask_b32_e32 v10, v10, v16, vcc_lo
	v_cndmask_b32_e32 v9, v9, v15, vcc_lo
	v_and_b32_e32 v5, v10, v5
	v_and_b32_e32 v4, v9, v4
	v_mul_lo_u32 v5, v5, 24
	v_mul_hi_u32 v15, v4, 24
	v_mul_lo_u32 v4, v4, 24
	v_add_nc_u32_e32 v5, v15, v5
	s_waitcnt vmcnt(0)
	v_add_co_u32 v4, vcc_lo, v11, v4
	v_mov_b32_e32 v11, v13
	v_add_co_ci_u32_e32 v5, vcc_lo, v12, v5, vcc_lo
	v_mov_b32_e32 v12, v14
	global_store_dwordx2 v[4:5], v[13:14], off
	s_waitcnt_vscnt null, 0x0
	global_atomic_cmpswap_x2 v[11:12], v6, v[9:12], s[26:27] offset:24 glc
	s_waitcnt vmcnt(0)
	v_cmp_ne_u64_e32 vcc_lo, v[11:12], v[13:14]
	s_and_b32 exec_lo, exec_lo, vcc_lo
	s_cbranch_execz .LBB5_1548
; %bb.1622:                             ;   in Loop: Header=BB5_1549 Depth=1
	s_mov_b32 s4, 0
.LBB5_1623:                             ;   Parent Loop BB5_1549 Depth=1
                                        ; =>  This Inner Loop Header: Depth=2
	s_sleep 1
	global_store_dwordx2 v[4:5], v[11:12], off
	s_waitcnt_vscnt null, 0x0
	global_atomic_cmpswap_x2 v[13:14], v6, v[9:12], s[26:27] offset:24 glc
	s_waitcnt vmcnt(0)
	v_cmp_eq_u64_e32 vcc_lo, v[13:14], v[11:12]
	v_mov_b32_e32 v11, v13
	v_mov_b32_e32 v12, v14
	s_or_b32 s4, vcc_lo, s4
	s_andn2_b32 exec_lo, exec_lo, s4
	s_cbranch_execnz .LBB5_1623
	s_branch .LBB5_1548
.LBB5_1624:
	s_branch .LBB5_1653
.LBB5_1625:
                                        ; implicit-def: $vgpr2_vgpr3
	s_cbranch_execz .LBB5_1653
; %bb.1626:
	v_readfirstlane_b32 s4, v48
	v_mov_b32_e32 v8, 0
	v_mov_b32_e32 v9, 0
	v_cmp_eq_u32_e64 s4, s4, v48
	s_and_saveexec_b32 s5, s4
	s_cbranch_execz .LBB5_1632
; %bb.1627:
	s_waitcnt vmcnt(0)
	v_mov_b32_e32 v2, 0
	s_mov_b32 s6, exec_lo
	global_load_dwordx2 v[5:6], v2, s[26:27] offset:24 glc dlc
	s_waitcnt vmcnt(0)
	buffer_gl1_inv
	buffer_gl0_inv
	s_clause 0x1
	global_load_dwordx2 v[3:4], v2, s[26:27] offset:40
	global_load_dwordx2 v[7:8], v2, s[26:27]
	s_waitcnt vmcnt(1)
	v_and_b32_e32 v4, v4, v6
	v_and_b32_e32 v3, v3, v5
	v_mul_lo_u32 v4, v4, 24
	v_mul_hi_u32 v9, v3, 24
	v_mul_lo_u32 v3, v3, 24
	v_add_nc_u32_e32 v4, v9, v4
	s_waitcnt vmcnt(0)
	v_add_co_u32 v3, vcc_lo, v7, v3
	v_add_co_ci_u32_e32 v4, vcc_lo, v8, v4, vcc_lo
	global_load_dwordx2 v[3:4], v[3:4], off glc dlc
	s_waitcnt vmcnt(0)
	global_atomic_cmpswap_x2 v[8:9], v2, v[3:6], s[26:27] offset:24 glc
	s_waitcnt vmcnt(0)
	buffer_gl1_inv
	buffer_gl0_inv
	v_cmpx_ne_u64_e64 v[8:9], v[5:6]
	s_cbranch_execz .LBB5_1631
; %bb.1628:
	s_mov_b32 s7, 0
	.p2align	6
.LBB5_1629:                             ; =>This Inner Loop Header: Depth=1
	s_sleep 1
	s_clause 0x1
	global_load_dwordx2 v[3:4], v2, s[26:27] offset:40
	global_load_dwordx2 v[10:11], v2, s[26:27]
	v_mov_b32_e32 v5, v8
	v_mov_b32_e32 v6, v9
	s_waitcnt vmcnt(1)
	v_and_b32_e32 v3, v3, v5
	v_and_b32_e32 v4, v4, v6
	s_waitcnt vmcnt(0)
	v_mad_u64_u32 v[7:8], null, v3, 24, v[10:11]
	v_mov_b32_e32 v3, v8
	v_mad_u64_u32 v[3:4], null, v4, 24, v[3:4]
	v_mov_b32_e32 v8, v3
	global_load_dwordx2 v[3:4], v[7:8], off glc dlc
	s_waitcnt vmcnt(0)
	global_atomic_cmpswap_x2 v[8:9], v2, v[3:6], s[26:27] offset:24 glc
	s_waitcnt vmcnt(0)
	buffer_gl1_inv
	buffer_gl0_inv
	v_cmp_eq_u64_e32 vcc_lo, v[8:9], v[5:6]
	s_or_b32 s7, vcc_lo, s7
	s_andn2_b32 exec_lo, exec_lo, s7
	s_cbranch_execnz .LBB5_1629
; %bb.1630:
	s_or_b32 exec_lo, exec_lo, s7
.LBB5_1631:
	s_or_b32 exec_lo, exec_lo, s6
.LBB5_1632:
	s_or_b32 exec_lo, exec_lo, s5
	s_waitcnt vmcnt(0)
	v_mov_b32_e32 v2, 0
	v_readfirstlane_b32 s6, v8
	v_readfirstlane_b32 s7, v9
	s_mov_b32 s5, exec_lo
	s_clause 0x1
	global_load_dwordx2 v[10:11], v2, s[26:27] offset:40
	global_load_dwordx4 v[4:7], v2, s[26:27]
	s_waitcnt vmcnt(1)
	v_readfirstlane_b32 s10, v10
	v_readfirstlane_b32 s11, v11
	s_and_b64 s[10:11], s[6:7], s[10:11]
	s_mul_i32 s15, s11, 24
	s_mul_hi_u32 s16, s10, 24
	s_mul_i32 s17, s10, 24
	s_add_i32 s16, s16, s15
	s_waitcnt vmcnt(0)
	v_add_co_u32 v8, vcc_lo, v4, s17
	v_add_co_ci_u32_e32 v9, vcc_lo, s16, v5, vcc_lo
	s_and_saveexec_b32 s15, s4
	s_cbranch_execz .LBB5_1634
; %bb.1633:
	v_mov_b32_e32 v10, s5
	v_mov_b32_e32 v11, v2
	;; [unrolled: 1-line block ×4, first 2 shown]
	global_store_dwordx4 v[8:9], v[10:13], off offset:8
.LBB5_1634:
	s_or_b32 exec_lo, exec_lo, s15
	s_lshl_b64 s[10:11], s[10:11], 12
	s_mov_b32 s16, 0
	v_add_co_u32 v6, vcc_lo, v6, s10
	v_add_co_ci_u32_e32 v7, vcc_lo, s11, v7, vcc_lo
	s_mov_b32 s17, s16
	v_readfirstlane_b32 s10, v6
	v_add_co_u32 v6, vcc_lo, v6, v39
	s_mov_b32 s18, s16
	s_mov_b32 s19, s16
	v_and_or_b32 v0, 0xffffff1f, v0, 32
	v_mov_b32_e32 v3, v2
	v_readfirstlane_b32 s11, v7
	v_mov_b32_e32 v10, s16
	v_add_co_ci_u32_e32 v7, vcc_lo, 0, v7, vcc_lo
	v_mov_b32_e32 v11, s17
	v_mov_b32_e32 v12, s18
	v_mov_b32_e32 v13, s19
	global_store_dwordx4 v39, v[0:3], s[10:11]
	global_store_dwordx4 v39, v[10:13], s[10:11] offset:16
	global_store_dwordx4 v39, v[10:13], s[10:11] offset:32
	;; [unrolled: 1-line block ×3, first 2 shown]
	s_and_saveexec_b32 s5, s4
	s_cbranch_execz .LBB5_1642
; %bb.1635:
	v_mov_b32_e32 v10, 0
	v_mov_b32_e32 v11, s6
	;; [unrolled: 1-line block ×3, first 2 shown]
	s_clause 0x1
	global_load_dwordx2 v[13:14], v10, s[26:27] offset:32 glc dlc
	global_load_dwordx2 v[0:1], v10, s[26:27] offset:40
	s_waitcnt vmcnt(0)
	v_readfirstlane_b32 s10, v0
	v_readfirstlane_b32 s11, v1
	s_and_b64 s[10:11], s[10:11], s[6:7]
	s_mul_i32 s11, s11, 24
	s_mul_hi_u32 s15, s10, 24
	s_mul_i32 s10, s10, 24
	s_add_i32 s15, s15, s11
	v_add_co_u32 v4, vcc_lo, v4, s10
	v_add_co_ci_u32_e32 v5, vcc_lo, s15, v5, vcc_lo
	s_mov_b32 s10, exec_lo
	global_store_dwordx2 v[4:5], v[13:14], off
	s_waitcnt_vscnt null, 0x0
	global_atomic_cmpswap_x2 v[2:3], v10, v[11:14], s[26:27] offset:32 glc
	s_waitcnt vmcnt(0)
	v_cmpx_ne_u64_e64 v[2:3], v[13:14]
	s_cbranch_execz .LBB5_1638
; %bb.1636:
	s_mov_b32 s11, 0
.LBB5_1637:                             ; =>This Inner Loop Header: Depth=1
	v_mov_b32_e32 v0, s6
	v_mov_b32_e32 v1, s7
	s_sleep 1
	global_store_dwordx2 v[4:5], v[2:3], off
	s_waitcnt_vscnt null, 0x0
	global_atomic_cmpswap_x2 v[0:1], v10, v[0:3], s[26:27] offset:32 glc
	s_waitcnt vmcnt(0)
	v_cmp_eq_u64_e32 vcc_lo, v[0:1], v[2:3]
	v_mov_b32_e32 v3, v1
	v_mov_b32_e32 v2, v0
	s_or_b32 s11, vcc_lo, s11
	s_andn2_b32 exec_lo, exec_lo, s11
	s_cbranch_execnz .LBB5_1637
.LBB5_1638:
	s_or_b32 exec_lo, exec_lo, s10
	v_mov_b32_e32 v3, 0
	s_mov_b32 s11, exec_lo
	s_mov_b32 s10, exec_lo
	v_mbcnt_lo_u32_b32 v2, s11, 0
	global_load_dwordx2 v[0:1], v3, s[26:27] offset:16
	v_cmpx_eq_u32_e32 0, v2
	s_cbranch_execz .LBB5_1640
; %bb.1639:
	s_bcnt1_i32_b32 s11, s11
	v_mov_b32_e32 v2, s11
	s_waitcnt vmcnt(0)
	global_atomic_add_x2 v[0:1], v[2:3], off offset:8
.LBB5_1640:
	s_or_b32 exec_lo, exec_lo, s10
	s_waitcnt vmcnt(0)
	global_load_dwordx2 v[2:3], v[0:1], off offset:16
	s_waitcnt vmcnt(0)
	v_cmp_eq_u64_e32 vcc_lo, 0, v[2:3]
	s_cbranch_vccnz .LBB5_1642
; %bb.1641:
	global_load_dword v0, v[0:1], off offset:24
	v_mov_b32_e32 v1, 0
	s_waitcnt vmcnt(0)
	v_and_b32_e32 v4, 0x7fffff, v0
	s_waitcnt_vscnt null, 0x0
	global_store_dwordx2 v[2:3], v[0:1], off
	v_readfirstlane_b32 m0, v4
	s_sendmsg sendmsg(MSG_INTERRUPT)
.LBB5_1642:
	s_or_b32 exec_lo, exec_lo, s5
	s_branch .LBB5_1646
	.p2align	6
.LBB5_1643:                             ;   in Loop: Header=BB5_1646 Depth=1
	s_or_b32 exec_lo, exec_lo, s5
	v_readfirstlane_b32 s5, v0
	s_cmp_eq_u32 s5, 0
	s_cbranch_scc1 .LBB5_1645
; %bb.1644:                             ;   in Loop: Header=BB5_1646 Depth=1
	s_sleep 1
	s_cbranch_execnz .LBB5_1646
	s_branch .LBB5_1648
	.p2align	6
.LBB5_1645:
	s_branch .LBB5_1648
.LBB5_1646:                             ; =>This Inner Loop Header: Depth=1
	v_mov_b32_e32 v0, 1
	s_and_saveexec_b32 s5, s4
	s_cbranch_execz .LBB5_1643
; %bb.1647:                             ;   in Loop: Header=BB5_1646 Depth=1
	global_load_dword v0, v[8:9], off offset:20 glc dlc
	s_waitcnt vmcnt(0)
	buffer_gl1_inv
	buffer_gl0_inv
	v_and_b32_e32 v0, 1, v0
	s_branch .LBB5_1643
.LBB5_1648:
	global_load_dwordx2 v[2:3], v[6:7], off
	s_and_saveexec_b32 s5, s4
	s_cbranch_execz .LBB5_1652
; %bb.1649:
	v_mov_b32_e32 v8, 0
	s_clause 0x2
	global_load_dwordx2 v[0:1], v8, s[26:27] offset:40
	global_load_dwordx2 v[9:10], v8, s[26:27] offset:24 glc dlc
	global_load_dwordx2 v[6:7], v8, s[26:27]
	s_waitcnt vmcnt(2)
	v_add_co_u32 v11, vcc_lo, v0, 1
	v_add_co_ci_u32_e32 v12, vcc_lo, 0, v1, vcc_lo
	v_add_co_u32 v4, vcc_lo, v11, s6
	v_add_co_ci_u32_e32 v5, vcc_lo, s7, v12, vcc_lo
	v_cmp_eq_u64_e32 vcc_lo, 0, v[4:5]
	v_cndmask_b32_e32 v5, v5, v12, vcc_lo
	v_cndmask_b32_e32 v4, v4, v11, vcc_lo
	v_and_b32_e32 v1, v5, v1
	v_and_b32_e32 v0, v4, v0
	v_mul_lo_u32 v1, v1, 24
	v_mul_hi_u32 v11, v0, 24
	v_mul_lo_u32 v0, v0, 24
	v_add_nc_u32_e32 v1, v11, v1
	s_waitcnt vmcnt(0)
	v_add_co_u32 v0, vcc_lo, v6, v0
	v_mov_b32_e32 v6, v9
	v_add_co_ci_u32_e32 v1, vcc_lo, v7, v1, vcc_lo
	v_mov_b32_e32 v7, v10
	global_store_dwordx2 v[0:1], v[9:10], off
	s_waitcnt_vscnt null, 0x0
	global_atomic_cmpswap_x2 v[6:7], v8, v[4:7], s[26:27] offset:24 glc
	s_waitcnt vmcnt(0)
	v_cmp_ne_u64_e32 vcc_lo, v[6:7], v[9:10]
	s_and_b32 exec_lo, exec_lo, vcc_lo
	s_cbranch_execz .LBB5_1652
; %bb.1650:
	s_mov_b32 s4, 0
.LBB5_1651:                             ; =>This Inner Loop Header: Depth=1
	s_sleep 1
	global_store_dwordx2 v[0:1], v[6:7], off
	s_waitcnt_vscnt null, 0x0
	global_atomic_cmpswap_x2 v[9:10], v8, v[4:7], s[26:27] offset:24 glc
	s_waitcnt vmcnt(0)
	v_cmp_eq_u64_e32 vcc_lo, v[9:10], v[6:7]
	v_mov_b32_e32 v6, v9
	v_mov_b32_e32 v7, v10
	s_or_b32 s4, vcc_lo, s4
	s_andn2_b32 exec_lo, exec_lo, s4
	s_cbranch_execnz .LBB5_1651
.LBB5_1652:
	s_or_b32 exec_lo, exec_lo, s5
.LBB5_1653:
	v_readfirstlane_b32 s4, v48
	s_waitcnt vmcnt(0)
	v_mov_b32_e32 v0, 0
	v_mov_b32_e32 v1, 0
	v_cmp_eq_u32_e64 s4, s4, v48
	s_and_saveexec_b32 s5, s4
	s_cbranch_execz .LBB5_1659
; %bb.1654:
	v_mov_b32_e32 v4, 0
	s_mov_b32 s6, exec_lo
	global_load_dwordx2 v[7:8], v4, s[26:27] offset:24 glc dlc
	s_waitcnt vmcnt(0)
	buffer_gl1_inv
	buffer_gl0_inv
	s_clause 0x1
	global_load_dwordx2 v[0:1], v4, s[26:27] offset:40
	global_load_dwordx2 v[5:6], v4, s[26:27]
	s_waitcnt vmcnt(1)
	v_and_b32_e32 v1, v1, v8
	v_and_b32_e32 v0, v0, v7
	v_mul_lo_u32 v1, v1, 24
	v_mul_hi_u32 v9, v0, 24
	v_mul_lo_u32 v0, v0, 24
	v_add_nc_u32_e32 v1, v9, v1
	s_waitcnt vmcnt(0)
	v_add_co_u32 v0, vcc_lo, v5, v0
	v_add_co_ci_u32_e32 v1, vcc_lo, v6, v1, vcc_lo
	global_load_dwordx2 v[5:6], v[0:1], off glc dlc
	s_waitcnt vmcnt(0)
	global_atomic_cmpswap_x2 v[0:1], v4, v[5:8], s[26:27] offset:24 glc
	s_waitcnt vmcnt(0)
	buffer_gl1_inv
	buffer_gl0_inv
	v_cmpx_ne_u64_e64 v[0:1], v[7:8]
	s_cbranch_execz .LBB5_1658
; %bb.1655:
	s_mov_b32 s7, 0
	.p2align	6
.LBB5_1656:                             ; =>This Inner Loop Header: Depth=1
	s_sleep 1
	s_clause 0x1
	global_load_dwordx2 v[5:6], v4, s[26:27] offset:40
	global_load_dwordx2 v[9:10], v4, s[26:27]
	v_mov_b32_e32 v8, v1
	v_mov_b32_e32 v7, v0
	s_waitcnt vmcnt(1)
	v_and_b32_e32 v0, v5, v7
	v_and_b32_e32 v5, v6, v8
	s_waitcnt vmcnt(0)
	v_mad_u64_u32 v[0:1], null, v0, 24, v[9:10]
	v_mad_u64_u32 v[5:6], null, v5, 24, v[1:2]
	v_mov_b32_e32 v1, v5
	global_load_dwordx2 v[5:6], v[0:1], off glc dlc
	s_waitcnt vmcnt(0)
	global_atomic_cmpswap_x2 v[0:1], v4, v[5:8], s[26:27] offset:24 glc
	s_waitcnt vmcnt(0)
	buffer_gl1_inv
	buffer_gl0_inv
	v_cmp_eq_u64_e32 vcc_lo, v[0:1], v[7:8]
	s_or_b32 s7, vcc_lo, s7
	s_andn2_b32 exec_lo, exec_lo, s7
	s_cbranch_execnz .LBB5_1656
; %bb.1657:
	s_or_b32 exec_lo, exec_lo, s7
.LBB5_1658:
	s_or_b32 exec_lo, exec_lo, s6
.LBB5_1659:
	s_or_b32 exec_lo, exec_lo, s5
	v_mov_b32_e32 v5, 0
	v_readfirstlane_b32 s6, v0
	v_readfirstlane_b32 s7, v1
	s_mov_b32 s5, exec_lo
	s_clause 0x1
	global_load_dwordx2 v[10:11], v5, s[26:27] offset:40
	global_load_dwordx4 v[6:9], v5, s[26:27]
	s_waitcnt vmcnt(1)
	v_readfirstlane_b32 s10, v10
	v_readfirstlane_b32 s11, v11
	s_and_b64 s[10:11], s[6:7], s[10:11]
	s_mul_i32 s15, s11, 24
	s_mul_hi_u32 s16, s10, 24
	s_mul_i32 s17, s10, 24
	s_add_i32 s16, s16, s15
	s_waitcnt vmcnt(0)
	v_add_co_u32 v10, vcc_lo, v6, s17
	v_add_co_ci_u32_e32 v11, vcc_lo, s16, v7, vcc_lo
	s_and_saveexec_b32 s15, s4
	s_cbranch_execz .LBB5_1661
; %bb.1660:
	v_mov_b32_e32 v4, s5
	v_mov_b32_e32 v13, v5
	;; [unrolled: 1-line block ×5, first 2 shown]
	global_store_dwordx4 v[10:11], v[12:15], off offset:8
.LBB5_1661:
	s_or_b32 exec_lo, exec_lo, s15
	s_lshl_b64 s[10:11], s[10:11], 12
	s_mov_b32 s16, 0
	v_add_co_u32 v0, vcc_lo, v8, s10
	v_add_co_ci_u32_e32 v1, vcc_lo, s11, v9, vcc_lo
	s_mov_b32 s17, s16
	s_mov_b32 s18, s16
	;; [unrolled: 1-line block ×3, first 2 shown]
	v_and_or_b32 v2, 0xffffff1d, v2, 34
	v_mov_b32_e32 v4, 10
	v_readfirstlane_b32 s10, v0
	v_readfirstlane_b32 s11, v1
	v_mov_b32_e32 v12, s16
	v_mov_b32_e32 v13, s17
	v_mov_b32_e32 v14, s18
	v_mov_b32_e32 v15, s19
	global_store_dwordx4 v39, v[2:5], s[10:11]
	global_store_dwordx4 v39, v[12:15], s[10:11] offset:16
	global_store_dwordx4 v39, v[12:15], s[10:11] offset:32
	;; [unrolled: 1-line block ×3, first 2 shown]
	s_and_saveexec_b32 s5, s4
	s_cbranch_execz .LBB5_1669
; %bb.1662:
	v_mov_b32_e32 v8, 0
	v_mov_b32_e32 v12, s6
	;; [unrolled: 1-line block ×3, first 2 shown]
	s_clause 0x1
	global_load_dwordx2 v[14:15], v8, s[26:27] offset:32 glc dlc
	global_load_dwordx2 v[0:1], v8, s[26:27] offset:40
	s_waitcnt vmcnt(0)
	v_readfirstlane_b32 s10, v0
	v_readfirstlane_b32 s11, v1
	s_and_b64 s[10:11], s[10:11], s[6:7]
	s_mul_i32 s11, s11, 24
	s_mul_hi_u32 s15, s10, 24
	s_mul_i32 s10, s10, 24
	s_add_i32 s15, s15, s11
	v_add_co_u32 v4, vcc_lo, v6, s10
	v_add_co_ci_u32_e32 v5, vcc_lo, s15, v7, vcc_lo
	s_mov_b32 s10, exec_lo
	global_store_dwordx2 v[4:5], v[14:15], off
	s_waitcnt_vscnt null, 0x0
	global_atomic_cmpswap_x2 v[2:3], v8, v[12:15], s[26:27] offset:32 glc
	s_waitcnt vmcnt(0)
	v_cmpx_ne_u64_e64 v[2:3], v[14:15]
	s_cbranch_execz .LBB5_1665
; %bb.1663:
	s_mov_b32 s11, 0
.LBB5_1664:                             ; =>This Inner Loop Header: Depth=1
	v_mov_b32_e32 v0, s6
	v_mov_b32_e32 v1, s7
	s_sleep 1
	global_store_dwordx2 v[4:5], v[2:3], off
	s_waitcnt_vscnt null, 0x0
	global_atomic_cmpswap_x2 v[0:1], v8, v[0:3], s[26:27] offset:32 glc
	s_waitcnt vmcnt(0)
	v_cmp_eq_u64_e32 vcc_lo, v[0:1], v[2:3]
	v_mov_b32_e32 v3, v1
	v_mov_b32_e32 v2, v0
	s_or_b32 s11, vcc_lo, s11
	s_andn2_b32 exec_lo, exec_lo, s11
	s_cbranch_execnz .LBB5_1664
.LBB5_1665:
	s_or_b32 exec_lo, exec_lo, s10
	v_mov_b32_e32 v3, 0
	s_mov_b32 s11, exec_lo
	s_mov_b32 s10, exec_lo
	v_mbcnt_lo_u32_b32 v2, s11, 0
	global_load_dwordx2 v[0:1], v3, s[26:27] offset:16
	v_cmpx_eq_u32_e32 0, v2
	s_cbranch_execz .LBB5_1667
; %bb.1666:
	s_bcnt1_i32_b32 s11, s11
	v_mov_b32_e32 v2, s11
	s_waitcnt vmcnt(0)
	global_atomic_add_x2 v[0:1], v[2:3], off offset:8
.LBB5_1667:
	s_or_b32 exec_lo, exec_lo, s10
	s_waitcnt vmcnt(0)
	global_load_dwordx2 v[2:3], v[0:1], off offset:16
	s_waitcnt vmcnt(0)
	v_cmp_eq_u64_e32 vcc_lo, 0, v[2:3]
	s_cbranch_vccnz .LBB5_1669
; %bb.1668:
	global_load_dword v0, v[0:1], off offset:24
	v_mov_b32_e32 v1, 0
	s_waitcnt vmcnt(0)
	v_and_b32_e32 v4, 0x7fffff, v0
	s_waitcnt_vscnt null, 0x0
	global_store_dwordx2 v[2:3], v[0:1], off
	v_readfirstlane_b32 m0, v4
	s_sendmsg sendmsg(MSG_INTERRUPT)
.LBB5_1669:
	s_or_b32 exec_lo, exec_lo, s5
	s_branch .LBB5_1673
	.p2align	6
.LBB5_1670:                             ;   in Loop: Header=BB5_1673 Depth=1
	s_or_b32 exec_lo, exec_lo, s5
	v_readfirstlane_b32 s5, v0
	s_cmp_eq_u32 s5, 0
	s_cbranch_scc1 .LBB5_1672
; %bb.1671:                             ;   in Loop: Header=BB5_1673 Depth=1
	s_sleep 1
	s_cbranch_execnz .LBB5_1673
	s_branch .LBB5_1675
	.p2align	6
.LBB5_1672:
	s_branch .LBB5_1675
.LBB5_1673:                             ; =>This Inner Loop Header: Depth=1
	v_mov_b32_e32 v0, 1
	s_and_saveexec_b32 s5, s4
	s_cbranch_execz .LBB5_1670
; %bb.1674:                             ;   in Loop: Header=BB5_1673 Depth=1
	global_load_dword v0, v[10:11], off offset:20 glc dlc
	s_waitcnt vmcnt(0)
	buffer_gl1_inv
	buffer_gl0_inv
	v_and_b32_e32 v0, 1, v0
	s_branch .LBB5_1670
.LBB5_1675:
	s_and_saveexec_b32 s5, s4
	s_cbranch_execz .LBB5_1679
; %bb.1676:
	v_mov_b32_e32 v6, 0
	s_clause 0x2
	global_load_dwordx2 v[2:3], v6, s[26:27] offset:40
	global_load_dwordx2 v[7:8], v6, s[26:27] offset:24 glc dlc
	global_load_dwordx2 v[4:5], v6, s[26:27]
	s_waitcnt vmcnt(2)
	v_add_co_u32 v9, vcc_lo, v2, 1
	v_add_co_ci_u32_e32 v10, vcc_lo, 0, v3, vcc_lo
	v_add_co_u32 v0, vcc_lo, v9, s6
	v_add_co_ci_u32_e32 v1, vcc_lo, s7, v10, vcc_lo
	v_cmp_eq_u64_e32 vcc_lo, 0, v[0:1]
	v_cndmask_b32_e32 v1, v1, v10, vcc_lo
	v_cndmask_b32_e32 v0, v0, v9, vcc_lo
	v_and_b32_e32 v3, v1, v3
	v_and_b32_e32 v2, v0, v2
	v_mul_lo_u32 v3, v3, 24
	v_mul_hi_u32 v9, v2, 24
	v_mul_lo_u32 v2, v2, 24
	v_add_nc_u32_e32 v3, v9, v3
	s_waitcnt vmcnt(0)
	v_add_co_u32 v4, vcc_lo, v4, v2
	v_mov_b32_e32 v2, v7
	v_add_co_ci_u32_e32 v5, vcc_lo, v5, v3, vcc_lo
	v_mov_b32_e32 v3, v8
	global_store_dwordx2 v[4:5], v[7:8], off
	s_waitcnt_vscnt null, 0x0
	global_atomic_cmpswap_x2 v[2:3], v6, v[0:3], s[26:27] offset:24 glc
	s_waitcnt vmcnt(0)
	v_cmp_ne_u64_e32 vcc_lo, v[2:3], v[7:8]
	s_and_b32 exec_lo, exec_lo, vcc_lo
	s_cbranch_execz .LBB5_1679
; %bb.1677:
	s_mov_b32 s4, 0
.LBB5_1678:                             ; =>This Inner Loop Header: Depth=1
	s_sleep 1
	global_store_dwordx2 v[4:5], v[2:3], off
	s_waitcnt_vscnt null, 0x0
	global_atomic_cmpswap_x2 v[7:8], v6, v[0:3], s[26:27] offset:24 glc
	s_waitcnt vmcnt(0)
	v_cmp_eq_u64_e32 vcc_lo, v[7:8], v[2:3]
	v_mov_b32_e32 v2, v7
	v_mov_b32_e32 v3, v8
	s_or_b32 s4, vcc_lo, s4
	s_andn2_b32 exec_lo, exec_lo, s4
	s_cbranch_execnz .LBB5_1678
.LBB5_1679:
	s_or_b32 exec_lo, exec_lo, s5
	flat_load_dwordx2 v[0:1], v[36:37]
	s_waitcnt vmcnt(0) lgkmcnt(0)
	flat_load_dword v2, v[0:1]
	s_waitcnt vmcnt(0) lgkmcnt(0)
	v_add_nc_u32_e32 v2, 1, v2
	flat_store_dword v[0:1], v2
.LBB5_1680:
	s_or_b32 exec_lo, exec_lo, s29
	s_getpc_b64 s[4:5]
	s_add_u32 s4, s4, _ZN8migraphx4test4failEv@rel32@lo+4
	s_addc_u32 s5, s5, _ZN8migraphx4test4failEv@rel32@hi+12
	s_swappc_b64 s[30:31], s[4:5]
	; divergent unreachable
.LBB5_1681:
	s_andn2_saveexec_b32 s4, s28
	s_or_b32 exec_lo, exec_lo, s4
	v_readlane_b32 s30, v40, 0
	v_readlane_b32 s31, v40, 1
	;; [unrolled: 1-line block ×3, first 2 shown]
	s_or_saveexec_b32 s5, -1
	buffer_load_dword v40, off, s[0:3], s33 offset:20 ; 4-byte Folded Reload
	s_mov_b32 exec_lo, s5
	s_addk_i32 s32, 0xfc00
	s_mov_b32 s33, s4
	s_waitcnt vmcnt(0)
	s_setpc_b64 s[30:31]
.Lfunc_end5:
	.size	_ZL23upper_bound_all_smallerRN8migraphx4test12test_managerE, .Lfunc_end5-_ZL23upper_bound_all_smallerRN8migraphx4test12test_managerE
                                        ; -- End function
	.section	.AMDGPU.csdata,"",@progbits
; Function info:
; codeLenInByte = 60752
; NumSgprs: 46
; NumVgprs: 49
; ScratchSize: 32
; MemoryBound: 0
	.text
	.p2align	2                               ; -- Begin function _ZL22upper_bound_all_largerRN8migraphx4test12test_managerE
	.type	_ZL22upper_bound_all_largerRN8migraphx4test12test_managerE,@function
_ZL22upper_bound_all_largerRN8migraphx4test12test_managerE: ; @_ZL22upper_bound_all_largerRN8migraphx4test12test_managerE
; %bb.0:
	s_waitcnt vmcnt(0) expcnt(0) lgkmcnt(0)
	s_mov_b32 s4, s33
	s_mov_b32 s33, s32
	s_or_saveexec_b32 s5, -1
	buffer_store_dword v40, off, s[0:3], s33 offset:20 ; 4-byte Folded Spill
	s_mov_b32 exec_lo, s5
	v_writelane_b32 v40, s4, 2
	v_writelane_b32 v40, s30, 0
	s_addk_i32 s32, 0x400
	v_writelane_b32 v40, s31, 1
	v_mov_b32_e32 v36, v0
	v_mov_b32_e32 v0, 1
	;; [unrolled: 1-line block ×5, first 2 shown]
	buffer_store_dword v0, off, s[0:3], s33
	buffer_store_dword v1, off, s[0:3], s33 offset:4
	v_mov_b32_e32 v0, 5
	v_mov_b32_e32 v4, 5
	;; [unrolled: 1-line block ×3, first 2 shown]
	v_lshrrev_b32_e64 v38, 5, s33
	v_mov_b32_e32 v3, 4
	s_mov_b32 s5, 0
	buffer_store_dword v2, off, s[0:3], s33 offset:8
	buffer_store_dword v3, off, s[0:3], s33 offset:12
	;; [unrolled: 1-line block ×3, first 2 shown]
	.p2align	6
.LBB6_1:                                ; =>This Inner Loop Header: Depth=1
	v_alignbit_b32 v2, v1, v0, 1
	v_lshl_add_u32 v4, v2, 2, v38
	v_lshrrev_b64 v[2:3], 1, v[0:1]
	buffer_load_dword v5, v4, s[0:3], 0 offen
	v_not_b32_e32 v6, v2
	v_not_b32_e32 v7, v3
	v_add_co_u32 v0, vcc_lo, v0, v6
	v_add_co_ci_u32_e32 v1, vcc_lo, v1, v7, vcc_lo
	s_waitcnt vmcnt(0)
	v_cmp_lt_i32_e32 vcc_lo, 10, v5
	v_cndmask_b32_e32 v1, v1, v3, vcc_lo
	v_cndmask_b32_e32 v0, v0, v2, vcc_lo
	v_add_nc_u32_e32 v2, 4, v4
	v_cmp_gt_i64_e64 s4, 1, v[0:1]
	v_cndmask_b32_e32 v38, v2, v38, vcc_lo
	s_or_b32 s5, s4, s5
	s_andn2_b32 exec_lo, exec_lo, s5
	s_cbranch_execnz .LBB6_1
; %bb.2:
	s_or_b32 exec_lo, exec_lo, s5
	v_lshrrev_b32_e64 v0, 5, s33
	s_mov_b32 s4, exec_lo
	v_add_nc_u32_e32 v39, 20, v0
	v_cmpx_ne_u32_e64 v39, v38
	s_xor_b32 s28, exec_lo, s4
	s_cbranch_execz .LBB6_1681
; %bb.3:
	v_and_b32_e32 v0, 0x3ff, v31
	s_mov_b32 s29, exec_lo
	v_cmpx_eq_u32_e32 0, v0
	s_cbranch_execz .LBB6_1680
; %bb.4:
	s_load_dwordx2 s[26:27], s[8:9], 0x50
	v_mbcnt_lo_u32_b32 v49, -1, 0
	v_mov_b32_e32 v6, 0
	v_mov_b32_e32 v7, 0
	v_readfirstlane_b32 s4, v49
	v_cmp_eq_u32_e64 s4, s4, v49
	s_and_saveexec_b32 s5, s4
	s_cbranch_execz .LBB6_10
; %bb.5:
	v_mov_b32_e32 v0, 0
	s_mov_b32 s6, exec_lo
	s_waitcnt lgkmcnt(0)
	global_load_dwordx2 v[3:4], v0, s[26:27] offset:24 glc dlc
	s_waitcnt vmcnt(0)
	buffer_gl1_inv
	buffer_gl0_inv
	s_clause 0x1
	global_load_dwordx2 v[1:2], v0, s[26:27] offset:40
	global_load_dwordx2 v[5:6], v0, s[26:27]
	s_waitcnt vmcnt(1)
	v_and_b32_e32 v2, v2, v4
	v_and_b32_e32 v1, v1, v3
	v_mul_lo_u32 v2, v2, 24
	v_mul_hi_u32 v7, v1, 24
	v_mul_lo_u32 v1, v1, 24
	v_add_nc_u32_e32 v2, v7, v2
	s_waitcnt vmcnt(0)
	v_add_co_u32 v1, vcc_lo, v5, v1
	v_add_co_ci_u32_e32 v2, vcc_lo, v6, v2, vcc_lo
	global_load_dwordx2 v[1:2], v[1:2], off glc dlc
	s_waitcnt vmcnt(0)
	global_atomic_cmpswap_x2 v[6:7], v0, v[1:4], s[26:27] offset:24 glc
	s_waitcnt vmcnt(0)
	buffer_gl1_inv
	buffer_gl0_inv
	v_cmpx_ne_u64_e64 v[6:7], v[3:4]
	s_cbranch_execz .LBB6_9
; %bb.6:
	s_mov_b32 s7, 0
	.p2align	6
.LBB6_7:                                ; =>This Inner Loop Header: Depth=1
	s_sleep 1
	s_clause 0x1
	global_load_dwordx2 v[1:2], v0, s[26:27] offset:40
	global_load_dwordx2 v[8:9], v0, s[26:27]
	v_mov_b32_e32 v3, v6
	v_mov_b32_e32 v4, v7
	s_waitcnt vmcnt(1)
	v_and_b32_e32 v1, v1, v3
	v_and_b32_e32 v2, v2, v4
	s_waitcnt vmcnt(0)
	v_mad_u64_u32 v[5:6], null, v1, 24, v[8:9]
	v_mov_b32_e32 v1, v6
	v_mad_u64_u32 v[1:2], null, v2, 24, v[1:2]
	v_mov_b32_e32 v6, v1
	global_load_dwordx2 v[1:2], v[5:6], off glc dlc
	s_waitcnt vmcnt(0)
	global_atomic_cmpswap_x2 v[6:7], v0, v[1:4], s[26:27] offset:24 glc
	s_waitcnt vmcnt(0)
	buffer_gl1_inv
	buffer_gl0_inv
	v_cmp_eq_u64_e32 vcc_lo, v[6:7], v[3:4]
	s_or_b32 s7, vcc_lo, s7
	s_andn2_b32 exec_lo, exec_lo, s7
	s_cbranch_execnz .LBB6_7
; %bb.8:
	s_or_b32 exec_lo, exec_lo, s7
.LBB6_9:
	s_or_b32 exec_lo, exec_lo, s6
.LBB6_10:
	s_or_b32 exec_lo, exec_lo, s5
	v_mov_b32_e32 v5, 0
	v_readfirstlane_b32 s6, v6
	v_readfirstlane_b32 s7, v7
	s_mov_b32 s5, exec_lo
	s_waitcnt lgkmcnt(0)
	s_clause 0x1
	global_load_dwordx2 v[8:9], v5, s[26:27] offset:40
	global_load_dwordx4 v[0:3], v5, s[26:27]
	s_waitcnt vmcnt(1)
	v_readfirstlane_b32 s10, v8
	v_readfirstlane_b32 s11, v9
	s_and_b64 s[10:11], s[6:7], s[10:11]
	s_mul_i32 s15, s11, 24
	s_mul_hi_u32 s16, s10, 24
	s_mul_i32 s17, s10, 24
	s_add_i32 s16, s16, s15
	s_waitcnt vmcnt(0)
	v_add_co_u32 v8, vcc_lo, v0, s17
	v_add_co_ci_u32_e32 v9, vcc_lo, s16, v1, vcc_lo
	s_and_saveexec_b32 s15, s4
	s_cbranch_execz .LBB6_12
; %bb.11:
	v_mov_b32_e32 v4, s5
	v_mov_b32_e32 v6, 2
	;; [unrolled: 1-line block ×3, first 2 shown]
	global_store_dwordx4 v[8:9], v[4:7], off offset:8
.LBB6_12:
	s_or_b32 exec_lo, exec_lo, s15
	s_lshl_b64 s[10:11], s[10:11], 12
	v_lshlrev_b32_e32 v48, 6, v49
	v_add_co_u32 v2, vcc_lo, v2, s10
	v_add_co_ci_u32_e32 v3, vcc_lo, s11, v3, vcc_lo
	s_mov_b32 s16, 0
	v_add_co_u32 v10, vcc_lo, v2, v48
	s_mov_b32 s17, s16
	s_mov_b32 s18, s16
	;; [unrolled: 1-line block ×3, first 2 shown]
	v_mov_b32_e32 v4, 33
	v_mov_b32_e32 v6, v5
	;; [unrolled: 1-line block ×3, first 2 shown]
	v_readfirstlane_b32 s10, v2
	v_readfirstlane_b32 s11, v3
	v_mov_b32_e32 v12, s16
	v_add_co_ci_u32_e32 v11, vcc_lo, 0, v3, vcc_lo
	v_mov_b32_e32 v13, s17
	v_mov_b32_e32 v14, s18
	;; [unrolled: 1-line block ×3, first 2 shown]
	global_store_dwordx4 v48, v[4:7], s[10:11]
	global_store_dwordx4 v48, v[12:15], s[10:11] offset:16
	global_store_dwordx4 v48, v[12:15], s[10:11] offset:32
	global_store_dwordx4 v48, v[12:15], s[10:11] offset:48
	s_and_saveexec_b32 s5, s4
	s_cbranch_execz .LBB6_20
; %bb.13:
	v_mov_b32_e32 v6, 0
	v_mov_b32_e32 v12, s6
	;; [unrolled: 1-line block ×3, first 2 shown]
	s_mov_b32 s10, exec_lo
	s_clause 0x1
	global_load_dwordx2 v[14:15], v6, s[26:27] offset:32 glc dlc
	global_load_dwordx2 v[2:3], v6, s[26:27] offset:40
	s_waitcnt vmcnt(0)
	v_and_b32_e32 v3, s7, v3
	v_and_b32_e32 v2, s6, v2
	v_mul_lo_u32 v3, v3, 24
	v_mul_hi_u32 v4, v2, 24
	v_mul_lo_u32 v2, v2, 24
	v_add_nc_u32_e32 v3, v4, v3
	v_add_co_u32 v4, vcc_lo, v0, v2
	v_add_co_ci_u32_e32 v5, vcc_lo, v1, v3, vcc_lo
	global_store_dwordx2 v[4:5], v[14:15], off
	s_waitcnt_vscnt null, 0x0
	global_atomic_cmpswap_x2 v[2:3], v6, v[12:15], s[26:27] offset:32 glc
	s_waitcnt vmcnt(0)
	v_cmpx_ne_u64_e64 v[2:3], v[14:15]
	s_cbranch_execz .LBB6_16
; %bb.14:
	s_mov_b32 s11, 0
.LBB6_15:                               ; =>This Inner Loop Header: Depth=1
	v_mov_b32_e32 v0, s6
	v_mov_b32_e32 v1, s7
	s_sleep 1
	global_store_dwordx2 v[4:5], v[2:3], off
	s_waitcnt_vscnt null, 0x0
	global_atomic_cmpswap_x2 v[0:1], v6, v[0:3], s[26:27] offset:32 glc
	s_waitcnt vmcnt(0)
	v_cmp_eq_u64_e32 vcc_lo, v[0:1], v[2:3]
	v_mov_b32_e32 v3, v1
	v_mov_b32_e32 v2, v0
	s_or_b32 s11, vcc_lo, s11
	s_andn2_b32 exec_lo, exec_lo, s11
	s_cbranch_execnz .LBB6_15
.LBB6_16:
	s_or_b32 exec_lo, exec_lo, s10
	v_mov_b32_e32 v3, 0
	s_mov_b32 s11, exec_lo
	s_mov_b32 s10, exec_lo
	v_mbcnt_lo_u32_b32 v2, s11, 0
	global_load_dwordx2 v[0:1], v3, s[26:27] offset:16
	v_cmpx_eq_u32_e32 0, v2
	s_cbranch_execz .LBB6_18
; %bb.17:
	s_bcnt1_i32_b32 s11, s11
	v_mov_b32_e32 v2, s11
	s_waitcnt vmcnt(0)
	global_atomic_add_x2 v[0:1], v[2:3], off offset:8
.LBB6_18:
	s_or_b32 exec_lo, exec_lo, s10
	s_waitcnt vmcnt(0)
	global_load_dwordx2 v[2:3], v[0:1], off offset:16
	s_waitcnt vmcnt(0)
	v_cmp_eq_u64_e32 vcc_lo, 0, v[2:3]
	s_cbranch_vccnz .LBB6_20
; %bb.19:
	global_load_dword v0, v[0:1], off offset:24
	v_mov_b32_e32 v1, 0
	s_waitcnt vmcnt(0)
	v_and_b32_e32 v4, 0x7fffff, v0
	s_waitcnt_vscnt null, 0x0
	global_store_dwordx2 v[2:3], v[0:1], off
	v_readfirstlane_b32 m0, v4
	s_sendmsg sendmsg(MSG_INTERRUPT)
.LBB6_20:
	s_or_b32 exec_lo, exec_lo, s5
	s_branch .LBB6_24
	.p2align	6
.LBB6_21:                               ;   in Loop: Header=BB6_24 Depth=1
	s_or_b32 exec_lo, exec_lo, s5
	v_readfirstlane_b32 s5, v0
	s_cmp_eq_u32 s5, 0
	s_cbranch_scc1 .LBB6_23
; %bb.22:                               ;   in Loop: Header=BB6_24 Depth=1
	s_sleep 1
	s_cbranch_execnz .LBB6_24
	s_branch .LBB6_26
	.p2align	6
.LBB6_23:
	s_branch .LBB6_26
.LBB6_24:                               ; =>This Inner Loop Header: Depth=1
	v_mov_b32_e32 v0, 1
	s_and_saveexec_b32 s5, s4
	s_cbranch_execz .LBB6_21
; %bb.25:                               ;   in Loop: Header=BB6_24 Depth=1
	global_load_dword v0, v[8:9], off offset:20 glc dlc
	s_waitcnt vmcnt(0)
	buffer_gl1_inv
	buffer_gl0_inv
	v_and_b32_e32 v0, 1, v0
	s_branch .LBB6_21
.LBB6_26:
	global_load_dwordx2 v[4:5], v[10:11], off
	s_and_saveexec_b32 s5, s4
	s_cbranch_execz .LBB6_30
; %bb.27:
	v_mov_b32_e32 v8, 0
	s_clause 0x2
	global_load_dwordx2 v[2:3], v8, s[26:27] offset:40
	global_load_dwordx2 v[9:10], v8, s[26:27] offset:24 glc dlc
	global_load_dwordx2 v[6:7], v8, s[26:27]
	s_waitcnt vmcnt(2)
	v_add_co_u32 v11, vcc_lo, v2, 1
	v_add_co_ci_u32_e32 v12, vcc_lo, 0, v3, vcc_lo
	v_add_co_u32 v0, vcc_lo, v11, s6
	v_add_co_ci_u32_e32 v1, vcc_lo, s7, v12, vcc_lo
	v_cmp_eq_u64_e32 vcc_lo, 0, v[0:1]
	v_cndmask_b32_e32 v1, v1, v12, vcc_lo
	v_cndmask_b32_e32 v0, v0, v11, vcc_lo
	v_and_b32_e32 v3, v1, v3
	v_and_b32_e32 v2, v0, v2
	v_mul_lo_u32 v3, v3, 24
	v_mul_hi_u32 v11, v2, 24
	v_mul_lo_u32 v2, v2, 24
	v_add_nc_u32_e32 v3, v11, v3
	s_waitcnt vmcnt(0)
	v_add_co_u32 v6, vcc_lo, v6, v2
	v_mov_b32_e32 v2, v9
	v_add_co_ci_u32_e32 v7, vcc_lo, v7, v3, vcc_lo
	v_mov_b32_e32 v3, v10
	global_store_dwordx2 v[6:7], v[9:10], off
	s_waitcnt_vscnt null, 0x0
	global_atomic_cmpswap_x2 v[2:3], v8, v[0:3], s[26:27] offset:24 glc
	s_waitcnt vmcnt(0)
	v_cmp_ne_u64_e32 vcc_lo, v[2:3], v[9:10]
	s_and_b32 exec_lo, exec_lo, vcc_lo
	s_cbranch_execz .LBB6_30
; %bb.28:
	s_mov_b32 s4, 0
.LBB6_29:                               ; =>This Inner Loop Header: Depth=1
	s_sleep 1
	global_store_dwordx2 v[6:7], v[2:3], off
	s_waitcnt_vscnt null, 0x0
	global_atomic_cmpswap_x2 v[9:10], v8, v[0:3], s[26:27] offset:24 glc
	s_waitcnt vmcnt(0)
	v_cmp_eq_u64_e32 vcc_lo, v[9:10], v[2:3]
	v_mov_b32_e32 v2, v9
	v_mov_b32_e32 v3, v10
	s_or_b32 s4, vcc_lo, s4
	s_andn2_b32 exec_lo, exec_lo, s4
	s_cbranch_execnz .LBB6_29
.LBB6_30:
	s_or_b32 exec_lo, exec_lo, s5
	s_getpc_b64 s[6:7]
	s_add_u32 s6, s6, .str.5@rel32@lo+4
	s_addc_u32 s7, s7, .str.5@rel32@hi+12
	s_cmp_lg_u64 s[6:7], 0
	s_cselect_b32 s15, -1, 0
	s_and_b32 vcc_lo, exec_lo, s15
	s_cbranch_vccz .LBB6_109
; %bb.31:
	s_waitcnt vmcnt(0)
	v_and_b32_e32 v28, 2, v4
	v_mov_b32_e32 v7, 0
	v_and_b32_e32 v0, -3, v4
	v_mov_b32_e32 v1, v5
	v_mov_b32_e32 v8, 2
	;; [unrolled: 1-line block ×3, first 2 shown]
	s_mov_b64 s[10:11], 3
	s_branch .LBB6_33
.LBB6_32:                               ;   in Loop: Header=BB6_33 Depth=1
	s_or_b32 exec_lo, exec_lo, s5
	s_sub_u32 s10, s10, s16
	s_subb_u32 s11, s11, s17
	s_add_u32 s6, s6, s16
	s_addc_u32 s7, s7, s17
	s_cmp_lg_u64 s[10:11], 0
	s_cbranch_scc0 .LBB6_108
.LBB6_33:                               ; =>This Loop Header: Depth=1
                                        ;     Child Loop BB6_42 Depth 2
                                        ;     Child Loop BB6_38 Depth 2
	;; [unrolled: 1-line block ×11, first 2 shown]
	v_cmp_lt_u64_e64 s4, s[10:11], 56
	v_cmp_gt_u64_e64 s5, s[10:11], 7
                                        ; implicit-def: $vgpr2_vgpr3
                                        ; implicit-def: $sgpr22
	s_and_b32 s4, s4, exec_lo
	s_cselect_b32 s17, s11, 0
	s_cselect_b32 s16, s10, 56
	s_and_b32 vcc_lo, exec_lo, s5
	s_mov_b32 s4, -1
	s_cbranch_vccz .LBB6_40
; %bb.34:                               ;   in Loop: Header=BB6_33 Depth=1
	s_andn2_b32 vcc_lo, exec_lo, s4
	s_mov_b64 s[4:5], s[6:7]
	s_cbranch_vccz .LBB6_44
.LBB6_35:                               ;   in Loop: Header=BB6_33 Depth=1
	s_cmp_gt_u32 s22, 7
	s_cbranch_scc1 .LBB6_45
.LBB6_36:                               ;   in Loop: Header=BB6_33 Depth=1
	v_mov_b32_e32 v10, 0
	v_mov_b32_e32 v11, 0
	s_cmp_eq_u32 s22, 0
	s_cbranch_scc1 .LBB6_39
; %bb.37:                               ;   in Loop: Header=BB6_33 Depth=1
	s_mov_b64 s[18:19], 0
	s_mov_b64 s[20:21], 0
.LBB6_38:                               ;   Parent Loop BB6_33 Depth=1
                                        ; =>  This Inner Loop Header: Depth=2
	s_add_u32 s24, s4, s20
	s_addc_u32 s25, s5, s21
	s_add_u32 s20, s20, 1
	global_load_ubyte v6, v7, s[24:25]
	s_addc_u32 s21, s21, 0
	s_waitcnt vmcnt(0)
	v_and_b32_e32 v6, 0xffff, v6
	v_lshlrev_b64 v[12:13], s18, v[6:7]
	s_add_u32 s18, s18, 8
	s_addc_u32 s19, s19, 0
	s_cmp_lg_u32 s22, s20
	v_or_b32_e32 v10, v12, v10
	v_or_b32_e32 v11, v13, v11
	s_cbranch_scc1 .LBB6_38
.LBB6_39:                               ;   in Loop: Header=BB6_33 Depth=1
	s_mov_b32 s23, 0
	s_cbranch_execz .LBB6_46
	s_branch .LBB6_47
.LBB6_40:                               ;   in Loop: Header=BB6_33 Depth=1
	s_waitcnt vmcnt(0)
	v_mov_b32_e32 v2, 0
	v_mov_b32_e32 v3, 0
	s_cmp_eq_u64 s[10:11], 0
	s_mov_b64 s[4:5], 0
	s_cbranch_scc1 .LBB6_43
; %bb.41:                               ;   in Loop: Header=BB6_33 Depth=1
	v_mov_b32_e32 v2, 0
	v_mov_b32_e32 v3, 0
	s_lshl_b64 s[18:19], s[16:17], 3
	s_mov_b64 s[20:21], s[6:7]
.LBB6_42:                               ;   Parent Loop BB6_33 Depth=1
                                        ; =>  This Inner Loop Header: Depth=2
	global_load_ubyte v6, v7, s[20:21]
	s_waitcnt vmcnt(0)
	v_and_b32_e32 v6, 0xffff, v6
	v_lshlrev_b64 v[10:11], s4, v[6:7]
	s_add_u32 s4, s4, 8
	s_addc_u32 s5, s5, 0
	s_add_u32 s20, s20, 1
	s_addc_u32 s21, s21, 0
	s_cmp_lg_u32 s18, s4
	v_or_b32_e32 v2, v10, v2
	v_or_b32_e32 v3, v11, v3
	s_cbranch_scc1 .LBB6_42
.LBB6_43:                               ;   in Loop: Header=BB6_33 Depth=1
	s_mov_b32 s22, 0
	s_mov_b64 s[4:5], s[6:7]
	s_cbranch_execnz .LBB6_35
.LBB6_44:                               ;   in Loop: Header=BB6_33 Depth=1
	global_load_dwordx2 v[2:3], v7, s[6:7]
	s_add_i32 s22, s16, -8
	s_add_u32 s4, s6, 8
	s_addc_u32 s5, s7, 0
	s_cmp_gt_u32 s22, 7
	s_cbranch_scc0 .LBB6_36
.LBB6_45:                               ;   in Loop: Header=BB6_33 Depth=1
                                        ; implicit-def: $vgpr10_vgpr11
                                        ; implicit-def: $sgpr23
.LBB6_46:                               ;   in Loop: Header=BB6_33 Depth=1
	global_load_dwordx2 v[10:11], v7, s[4:5]
	s_add_i32 s23, s22, -8
	s_add_u32 s4, s4, 8
	s_addc_u32 s5, s5, 0
.LBB6_47:                               ;   in Loop: Header=BB6_33 Depth=1
	s_cmp_gt_u32 s23, 7
	s_cbranch_scc1 .LBB6_52
; %bb.48:                               ;   in Loop: Header=BB6_33 Depth=1
	v_mov_b32_e32 v12, 0
	v_mov_b32_e32 v13, 0
	s_cmp_eq_u32 s23, 0
	s_cbranch_scc1 .LBB6_51
; %bb.49:                               ;   in Loop: Header=BB6_33 Depth=1
	s_mov_b64 s[18:19], 0
	s_mov_b64 s[20:21], 0
.LBB6_50:                               ;   Parent Loop BB6_33 Depth=1
                                        ; =>  This Inner Loop Header: Depth=2
	s_add_u32 s24, s4, s20
	s_addc_u32 s25, s5, s21
	s_add_u32 s20, s20, 1
	global_load_ubyte v6, v7, s[24:25]
	s_addc_u32 s21, s21, 0
	s_waitcnt vmcnt(0)
	v_and_b32_e32 v6, 0xffff, v6
	v_lshlrev_b64 v[14:15], s18, v[6:7]
	s_add_u32 s18, s18, 8
	s_addc_u32 s19, s19, 0
	s_cmp_lg_u32 s23, s20
	v_or_b32_e32 v12, v14, v12
	v_or_b32_e32 v13, v15, v13
	s_cbranch_scc1 .LBB6_50
.LBB6_51:                               ;   in Loop: Header=BB6_33 Depth=1
	s_mov_b32 s22, 0
	s_cbranch_execz .LBB6_53
	s_branch .LBB6_54
.LBB6_52:                               ;   in Loop: Header=BB6_33 Depth=1
                                        ; implicit-def: $sgpr22
.LBB6_53:                               ;   in Loop: Header=BB6_33 Depth=1
	global_load_dwordx2 v[12:13], v7, s[4:5]
	s_add_i32 s22, s23, -8
	s_add_u32 s4, s4, 8
	s_addc_u32 s5, s5, 0
.LBB6_54:                               ;   in Loop: Header=BB6_33 Depth=1
	s_cmp_gt_u32 s22, 7
	s_cbranch_scc1 .LBB6_59
; %bb.55:                               ;   in Loop: Header=BB6_33 Depth=1
	v_mov_b32_e32 v14, 0
	v_mov_b32_e32 v15, 0
	s_cmp_eq_u32 s22, 0
	s_cbranch_scc1 .LBB6_58
; %bb.56:                               ;   in Loop: Header=BB6_33 Depth=1
	s_mov_b64 s[18:19], 0
	s_mov_b64 s[20:21], 0
.LBB6_57:                               ;   Parent Loop BB6_33 Depth=1
                                        ; =>  This Inner Loop Header: Depth=2
	s_add_u32 s24, s4, s20
	s_addc_u32 s25, s5, s21
	s_add_u32 s20, s20, 1
	global_load_ubyte v6, v7, s[24:25]
	s_addc_u32 s21, s21, 0
	s_waitcnt vmcnt(0)
	v_and_b32_e32 v6, 0xffff, v6
	v_lshlrev_b64 v[16:17], s18, v[6:7]
	s_add_u32 s18, s18, 8
	s_addc_u32 s19, s19, 0
	s_cmp_lg_u32 s22, s20
	v_or_b32_e32 v14, v16, v14
	v_or_b32_e32 v15, v17, v15
	s_cbranch_scc1 .LBB6_57
.LBB6_58:                               ;   in Loop: Header=BB6_33 Depth=1
	s_mov_b32 s23, 0
	s_cbranch_execz .LBB6_60
	s_branch .LBB6_61
.LBB6_59:                               ;   in Loop: Header=BB6_33 Depth=1
                                        ; implicit-def: $vgpr14_vgpr15
                                        ; implicit-def: $sgpr23
.LBB6_60:                               ;   in Loop: Header=BB6_33 Depth=1
	global_load_dwordx2 v[14:15], v7, s[4:5]
	s_add_i32 s23, s22, -8
	s_add_u32 s4, s4, 8
	s_addc_u32 s5, s5, 0
.LBB6_61:                               ;   in Loop: Header=BB6_33 Depth=1
	s_cmp_gt_u32 s23, 7
	s_cbranch_scc1 .LBB6_66
; %bb.62:                               ;   in Loop: Header=BB6_33 Depth=1
	v_mov_b32_e32 v16, 0
	v_mov_b32_e32 v17, 0
	s_cmp_eq_u32 s23, 0
	s_cbranch_scc1 .LBB6_65
; %bb.63:                               ;   in Loop: Header=BB6_33 Depth=1
	s_mov_b64 s[18:19], 0
	s_mov_b64 s[20:21], 0
.LBB6_64:                               ;   Parent Loop BB6_33 Depth=1
                                        ; =>  This Inner Loop Header: Depth=2
	s_add_u32 s24, s4, s20
	s_addc_u32 s25, s5, s21
	s_add_u32 s20, s20, 1
	global_load_ubyte v6, v7, s[24:25]
	s_addc_u32 s21, s21, 0
	s_waitcnt vmcnt(0)
	v_and_b32_e32 v6, 0xffff, v6
	v_lshlrev_b64 v[18:19], s18, v[6:7]
	s_add_u32 s18, s18, 8
	s_addc_u32 s19, s19, 0
	s_cmp_lg_u32 s23, s20
	v_or_b32_e32 v16, v18, v16
	v_or_b32_e32 v17, v19, v17
	s_cbranch_scc1 .LBB6_64
.LBB6_65:                               ;   in Loop: Header=BB6_33 Depth=1
	s_mov_b32 s22, 0
	s_cbranch_execz .LBB6_67
	s_branch .LBB6_68
.LBB6_66:                               ;   in Loop: Header=BB6_33 Depth=1
                                        ; implicit-def: $sgpr22
.LBB6_67:                               ;   in Loop: Header=BB6_33 Depth=1
	global_load_dwordx2 v[16:17], v7, s[4:5]
	s_add_i32 s22, s23, -8
	s_add_u32 s4, s4, 8
	s_addc_u32 s5, s5, 0
.LBB6_68:                               ;   in Loop: Header=BB6_33 Depth=1
	s_cmp_gt_u32 s22, 7
	s_cbranch_scc1 .LBB6_73
; %bb.69:                               ;   in Loop: Header=BB6_33 Depth=1
	v_mov_b32_e32 v18, 0
	v_mov_b32_e32 v19, 0
	s_cmp_eq_u32 s22, 0
	s_cbranch_scc1 .LBB6_72
; %bb.70:                               ;   in Loop: Header=BB6_33 Depth=1
	s_mov_b64 s[18:19], 0
	s_mov_b64 s[20:21], 0
.LBB6_71:                               ;   Parent Loop BB6_33 Depth=1
                                        ; =>  This Inner Loop Header: Depth=2
	s_add_u32 s24, s4, s20
	s_addc_u32 s25, s5, s21
	s_add_u32 s20, s20, 1
	global_load_ubyte v6, v7, s[24:25]
	s_addc_u32 s21, s21, 0
	s_waitcnt vmcnt(0)
	v_and_b32_e32 v6, 0xffff, v6
	v_lshlrev_b64 v[20:21], s18, v[6:7]
	s_add_u32 s18, s18, 8
	s_addc_u32 s19, s19, 0
	s_cmp_lg_u32 s22, s20
	v_or_b32_e32 v18, v20, v18
	v_or_b32_e32 v19, v21, v19
	s_cbranch_scc1 .LBB6_71
.LBB6_72:                               ;   in Loop: Header=BB6_33 Depth=1
	s_mov_b32 s23, 0
	s_cbranch_execz .LBB6_74
	s_branch .LBB6_75
.LBB6_73:                               ;   in Loop: Header=BB6_33 Depth=1
                                        ; implicit-def: $vgpr18_vgpr19
                                        ; implicit-def: $sgpr23
.LBB6_74:                               ;   in Loop: Header=BB6_33 Depth=1
	global_load_dwordx2 v[18:19], v7, s[4:5]
	s_add_i32 s23, s22, -8
	s_add_u32 s4, s4, 8
	s_addc_u32 s5, s5, 0
.LBB6_75:                               ;   in Loop: Header=BB6_33 Depth=1
	s_cmp_gt_u32 s23, 7
	s_cbranch_scc1 .LBB6_80
; %bb.76:                               ;   in Loop: Header=BB6_33 Depth=1
	v_mov_b32_e32 v20, 0
	v_mov_b32_e32 v21, 0
	s_cmp_eq_u32 s23, 0
	s_cbranch_scc1 .LBB6_79
; %bb.77:                               ;   in Loop: Header=BB6_33 Depth=1
	s_mov_b64 s[18:19], 0
	s_mov_b64 s[20:21], s[4:5]
.LBB6_78:                               ;   Parent Loop BB6_33 Depth=1
                                        ; =>  This Inner Loop Header: Depth=2
	global_load_ubyte v6, v7, s[20:21]
	s_add_i32 s23, s23, -1
	s_waitcnt vmcnt(0)
	v_and_b32_e32 v6, 0xffff, v6
	v_lshlrev_b64 v[22:23], s18, v[6:7]
	s_add_u32 s18, s18, 8
	s_addc_u32 s19, s19, 0
	s_add_u32 s20, s20, 1
	s_addc_u32 s21, s21, 0
	s_cmp_lg_u32 s23, 0
	v_or_b32_e32 v20, v22, v20
	v_or_b32_e32 v21, v23, v21
	s_cbranch_scc1 .LBB6_78
.LBB6_79:                               ;   in Loop: Header=BB6_33 Depth=1
	s_cbranch_execz .LBB6_81
	s_branch .LBB6_82
.LBB6_80:                               ;   in Loop: Header=BB6_33 Depth=1
.LBB6_81:                               ;   in Loop: Header=BB6_33 Depth=1
	global_load_dwordx2 v[20:21], v7, s[4:5]
.LBB6_82:                               ;   in Loop: Header=BB6_33 Depth=1
	v_readfirstlane_b32 s4, v49
	v_mov_b32_e32 v26, 0
	v_mov_b32_e32 v27, 0
	v_cmp_eq_u32_e64 s4, s4, v49
	s_and_saveexec_b32 s5, s4
	s_cbranch_execz .LBB6_88
; %bb.83:                               ;   in Loop: Header=BB6_33 Depth=1
	global_load_dwordx2 v[24:25], v7, s[26:27] offset:24 glc dlc
	s_waitcnt vmcnt(0)
	buffer_gl1_inv
	buffer_gl0_inv
	s_clause 0x1
	global_load_dwordx2 v[22:23], v7, s[26:27] offset:40
	global_load_dwordx2 v[26:27], v7, s[26:27]
	s_mov_b32 s18, exec_lo
	s_waitcnt vmcnt(1)
	v_and_b32_e32 v6, v23, v25
	v_and_b32_e32 v22, v22, v24
	v_mul_lo_u32 v6, v6, 24
	v_mul_hi_u32 v23, v22, 24
	v_mul_lo_u32 v22, v22, 24
	v_add_nc_u32_e32 v6, v23, v6
	s_waitcnt vmcnt(0)
	v_add_co_u32 v22, vcc_lo, v26, v22
	v_add_co_ci_u32_e32 v23, vcc_lo, v27, v6, vcc_lo
	global_load_dwordx2 v[22:23], v[22:23], off glc dlc
	s_waitcnt vmcnt(0)
	global_atomic_cmpswap_x2 v[26:27], v7, v[22:25], s[26:27] offset:24 glc
	s_waitcnt vmcnt(0)
	buffer_gl1_inv
	buffer_gl0_inv
	v_cmpx_ne_u64_e64 v[26:27], v[24:25]
	s_cbranch_execz .LBB6_87
; %bb.84:                               ;   in Loop: Header=BB6_33 Depth=1
	s_mov_b32 s19, 0
	.p2align	6
.LBB6_85:                               ;   Parent Loop BB6_33 Depth=1
                                        ; =>  This Inner Loop Header: Depth=2
	s_sleep 1
	s_clause 0x1
	global_load_dwordx2 v[22:23], v7, s[26:27] offset:40
	global_load_dwordx2 v[29:30], v7, s[26:27]
	v_mov_b32_e32 v24, v26
	v_mov_b32_e32 v25, v27
	s_waitcnt vmcnt(1)
	v_and_b32_e32 v6, v22, v24
	v_and_b32_e32 v22, v23, v25
	s_waitcnt vmcnt(0)
	v_mad_u64_u32 v[26:27], null, v6, 24, v[29:30]
	v_mov_b32_e32 v6, v27
	v_mad_u64_u32 v[22:23], null, v22, 24, v[6:7]
	v_mov_b32_e32 v27, v22
	global_load_dwordx2 v[22:23], v[26:27], off glc dlc
	s_waitcnt vmcnt(0)
	global_atomic_cmpswap_x2 v[26:27], v7, v[22:25], s[26:27] offset:24 glc
	s_waitcnt vmcnt(0)
	buffer_gl1_inv
	buffer_gl0_inv
	v_cmp_eq_u64_e32 vcc_lo, v[26:27], v[24:25]
	s_or_b32 s19, vcc_lo, s19
	s_andn2_b32 exec_lo, exec_lo, s19
	s_cbranch_execnz .LBB6_85
; %bb.86:                               ;   in Loop: Header=BB6_33 Depth=1
	s_or_b32 exec_lo, exec_lo, s19
.LBB6_87:                               ;   in Loop: Header=BB6_33 Depth=1
	s_or_b32 exec_lo, exec_lo, s18
.LBB6_88:                               ;   in Loop: Header=BB6_33 Depth=1
	s_or_b32 exec_lo, exec_lo, s5
	s_clause 0x1
	global_load_dwordx2 v[29:30], v7, s[26:27] offset:40
	global_load_dwordx4 v[22:25], v7, s[26:27]
	v_readfirstlane_b32 s18, v26
	v_readfirstlane_b32 s19, v27
	s_mov_b32 s5, exec_lo
	s_waitcnt vmcnt(1)
	v_readfirstlane_b32 s20, v29
	v_readfirstlane_b32 s21, v30
	s_and_b64 s[20:21], s[18:19], s[20:21]
	s_mul_i32 s22, s21, 24
	s_mul_hi_u32 s23, s20, 24
	s_mul_i32 s24, s20, 24
	s_add_i32 s23, s23, s22
	s_waitcnt vmcnt(0)
	v_add_co_u32 v26, vcc_lo, v22, s24
	v_add_co_ci_u32_e32 v27, vcc_lo, s23, v23, vcc_lo
	s_and_saveexec_b32 s22, s4
	s_cbranch_execz .LBB6_90
; %bb.89:                               ;   in Loop: Header=BB6_33 Depth=1
	v_mov_b32_e32 v6, s5
	global_store_dwordx4 v[26:27], v[6:9], off offset:8
.LBB6_90:                               ;   in Loop: Header=BB6_33 Depth=1
	s_or_b32 exec_lo, exec_lo, s22
	s_lshl_b64 s[20:21], s[20:21], 12
	v_cmp_gt_u64_e64 vcc_lo, s[10:11], 56
	v_or_b32_e32 v29, v0, v28
	v_add_co_u32 v24, s5, v24, s20
	v_add_co_ci_u32_e64 v25, s5, s21, v25, s5
	s_lshl_b32 s5, s16, 2
	v_or_b32_e32 v6, 0, v1
	v_cndmask_b32_e32 v0, v29, v0, vcc_lo
	s_add_i32 s5, s5, 28
	v_readfirstlane_b32 s20, v24
	s_and_b32 s5, s5, 0x1e0
	v_cndmask_b32_e32 v1, v6, v1, vcc_lo
	v_readfirstlane_b32 s21, v25
	v_and_or_b32 v0, 0xffffff1f, v0, s5
	global_store_dwordx4 v48, v[0:3], s[20:21]
	global_store_dwordx4 v48, v[10:13], s[20:21] offset:16
	global_store_dwordx4 v48, v[14:17], s[20:21] offset:32
	;; [unrolled: 1-line block ×3, first 2 shown]
	s_and_saveexec_b32 s5, s4
	s_cbranch_execz .LBB6_98
; %bb.91:                               ;   in Loop: Header=BB6_33 Depth=1
	s_clause 0x1
	global_load_dwordx2 v[14:15], v7, s[26:27] offset:32 glc dlc
	global_load_dwordx2 v[0:1], v7, s[26:27] offset:40
	v_mov_b32_e32 v12, s18
	v_mov_b32_e32 v13, s19
	s_waitcnt vmcnt(0)
	v_readfirstlane_b32 s20, v0
	v_readfirstlane_b32 s21, v1
	s_and_b64 s[20:21], s[20:21], s[18:19]
	s_mul_i32 s21, s21, 24
	s_mul_hi_u32 s22, s20, 24
	s_mul_i32 s20, s20, 24
	s_add_i32 s22, s22, s21
	v_add_co_u32 v10, vcc_lo, v22, s20
	v_add_co_ci_u32_e32 v11, vcc_lo, s22, v23, vcc_lo
	s_mov_b32 s20, exec_lo
	global_store_dwordx2 v[10:11], v[14:15], off
	s_waitcnt_vscnt null, 0x0
	global_atomic_cmpswap_x2 v[2:3], v7, v[12:15], s[26:27] offset:32 glc
	s_waitcnt vmcnt(0)
	v_cmpx_ne_u64_e64 v[2:3], v[14:15]
	s_cbranch_execz .LBB6_94
; %bb.92:                               ;   in Loop: Header=BB6_33 Depth=1
	s_mov_b32 s21, 0
.LBB6_93:                               ;   Parent Loop BB6_33 Depth=1
                                        ; =>  This Inner Loop Header: Depth=2
	v_mov_b32_e32 v0, s18
	v_mov_b32_e32 v1, s19
	s_sleep 1
	global_store_dwordx2 v[10:11], v[2:3], off
	s_waitcnt_vscnt null, 0x0
	global_atomic_cmpswap_x2 v[0:1], v7, v[0:3], s[26:27] offset:32 glc
	s_waitcnt vmcnt(0)
	v_cmp_eq_u64_e32 vcc_lo, v[0:1], v[2:3]
	v_mov_b32_e32 v3, v1
	v_mov_b32_e32 v2, v0
	s_or_b32 s21, vcc_lo, s21
	s_andn2_b32 exec_lo, exec_lo, s21
	s_cbranch_execnz .LBB6_93
.LBB6_94:                               ;   in Loop: Header=BB6_33 Depth=1
	s_or_b32 exec_lo, exec_lo, s20
	global_load_dwordx2 v[0:1], v7, s[26:27] offset:16
	s_mov_b32 s21, exec_lo
	s_mov_b32 s20, exec_lo
	v_mbcnt_lo_u32_b32 v2, s21, 0
	v_cmpx_eq_u32_e32 0, v2
	s_cbranch_execz .LBB6_96
; %bb.95:                               ;   in Loop: Header=BB6_33 Depth=1
	s_bcnt1_i32_b32 s21, s21
	v_mov_b32_e32 v6, s21
	s_waitcnt vmcnt(0)
	global_atomic_add_x2 v[0:1], v[6:7], off offset:8
.LBB6_96:                               ;   in Loop: Header=BB6_33 Depth=1
	s_or_b32 exec_lo, exec_lo, s20
	s_waitcnt vmcnt(0)
	global_load_dwordx2 v[2:3], v[0:1], off offset:16
	s_waitcnt vmcnt(0)
	v_cmp_eq_u64_e32 vcc_lo, 0, v[2:3]
	s_cbranch_vccnz .LBB6_98
; %bb.97:                               ;   in Loop: Header=BB6_33 Depth=1
	global_load_dword v6, v[0:1], off offset:24
	s_waitcnt vmcnt(0)
	v_and_b32_e32 v0, 0x7fffff, v6
	s_waitcnt_vscnt null, 0x0
	global_store_dwordx2 v[2:3], v[6:7], off
	v_readfirstlane_b32 m0, v0
	s_sendmsg sendmsg(MSG_INTERRUPT)
.LBB6_98:                               ;   in Loop: Header=BB6_33 Depth=1
	s_or_b32 exec_lo, exec_lo, s5
	v_add_co_u32 v0, vcc_lo, v24, v48
	v_add_co_ci_u32_e32 v1, vcc_lo, 0, v25, vcc_lo
	s_branch .LBB6_102
	.p2align	6
.LBB6_99:                               ;   in Loop: Header=BB6_102 Depth=2
	s_or_b32 exec_lo, exec_lo, s5
	v_readfirstlane_b32 s5, v2
	s_cmp_eq_u32 s5, 0
	s_cbranch_scc1 .LBB6_101
; %bb.100:                              ;   in Loop: Header=BB6_102 Depth=2
	s_sleep 1
	s_cbranch_execnz .LBB6_102
	s_branch .LBB6_104
	.p2align	6
.LBB6_101:                              ;   in Loop: Header=BB6_33 Depth=1
	s_branch .LBB6_104
.LBB6_102:                              ;   Parent Loop BB6_33 Depth=1
                                        ; =>  This Inner Loop Header: Depth=2
	v_mov_b32_e32 v2, 1
	s_and_saveexec_b32 s5, s4
	s_cbranch_execz .LBB6_99
; %bb.103:                              ;   in Loop: Header=BB6_102 Depth=2
	global_load_dword v2, v[26:27], off offset:20 glc dlc
	s_waitcnt vmcnt(0)
	buffer_gl1_inv
	buffer_gl0_inv
	v_and_b32_e32 v2, 1, v2
	s_branch .LBB6_99
.LBB6_104:                              ;   in Loop: Header=BB6_33 Depth=1
	global_load_dwordx4 v[0:3], v[0:1], off
	s_and_saveexec_b32 s5, s4
	s_cbranch_execz .LBB6_32
; %bb.105:                              ;   in Loop: Header=BB6_33 Depth=1
	s_clause 0x2
	global_load_dwordx2 v[2:3], v7, s[26:27] offset:40
	global_load_dwordx2 v[14:15], v7, s[26:27] offset:24 glc dlc
	global_load_dwordx2 v[12:13], v7, s[26:27]
	s_waitcnt vmcnt(2)
	v_add_co_u32 v6, vcc_lo, v2, 1
	v_add_co_ci_u32_e32 v16, vcc_lo, 0, v3, vcc_lo
	v_add_co_u32 v10, vcc_lo, v6, s18
	v_add_co_ci_u32_e32 v11, vcc_lo, s19, v16, vcc_lo
	v_cmp_eq_u64_e32 vcc_lo, 0, v[10:11]
	v_cndmask_b32_e32 v11, v11, v16, vcc_lo
	v_cndmask_b32_e32 v10, v10, v6, vcc_lo
	v_and_b32_e32 v3, v11, v3
	v_and_b32_e32 v2, v10, v2
	v_mul_lo_u32 v3, v3, 24
	v_mul_hi_u32 v6, v2, 24
	v_mul_lo_u32 v2, v2, 24
	v_add_nc_u32_e32 v3, v6, v3
	s_waitcnt vmcnt(0)
	v_add_co_u32 v2, vcc_lo, v12, v2
	v_mov_b32_e32 v12, v14
	v_add_co_ci_u32_e32 v3, vcc_lo, v13, v3, vcc_lo
	v_mov_b32_e32 v13, v15
	global_store_dwordx2 v[2:3], v[14:15], off
	s_waitcnt_vscnt null, 0x0
	global_atomic_cmpswap_x2 v[12:13], v7, v[10:13], s[26:27] offset:24 glc
	s_waitcnt vmcnt(0)
	v_cmp_ne_u64_e32 vcc_lo, v[12:13], v[14:15]
	s_and_b32 exec_lo, exec_lo, vcc_lo
	s_cbranch_execz .LBB6_32
; %bb.106:                              ;   in Loop: Header=BB6_33 Depth=1
	s_mov_b32 s4, 0
.LBB6_107:                              ;   Parent Loop BB6_33 Depth=1
                                        ; =>  This Inner Loop Header: Depth=2
	s_sleep 1
	global_store_dwordx2 v[2:3], v[12:13], off
	s_waitcnt_vscnt null, 0x0
	global_atomic_cmpswap_x2 v[14:15], v7, v[10:13], s[26:27] offset:24 glc
	s_waitcnt vmcnt(0)
	v_cmp_eq_u64_e32 vcc_lo, v[14:15], v[12:13]
	v_mov_b32_e32 v12, v14
	v_mov_b32_e32 v13, v15
	s_or_b32 s4, vcc_lo, s4
	s_andn2_b32 exec_lo, exec_lo, s4
	s_cbranch_execnz .LBB6_107
	s_branch .LBB6_32
.LBB6_108:
	s_branch .LBB6_137
.LBB6_109:
                                        ; implicit-def: $vgpr0_vgpr1
	s_cbranch_execz .LBB6_137
; %bb.110:
	v_readfirstlane_b32 s4, v49
	v_mov_b32_e32 v7, 0
	v_mov_b32_e32 v8, 0
	v_cmp_eq_u32_e64 s4, s4, v49
	s_and_saveexec_b32 s5, s4
	s_cbranch_execz .LBB6_116
; %bb.111:
	s_waitcnt vmcnt(0)
	v_mov_b32_e32 v0, 0
	s_mov_b32 s6, exec_lo
	global_load_dwordx2 v[9:10], v0, s[26:27] offset:24 glc dlc
	s_waitcnt vmcnt(0)
	buffer_gl1_inv
	buffer_gl0_inv
	s_clause 0x1
	global_load_dwordx2 v[1:2], v0, s[26:27] offset:40
	global_load_dwordx2 v[6:7], v0, s[26:27]
	s_waitcnt vmcnt(1)
	v_and_b32_e32 v2, v2, v10
	v_and_b32_e32 v1, v1, v9
	v_mul_lo_u32 v2, v2, 24
	v_mul_hi_u32 v3, v1, 24
	v_mul_lo_u32 v1, v1, 24
	v_add_nc_u32_e32 v2, v3, v2
	s_waitcnt vmcnt(0)
	v_add_co_u32 v1, vcc_lo, v6, v1
	v_add_co_ci_u32_e32 v2, vcc_lo, v7, v2, vcc_lo
	global_load_dwordx2 v[7:8], v[1:2], off glc dlc
	s_waitcnt vmcnt(0)
	global_atomic_cmpswap_x2 v[7:8], v0, v[7:10], s[26:27] offset:24 glc
	s_waitcnt vmcnt(0)
	buffer_gl1_inv
	buffer_gl0_inv
	v_cmpx_ne_u64_e64 v[7:8], v[9:10]
	s_cbranch_execz .LBB6_115
; %bb.112:
	s_mov_b32 s7, 0
	.p2align	6
.LBB6_113:                              ; =>This Inner Loop Header: Depth=1
	s_sleep 1
	s_clause 0x1
	global_load_dwordx2 v[1:2], v0, s[26:27] offset:40
	global_load_dwordx2 v[11:12], v0, s[26:27]
	v_mov_b32_e32 v10, v8
	v_mov_b32_e32 v9, v7
	s_waitcnt vmcnt(1)
	v_and_b32_e32 v1, v1, v9
	v_and_b32_e32 v2, v2, v10
	s_waitcnt vmcnt(0)
	v_mad_u64_u32 v[6:7], null, v1, 24, v[11:12]
	v_mov_b32_e32 v1, v7
	v_mad_u64_u32 v[1:2], null, v2, 24, v[1:2]
	v_mov_b32_e32 v7, v1
	global_load_dwordx2 v[7:8], v[6:7], off glc dlc
	s_waitcnt vmcnt(0)
	global_atomic_cmpswap_x2 v[7:8], v0, v[7:10], s[26:27] offset:24 glc
	s_waitcnt vmcnt(0)
	buffer_gl1_inv
	buffer_gl0_inv
	v_cmp_eq_u64_e32 vcc_lo, v[7:8], v[9:10]
	s_or_b32 s7, vcc_lo, s7
	s_andn2_b32 exec_lo, exec_lo, s7
	s_cbranch_execnz .LBB6_113
; %bb.114:
	s_or_b32 exec_lo, exec_lo, s7
.LBB6_115:
	s_or_b32 exec_lo, exec_lo, s6
.LBB6_116:
	s_or_b32 exec_lo, exec_lo, s5
	v_mov_b32_e32 v6, 0
	v_readfirstlane_b32 s6, v7
	v_readfirstlane_b32 s7, v8
	s_mov_b32 s5, exec_lo
	s_clause 0x1
	global_load_dwordx2 v[9:10], v6, s[26:27] offset:40
	global_load_dwordx4 v[0:3], v6, s[26:27]
	s_waitcnt vmcnt(1)
	v_readfirstlane_b32 s10, v9
	v_readfirstlane_b32 s11, v10
	s_and_b64 s[10:11], s[6:7], s[10:11]
	s_mul_i32 s16, s11, 24
	s_mul_hi_u32 s17, s10, 24
	s_mul_i32 s18, s10, 24
	s_add_i32 s17, s17, s16
	s_waitcnt vmcnt(0)
	v_add_co_u32 v8, vcc_lo, v0, s18
	v_add_co_ci_u32_e32 v9, vcc_lo, s17, v1, vcc_lo
	s_and_saveexec_b32 s16, s4
	s_cbranch_execz .LBB6_118
; %bb.117:
	v_mov_b32_e32 v10, s5
	v_mov_b32_e32 v11, v6
	;; [unrolled: 1-line block ×4, first 2 shown]
	global_store_dwordx4 v[8:9], v[10:13], off offset:8
.LBB6_118:
	s_or_b32 exec_lo, exec_lo, s16
	s_lshl_b64 s[10:11], s[10:11], 12
	s_mov_b32 s16, 0
	v_add_co_u32 v2, vcc_lo, v2, s10
	v_add_co_ci_u32_e32 v3, vcc_lo, s11, v3, vcc_lo
	s_mov_b32 s17, s16
	v_add_co_u32 v10, vcc_lo, v2, v48
	s_mov_b32 s18, s16
	s_mov_b32 s19, s16
	v_and_or_b32 v4, 0xffffff1f, v4, 32
	v_mov_b32_e32 v7, v6
	v_readfirstlane_b32 s10, v2
	v_readfirstlane_b32 s11, v3
	v_mov_b32_e32 v12, s16
	v_add_co_ci_u32_e32 v11, vcc_lo, 0, v3, vcc_lo
	v_mov_b32_e32 v13, s17
	v_mov_b32_e32 v14, s18
	;; [unrolled: 1-line block ×3, first 2 shown]
	global_store_dwordx4 v48, v[4:7], s[10:11]
	global_store_dwordx4 v48, v[12:15], s[10:11] offset:16
	global_store_dwordx4 v48, v[12:15], s[10:11] offset:32
	;; [unrolled: 1-line block ×3, first 2 shown]
	s_and_saveexec_b32 s5, s4
	s_cbranch_execz .LBB6_126
; %bb.119:
	v_mov_b32_e32 v6, 0
	v_mov_b32_e32 v12, s6
	;; [unrolled: 1-line block ×3, first 2 shown]
	s_clause 0x1
	global_load_dwordx2 v[14:15], v6, s[26:27] offset:32 glc dlc
	global_load_dwordx2 v[2:3], v6, s[26:27] offset:40
	s_waitcnt vmcnt(0)
	v_readfirstlane_b32 s10, v2
	v_readfirstlane_b32 s11, v3
	s_and_b64 s[10:11], s[10:11], s[6:7]
	s_mul_i32 s11, s11, 24
	s_mul_hi_u32 s16, s10, 24
	s_mul_i32 s10, s10, 24
	s_add_i32 s16, s16, s11
	v_add_co_u32 v4, vcc_lo, v0, s10
	v_add_co_ci_u32_e32 v5, vcc_lo, s16, v1, vcc_lo
	s_mov_b32 s10, exec_lo
	global_store_dwordx2 v[4:5], v[14:15], off
	s_waitcnt_vscnt null, 0x0
	global_atomic_cmpswap_x2 v[2:3], v6, v[12:15], s[26:27] offset:32 glc
	s_waitcnt vmcnt(0)
	v_cmpx_ne_u64_e64 v[2:3], v[14:15]
	s_cbranch_execz .LBB6_122
; %bb.120:
	s_mov_b32 s11, 0
.LBB6_121:                              ; =>This Inner Loop Header: Depth=1
	v_mov_b32_e32 v0, s6
	v_mov_b32_e32 v1, s7
	s_sleep 1
	global_store_dwordx2 v[4:5], v[2:3], off
	s_waitcnt_vscnt null, 0x0
	global_atomic_cmpswap_x2 v[0:1], v6, v[0:3], s[26:27] offset:32 glc
	s_waitcnt vmcnt(0)
	v_cmp_eq_u64_e32 vcc_lo, v[0:1], v[2:3]
	v_mov_b32_e32 v3, v1
	v_mov_b32_e32 v2, v0
	s_or_b32 s11, vcc_lo, s11
	s_andn2_b32 exec_lo, exec_lo, s11
	s_cbranch_execnz .LBB6_121
.LBB6_122:
	s_or_b32 exec_lo, exec_lo, s10
	v_mov_b32_e32 v3, 0
	s_mov_b32 s11, exec_lo
	s_mov_b32 s10, exec_lo
	v_mbcnt_lo_u32_b32 v2, s11, 0
	global_load_dwordx2 v[0:1], v3, s[26:27] offset:16
	v_cmpx_eq_u32_e32 0, v2
	s_cbranch_execz .LBB6_124
; %bb.123:
	s_bcnt1_i32_b32 s11, s11
	v_mov_b32_e32 v2, s11
	s_waitcnt vmcnt(0)
	global_atomic_add_x2 v[0:1], v[2:3], off offset:8
.LBB6_124:
	s_or_b32 exec_lo, exec_lo, s10
	s_waitcnt vmcnt(0)
	global_load_dwordx2 v[2:3], v[0:1], off offset:16
	s_waitcnt vmcnt(0)
	v_cmp_eq_u64_e32 vcc_lo, 0, v[2:3]
	s_cbranch_vccnz .LBB6_126
; %bb.125:
	global_load_dword v0, v[0:1], off offset:24
	v_mov_b32_e32 v1, 0
	s_waitcnt vmcnt(0)
	v_and_b32_e32 v4, 0x7fffff, v0
	s_waitcnt_vscnt null, 0x0
	global_store_dwordx2 v[2:3], v[0:1], off
	v_readfirstlane_b32 m0, v4
	s_sendmsg sendmsg(MSG_INTERRUPT)
.LBB6_126:
	s_or_b32 exec_lo, exec_lo, s5
	s_branch .LBB6_130
	.p2align	6
.LBB6_127:                              ;   in Loop: Header=BB6_130 Depth=1
	s_or_b32 exec_lo, exec_lo, s5
	v_readfirstlane_b32 s5, v0
	s_cmp_eq_u32 s5, 0
	s_cbranch_scc1 .LBB6_129
; %bb.128:                              ;   in Loop: Header=BB6_130 Depth=1
	s_sleep 1
	s_cbranch_execnz .LBB6_130
	s_branch .LBB6_132
	.p2align	6
.LBB6_129:
	s_branch .LBB6_132
.LBB6_130:                              ; =>This Inner Loop Header: Depth=1
	v_mov_b32_e32 v0, 1
	s_and_saveexec_b32 s5, s4
	s_cbranch_execz .LBB6_127
; %bb.131:                              ;   in Loop: Header=BB6_130 Depth=1
	global_load_dword v0, v[8:9], off offset:20 glc dlc
	s_waitcnt vmcnt(0)
	buffer_gl1_inv
	buffer_gl0_inv
	v_and_b32_e32 v0, 1, v0
	s_branch .LBB6_127
.LBB6_132:
	global_load_dwordx2 v[0:1], v[10:11], off
	s_and_saveexec_b32 s5, s4
	s_cbranch_execz .LBB6_136
; %bb.133:
	v_mov_b32_e32 v8, 0
	s_clause 0x2
	global_load_dwordx2 v[4:5], v8, s[26:27] offset:40
	global_load_dwordx2 v[9:10], v8, s[26:27] offset:24 glc dlc
	global_load_dwordx2 v[6:7], v8, s[26:27]
	s_waitcnt vmcnt(2)
	v_add_co_u32 v11, vcc_lo, v4, 1
	v_add_co_ci_u32_e32 v12, vcc_lo, 0, v5, vcc_lo
	v_add_co_u32 v2, vcc_lo, v11, s6
	v_add_co_ci_u32_e32 v3, vcc_lo, s7, v12, vcc_lo
	v_cmp_eq_u64_e32 vcc_lo, 0, v[2:3]
	v_cndmask_b32_e32 v3, v3, v12, vcc_lo
	v_cndmask_b32_e32 v2, v2, v11, vcc_lo
	v_and_b32_e32 v5, v3, v5
	v_and_b32_e32 v4, v2, v4
	v_mul_lo_u32 v5, v5, 24
	v_mul_hi_u32 v11, v4, 24
	v_mul_lo_u32 v4, v4, 24
	v_add_nc_u32_e32 v5, v11, v5
	s_waitcnt vmcnt(0)
	v_add_co_u32 v6, vcc_lo, v6, v4
	v_mov_b32_e32 v4, v9
	v_add_co_ci_u32_e32 v7, vcc_lo, v7, v5, vcc_lo
	v_mov_b32_e32 v5, v10
	global_store_dwordx2 v[6:7], v[9:10], off
	s_waitcnt_vscnt null, 0x0
	global_atomic_cmpswap_x2 v[4:5], v8, v[2:5], s[26:27] offset:24 glc
	s_waitcnt vmcnt(0)
	v_cmp_ne_u64_e32 vcc_lo, v[4:5], v[9:10]
	s_and_b32 exec_lo, exec_lo, vcc_lo
	s_cbranch_execz .LBB6_136
; %bb.134:
	s_mov_b32 s4, 0
.LBB6_135:                              ; =>This Inner Loop Header: Depth=1
	s_sleep 1
	global_store_dwordx2 v[6:7], v[4:5], off
	s_waitcnt_vscnt null, 0x0
	global_atomic_cmpswap_x2 v[9:10], v8, v[2:5], s[26:27] offset:24 glc
	s_waitcnt vmcnt(0)
	v_cmp_eq_u64_e32 vcc_lo, v[9:10], v[4:5]
	v_mov_b32_e32 v4, v9
	v_mov_b32_e32 v5, v10
	s_or_b32 s4, vcc_lo, s4
	s_andn2_b32 exec_lo, exec_lo, s4
	s_cbranch_execnz .LBB6_135
.LBB6_136:
	s_or_b32 exec_lo, exec_lo, s5
.LBB6_137:
	s_getpc_b64 s[6:7]
	s_add_u32 s6, s6, __PRETTY_FUNCTION__._ZL22upper_bound_all_largerRN8migraphx4test12test_managerE@rel32@lo+4
	s_addc_u32 s7, s7, __PRETTY_FUNCTION__._ZL22upper_bound_all_largerRN8migraphx4test12test_managerE@rel32@hi+12
	s_cmp_lg_u64 s[6:7], 0
	s_cbranch_scc0 .LBB6_216
; %bb.138:
	s_waitcnt vmcnt(0)
	v_and_b32_e32 v6, -3, v0
	v_mov_b32_e32 v7, v1
	v_mov_b32_e32 v3, 0
	;; [unrolled: 1-line block ×4, first 2 shown]
	s_mov_b64 s[10:11], 60
	s_branch .LBB6_140
.LBB6_139:                              ;   in Loop: Header=BB6_140 Depth=1
	s_or_b32 exec_lo, exec_lo, s5
	s_sub_u32 s10, s10, s16
	s_subb_u32 s11, s11, s17
	s_add_u32 s6, s6, s16
	s_addc_u32 s7, s7, s17
	s_cmp_lg_u64 s[10:11], 0
	s_cbranch_scc0 .LBB6_215
.LBB6_140:                              ; =>This Loop Header: Depth=1
                                        ;     Child Loop BB6_149 Depth 2
                                        ;     Child Loop BB6_145 Depth 2
	;; [unrolled: 1-line block ×11, first 2 shown]
	v_cmp_lt_u64_e64 s4, s[10:11], 56
	v_cmp_gt_u64_e64 s5, s[10:11], 7
                                        ; implicit-def: $sgpr22
	s_and_b32 s4, s4, exec_lo
	s_cselect_b32 s17, s11, 0
	s_cselect_b32 s16, s10, 56
	s_and_b32 vcc_lo, exec_lo, s5
	s_mov_b32 s4, -1
	s_cbranch_vccz .LBB6_147
; %bb.141:                              ;   in Loop: Header=BB6_140 Depth=1
	s_andn2_b32 vcc_lo, exec_lo, s4
	s_mov_b64 s[4:5], s[6:7]
	s_cbranch_vccz .LBB6_151
.LBB6_142:                              ;   in Loop: Header=BB6_140 Depth=1
	s_cmp_gt_u32 s22, 7
	s_cbranch_scc1 .LBB6_152
.LBB6_143:                              ;   in Loop: Header=BB6_140 Depth=1
	v_mov_b32_e32 v10, 0
	v_mov_b32_e32 v11, 0
	s_cmp_eq_u32 s22, 0
	s_cbranch_scc1 .LBB6_146
; %bb.144:                              ;   in Loop: Header=BB6_140 Depth=1
	s_mov_b64 s[18:19], 0
	s_mov_b64 s[20:21], 0
.LBB6_145:                              ;   Parent Loop BB6_140 Depth=1
                                        ; =>  This Inner Loop Header: Depth=2
	s_add_u32 s24, s4, s20
	s_addc_u32 s25, s5, s21
	s_add_u32 s20, s20, 1
	global_load_ubyte v2, v3, s[24:25]
	s_addc_u32 s21, s21, 0
	s_waitcnt vmcnt(0)
	v_and_b32_e32 v2, 0xffff, v2
	v_lshlrev_b64 v[12:13], s18, v[2:3]
	s_add_u32 s18, s18, 8
	s_addc_u32 s19, s19, 0
	s_cmp_lg_u32 s22, s20
	v_or_b32_e32 v10, v12, v10
	v_or_b32_e32 v11, v13, v11
	s_cbranch_scc1 .LBB6_145
.LBB6_146:                              ;   in Loop: Header=BB6_140 Depth=1
	s_mov_b32 s23, 0
	s_cbranch_execz .LBB6_153
	s_branch .LBB6_154
.LBB6_147:                              ;   in Loop: Header=BB6_140 Depth=1
	s_waitcnt vmcnt(0)
	v_mov_b32_e32 v8, 0
	v_mov_b32_e32 v9, 0
	s_cmp_eq_u64 s[10:11], 0
	s_mov_b64 s[4:5], 0
	s_cbranch_scc1 .LBB6_150
; %bb.148:                              ;   in Loop: Header=BB6_140 Depth=1
	v_mov_b32_e32 v8, 0
	v_mov_b32_e32 v9, 0
	s_lshl_b64 s[18:19], s[16:17], 3
	s_mov_b64 s[20:21], s[6:7]
.LBB6_149:                              ;   Parent Loop BB6_140 Depth=1
                                        ; =>  This Inner Loop Header: Depth=2
	global_load_ubyte v2, v3, s[20:21]
	s_waitcnt vmcnt(0)
	v_and_b32_e32 v2, 0xffff, v2
	v_lshlrev_b64 v[10:11], s4, v[2:3]
	s_add_u32 s4, s4, 8
	s_addc_u32 s5, s5, 0
	s_add_u32 s20, s20, 1
	s_addc_u32 s21, s21, 0
	s_cmp_lg_u32 s18, s4
	v_or_b32_e32 v8, v10, v8
	v_or_b32_e32 v9, v11, v9
	s_cbranch_scc1 .LBB6_149
.LBB6_150:                              ;   in Loop: Header=BB6_140 Depth=1
	s_mov_b32 s22, 0
	s_mov_b64 s[4:5], s[6:7]
	s_cbranch_execnz .LBB6_142
.LBB6_151:                              ;   in Loop: Header=BB6_140 Depth=1
	global_load_dwordx2 v[8:9], v3, s[6:7]
	s_add_i32 s22, s16, -8
	s_add_u32 s4, s6, 8
	s_addc_u32 s5, s7, 0
	s_cmp_gt_u32 s22, 7
	s_cbranch_scc0 .LBB6_143
.LBB6_152:                              ;   in Loop: Header=BB6_140 Depth=1
                                        ; implicit-def: $vgpr10_vgpr11
                                        ; implicit-def: $sgpr23
.LBB6_153:                              ;   in Loop: Header=BB6_140 Depth=1
	global_load_dwordx2 v[10:11], v3, s[4:5]
	s_add_i32 s23, s22, -8
	s_add_u32 s4, s4, 8
	s_addc_u32 s5, s5, 0
.LBB6_154:                              ;   in Loop: Header=BB6_140 Depth=1
	s_cmp_gt_u32 s23, 7
	s_cbranch_scc1 .LBB6_159
; %bb.155:                              ;   in Loop: Header=BB6_140 Depth=1
	v_mov_b32_e32 v12, 0
	v_mov_b32_e32 v13, 0
	s_cmp_eq_u32 s23, 0
	s_cbranch_scc1 .LBB6_158
; %bb.156:                              ;   in Loop: Header=BB6_140 Depth=1
	s_mov_b64 s[18:19], 0
	s_mov_b64 s[20:21], 0
.LBB6_157:                              ;   Parent Loop BB6_140 Depth=1
                                        ; =>  This Inner Loop Header: Depth=2
	s_add_u32 s24, s4, s20
	s_addc_u32 s25, s5, s21
	s_add_u32 s20, s20, 1
	global_load_ubyte v2, v3, s[24:25]
	s_addc_u32 s21, s21, 0
	s_waitcnt vmcnt(0)
	v_and_b32_e32 v2, 0xffff, v2
	v_lshlrev_b64 v[14:15], s18, v[2:3]
	s_add_u32 s18, s18, 8
	s_addc_u32 s19, s19, 0
	s_cmp_lg_u32 s23, s20
	v_or_b32_e32 v12, v14, v12
	v_or_b32_e32 v13, v15, v13
	s_cbranch_scc1 .LBB6_157
.LBB6_158:                              ;   in Loop: Header=BB6_140 Depth=1
	s_mov_b32 s22, 0
	s_cbranch_execz .LBB6_160
	s_branch .LBB6_161
.LBB6_159:                              ;   in Loop: Header=BB6_140 Depth=1
                                        ; implicit-def: $sgpr22
.LBB6_160:                              ;   in Loop: Header=BB6_140 Depth=1
	global_load_dwordx2 v[12:13], v3, s[4:5]
	s_add_i32 s22, s23, -8
	s_add_u32 s4, s4, 8
	s_addc_u32 s5, s5, 0
.LBB6_161:                              ;   in Loop: Header=BB6_140 Depth=1
	s_cmp_gt_u32 s22, 7
	s_cbranch_scc1 .LBB6_166
; %bb.162:                              ;   in Loop: Header=BB6_140 Depth=1
	v_mov_b32_e32 v14, 0
	v_mov_b32_e32 v15, 0
	s_cmp_eq_u32 s22, 0
	s_cbranch_scc1 .LBB6_165
; %bb.163:                              ;   in Loop: Header=BB6_140 Depth=1
	s_mov_b64 s[18:19], 0
	s_mov_b64 s[20:21], 0
.LBB6_164:                              ;   Parent Loop BB6_140 Depth=1
                                        ; =>  This Inner Loop Header: Depth=2
	s_add_u32 s24, s4, s20
	s_addc_u32 s25, s5, s21
	s_add_u32 s20, s20, 1
	global_load_ubyte v2, v3, s[24:25]
	s_addc_u32 s21, s21, 0
	s_waitcnt vmcnt(0)
	v_and_b32_e32 v2, 0xffff, v2
	v_lshlrev_b64 v[16:17], s18, v[2:3]
	s_add_u32 s18, s18, 8
	s_addc_u32 s19, s19, 0
	s_cmp_lg_u32 s22, s20
	v_or_b32_e32 v14, v16, v14
	v_or_b32_e32 v15, v17, v15
	s_cbranch_scc1 .LBB6_164
.LBB6_165:                              ;   in Loop: Header=BB6_140 Depth=1
	s_mov_b32 s23, 0
	s_cbranch_execz .LBB6_167
	s_branch .LBB6_168
.LBB6_166:                              ;   in Loop: Header=BB6_140 Depth=1
                                        ; implicit-def: $vgpr14_vgpr15
                                        ; implicit-def: $sgpr23
.LBB6_167:                              ;   in Loop: Header=BB6_140 Depth=1
	global_load_dwordx2 v[14:15], v3, s[4:5]
	s_add_i32 s23, s22, -8
	s_add_u32 s4, s4, 8
	s_addc_u32 s5, s5, 0
.LBB6_168:                              ;   in Loop: Header=BB6_140 Depth=1
	s_cmp_gt_u32 s23, 7
	s_cbranch_scc1 .LBB6_173
; %bb.169:                              ;   in Loop: Header=BB6_140 Depth=1
	v_mov_b32_e32 v16, 0
	v_mov_b32_e32 v17, 0
	s_cmp_eq_u32 s23, 0
	s_cbranch_scc1 .LBB6_172
; %bb.170:                              ;   in Loop: Header=BB6_140 Depth=1
	s_mov_b64 s[18:19], 0
	s_mov_b64 s[20:21], 0
.LBB6_171:                              ;   Parent Loop BB6_140 Depth=1
                                        ; =>  This Inner Loop Header: Depth=2
	s_add_u32 s24, s4, s20
	s_addc_u32 s25, s5, s21
	s_add_u32 s20, s20, 1
	global_load_ubyte v2, v3, s[24:25]
	s_addc_u32 s21, s21, 0
	s_waitcnt vmcnt(0)
	v_and_b32_e32 v2, 0xffff, v2
	v_lshlrev_b64 v[18:19], s18, v[2:3]
	s_add_u32 s18, s18, 8
	s_addc_u32 s19, s19, 0
	s_cmp_lg_u32 s23, s20
	v_or_b32_e32 v16, v18, v16
	v_or_b32_e32 v17, v19, v17
	s_cbranch_scc1 .LBB6_171
.LBB6_172:                              ;   in Loop: Header=BB6_140 Depth=1
	s_mov_b32 s22, 0
	s_cbranch_execz .LBB6_174
	s_branch .LBB6_175
.LBB6_173:                              ;   in Loop: Header=BB6_140 Depth=1
                                        ; implicit-def: $sgpr22
.LBB6_174:                              ;   in Loop: Header=BB6_140 Depth=1
	global_load_dwordx2 v[16:17], v3, s[4:5]
	s_add_i32 s22, s23, -8
	s_add_u32 s4, s4, 8
	s_addc_u32 s5, s5, 0
.LBB6_175:                              ;   in Loop: Header=BB6_140 Depth=1
	s_cmp_gt_u32 s22, 7
	s_cbranch_scc1 .LBB6_180
; %bb.176:                              ;   in Loop: Header=BB6_140 Depth=1
	v_mov_b32_e32 v18, 0
	v_mov_b32_e32 v19, 0
	s_cmp_eq_u32 s22, 0
	s_cbranch_scc1 .LBB6_179
; %bb.177:                              ;   in Loop: Header=BB6_140 Depth=1
	s_mov_b64 s[18:19], 0
	s_mov_b64 s[20:21], 0
.LBB6_178:                              ;   Parent Loop BB6_140 Depth=1
                                        ; =>  This Inner Loop Header: Depth=2
	s_add_u32 s24, s4, s20
	s_addc_u32 s25, s5, s21
	s_add_u32 s20, s20, 1
	global_load_ubyte v2, v3, s[24:25]
	s_addc_u32 s21, s21, 0
	s_waitcnt vmcnt(0)
	v_and_b32_e32 v2, 0xffff, v2
	v_lshlrev_b64 v[20:21], s18, v[2:3]
	s_add_u32 s18, s18, 8
	s_addc_u32 s19, s19, 0
	s_cmp_lg_u32 s22, s20
	v_or_b32_e32 v18, v20, v18
	v_or_b32_e32 v19, v21, v19
	s_cbranch_scc1 .LBB6_178
.LBB6_179:                              ;   in Loop: Header=BB6_140 Depth=1
	s_mov_b32 s23, 0
	s_cbranch_execz .LBB6_181
	s_branch .LBB6_182
.LBB6_180:                              ;   in Loop: Header=BB6_140 Depth=1
                                        ; implicit-def: $vgpr18_vgpr19
                                        ; implicit-def: $sgpr23
.LBB6_181:                              ;   in Loop: Header=BB6_140 Depth=1
	global_load_dwordx2 v[18:19], v3, s[4:5]
	s_add_i32 s23, s22, -8
	s_add_u32 s4, s4, 8
	s_addc_u32 s5, s5, 0
.LBB6_182:                              ;   in Loop: Header=BB6_140 Depth=1
	s_cmp_gt_u32 s23, 7
	s_cbranch_scc1 .LBB6_187
; %bb.183:                              ;   in Loop: Header=BB6_140 Depth=1
	v_mov_b32_e32 v20, 0
	v_mov_b32_e32 v21, 0
	s_cmp_eq_u32 s23, 0
	s_cbranch_scc1 .LBB6_186
; %bb.184:                              ;   in Loop: Header=BB6_140 Depth=1
	s_mov_b64 s[18:19], 0
	s_mov_b64 s[20:21], s[4:5]
.LBB6_185:                              ;   Parent Loop BB6_140 Depth=1
                                        ; =>  This Inner Loop Header: Depth=2
	global_load_ubyte v2, v3, s[20:21]
	s_add_i32 s23, s23, -1
	s_waitcnt vmcnt(0)
	v_and_b32_e32 v2, 0xffff, v2
	v_lshlrev_b64 v[22:23], s18, v[2:3]
	s_add_u32 s18, s18, 8
	s_addc_u32 s19, s19, 0
	s_add_u32 s20, s20, 1
	s_addc_u32 s21, s21, 0
	s_cmp_lg_u32 s23, 0
	v_or_b32_e32 v20, v22, v20
	v_or_b32_e32 v21, v23, v21
	s_cbranch_scc1 .LBB6_185
.LBB6_186:                              ;   in Loop: Header=BB6_140 Depth=1
	s_cbranch_execz .LBB6_188
	s_branch .LBB6_189
.LBB6_187:                              ;   in Loop: Header=BB6_140 Depth=1
.LBB6_188:                              ;   in Loop: Header=BB6_140 Depth=1
	global_load_dwordx2 v[20:21], v3, s[4:5]
.LBB6_189:                              ;   in Loop: Header=BB6_140 Depth=1
	v_readfirstlane_b32 s4, v49
	v_mov_b32_e32 v26, 0
	v_mov_b32_e32 v27, 0
	v_cmp_eq_u32_e64 s4, s4, v49
	s_and_saveexec_b32 s5, s4
	s_cbranch_execz .LBB6_195
; %bb.190:                              ;   in Loop: Header=BB6_140 Depth=1
	global_load_dwordx2 v[24:25], v3, s[26:27] offset:24 glc dlc
	s_waitcnt vmcnt(0)
	buffer_gl1_inv
	buffer_gl0_inv
	s_clause 0x1
	global_load_dwordx2 v[22:23], v3, s[26:27] offset:40
	global_load_dwordx2 v[26:27], v3, s[26:27]
	s_mov_b32 s18, exec_lo
	s_waitcnt vmcnt(1)
	v_and_b32_e32 v2, v23, v25
	v_and_b32_e32 v22, v22, v24
	v_mul_lo_u32 v2, v2, 24
	v_mul_hi_u32 v23, v22, 24
	v_mul_lo_u32 v22, v22, 24
	v_add_nc_u32_e32 v2, v23, v2
	s_waitcnt vmcnt(0)
	v_add_co_u32 v22, vcc_lo, v26, v22
	v_add_co_ci_u32_e32 v23, vcc_lo, v27, v2, vcc_lo
	global_load_dwordx2 v[22:23], v[22:23], off glc dlc
	s_waitcnt vmcnt(0)
	global_atomic_cmpswap_x2 v[26:27], v3, v[22:25], s[26:27] offset:24 glc
	s_waitcnt vmcnt(0)
	buffer_gl1_inv
	buffer_gl0_inv
	v_cmpx_ne_u64_e64 v[26:27], v[24:25]
	s_cbranch_execz .LBB6_194
; %bb.191:                              ;   in Loop: Header=BB6_140 Depth=1
	s_mov_b32 s19, 0
	.p2align	6
.LBB6_192:                              ;   Parent Loop BB6_140 Depth=1
                                        ; =>  This Inner Loop Header: Depth=2
	s_sleep 1
	s_clause 0x1
	global_load_dwordx2 v[22:23], v3, s[26:27] offset:40
	global_load_dwordx2 v[28:29], v3, s[26:27]
	v_mov_b32_e32 v24, v26
	v_mov_b32_e32 v25, v27
	s_waitcnt vmcnt(1)
	v_and_b32_e32 v2, v22, v24
	v_and_b32_e32 v22, v23, v25
	s_waitcnt vmcnt(0)
	v_mad_u64_u32 v[26:27], null, v2, 24, v[28:29]
	v_mov_b32_e32 v2, v27
	v_mad_u64_u32 v[22:23], null, v22, 24, v[2:3]
	v_mov_b32_e32 v27, v22
	global_load_dwordx2 v[22:23], v[26:27], off glc dlc
	s_waitcnt vmcnt(0)
	global_atomic_cmpswap_x2 v[26:27], v3, v[22:25], s[26:27] offset:24 glc
	s_waitcnt vmcnt(0)
	buffer_gl1_inv
	buffer_gl0_inv
	v_cmp_eq_u64_e32 vcc_lo, v[26:27], v[24:25]
	s_or_b32 s19, vcc_lo, s19
	s_andn2_b32 exec_lo, exec_lo, s19
	s_cbranch_execnz .LBB6_192
; %bb.193:                              ;   in Loop: Header=BB6_140 Depth=1
	s_or_b32 exec_lo, exec_lo, s19
.LBB6_194:                              ;   in Loop: Header=BB6_140 Depth=1
	s_or_b32 exec_lo, exec_lo, s18
.LBB6_195:                              ;   in Loop: Header=BB6_140 Depth=1
	s_or_b32 exec_lo, exec_lo, s5
	s_clause 0x1
	global_load_dwordx2 v[28:29], v3, s[26:27] offset:40
	global_load_dwordx4 v[22:25], v3, s[26:27]
	v_readfirstlane_b32 s18, v26
	v_readfirstlane_b32 s19, v27
	s_mov_b32 s5, exec_lo
	s_waitcnt vmcnt(1)
	v_readfirstlane_b32 s20, v28
	v_readfirstlane_b32 s21, v29
	s_and_b64 s[20:21], s[18:19], s[20:21]
	s_mul_i32 s22, s21, 24
	s_mul_hi_u32 s23, s20, 24
	s_mul_i32 s24, s20, 24
	s_add_i32 s23, s23, s22
	s_waitcnt vmcnt(0)
	v_add_co_u32 v26, vcc_lo, v22, s24
	v_add_co_ci_u32_e32 v27, vcc_lo, s23, v23, vcc_lo
	s_and_saveexec_b32 s22, s4
	s_cbranch_execz .LBB6_197
; %bb.196:                              ;   in Loop: Header=BB6_140 Depth=1
	v_mov_b32_e32 v2, s5
	global_store_dwordx4 v[26:27], v[2:5], off offset:8
.LBB6_197:                              ;   in Loop: Header=BB6_140 Depth=1
	s_or_b32 exec_lo, exec_lo, s22
	s_lshl_b64 s[20:21], s[20:21], 12
	v_or_b32_e32 v2, 2, v6
	v_add_co_u32 v24, vcc_lo, v24, s20
	v_add_co_ci_u32_e32 v25, vcc_lo, s21, v25, vcc_lo
	v_cmp_gt_u64_e64 vcc_lo, s[10:11], 56
	s_lshl_b32 s5, s16, 2
	v_readfirstlane_b32 s20, v24
	s_add_i32 s5, s5, 28
	v_readfirstlane_b32 s21, v25
	s_and_b32 s5, s5, 0x1e0
	v_cndmask_b32_e32 v2, v2, v6, vcc_lo
	v_and_or_b32 v6, 0xffffff1f, v2, s5
	global_store_dwordx4 v48, v[10:13], s[20:21] offset:16
	global_store_dwordx4 v48, v[6:9], s[20:21]
	global_store_dwordx4 v48, v[14:17], s[20:21] offset:32
	global_store_dwordx4 v48, v[18:21], s[20:21] offset:48
	s_and_saveexec_b32 s5, s4
	s_cbranch_execz .LBB6_205
; %bb.198:                              ;   in Loop: Header=BB6_140 Depth=1
	s_clause 0x1
	global_load_dwordx2 v[14:15], v3, s[26:27] offset:32 glc dlc
	global_load_dwordx2 v[6:7], v3, s[26:27] offset:40
	v_mov_b32_e32 v12, s18
	v_mov_b32_e32 v13, s19
	s_waitcnt vmcnt(0)
	v_readfirstlane_b32 s20, v6
	v_readfirstlane_b32 s21, v7
	s_and_b64 s[20:21], s[20:21], s[18:19]
	s_mul_i32 s21, s21, 24
	s_mul_hi_u32 s22, s20, 24
	s_mul_i32 s20, s20, 24
	s_add_i32 s22, s22, s21
	v_add_co_u32 v10, vcc_lo, v22, s20
	v_add_co_ci_u32_e32 v11, vcc_lo, s22, v23, vcc_lo
	s_mov_b32 s20, exec_lo
	global_store_dwordx2 v[10:11], v[14:15], off
	s_waitcnt_vscnt null, 0x0
	global_atomic_cmpswap_x2 v[8:9], v3, v[12:15], s[26:27] offset:32 glc
	s_waitcnt vmcnt(0)
	v_cmpx_ne_u64_e64 v[8:9], v[14:15]
	s_cbranch_execz .LBB6_201
; %bb.199:                              ;   in Loop: Header=BB6_140 Depth=1
	s_mov_b32 s21, 0
.LBB6_200:                              ;   Parent Loop BB6_140 Depth=1
                                        ; =>  This Inner Loop Header: Depth=2
	v_mov_b32_e32 v6, s18
	v_mov_b32_e32 v7, s19
	s_sleep 1
	global_store_dwordx2 v[10:11], v[8:9], off
	s_waitcnt_vscnt null, 0x0
	global_atomic_cmpswap_x2 v[6:7], v3, v[6:9], s[26:27] offset:32 glc
	s_waitcnt vmcnt(0)
	v_cmp_eq_u64_e32 vcc_lo, v[6:7], v[8:9]
	v_mov_b32_e32 v9, v7
	v_mov_b32_e32 v8, v6
	s_or_b32 s21, vcc_lo, s21
	s_andn2_b32 exec_lo, exec_lo, s21
	s_cbranch_execnz .LBB6_200
.LBB6_201:                              ;   in Loop: Header=BB6_140 Depth=1
	s_or_b32 exec_lo, exec_lo, s20
	global_load_dwordx2 v[6:7], v3, s[26:27] offset:16
	s_mov_b32 s21, exec_lo
	s_mov_b32 s20, exec_lo
	v_mbcnt_lo_u32_b32 v2, s21, 0
	v_cmpx_eq_u32_e32 0, v2
	s_cbranch_execz .LBB6_203
; %bb.202:                              ;   in Loop: Header=BB6_140 Depth=1
	s_bcnt1_i32_b32 s21, s21
	v_mov_b32_e32 v2, s21
	s_waitcnt vmcnt(0)
	global_atomic_add_x2 v[6:7], v[2:3], off offset:8
.LBB6_203:                              ;   in Loop: Header=BB6_140 Depth=1
	s_or_b32 exec_lo, exec_lo, s20
	s_waitcnt vmcnt(0)
	global_load_dwordx2 v[8:9], v[6:7], off offset:16
	s_waitcnt vmcnt(0)
	v_cmp_eq_u64_e32 vcc_lo, 0, v[8:9]
	s_cbranch_vccnz .LBB6_205
; %bb.204:                              ;   in Loop: Header=BB6_140 Depth=1
	global_load_dword v2, v[6:7], off offset:24
	s_waitcnt vmcnt(0)
	v_and_b32_e32 v6, 0x7fffff, v2
	s_waitcnt_vscnt null, 0x0
	global_store_dwordx2 v[8:9], v[2:3], off
	v_readfirstlane_b32 m0, v6
	s_sendmsg sendmsg(MSG_INTERRUPT)
.LBB6_205:                              ;   in Loop: Header=BB6_140 Depth=1
	s_or_b32 exec_lo, exec_lo, s5
	v_add_co_u32 v6, vcc_lo, v24, v48
	v_add_co_ci_u32_e32 v7, vcc_lo, 0, v25, vcc_lo
	s_branch .LBB6_209
	.p2align	6
.LBB6_206:                              ;   in Loop: Header=BB6_209 Depth=2
	s_or_b32 exec_lo, exec_lo, s5
	v_readfirstlane_b32 s5, v2
	s_cmp_eq_u32 s5, 0
	s_cbranch_scc1 .LBB6_208
; %bb.207:                              ;   in Loop: Header=BB6_209 Depth=2
	s_sleep 1
	s_cbranch_execnz .LBB6_209
	s_branch .LBB6_211
	.p2align	6
.LBB6_208:                              ;   in Loop: Header=BB6_140 Depth=1
	s_branch .LBB6_211
.LBB6_209:                              ;   Parent Loop BB6_140 Depth=1
                                        ; =>  This Inner Loop Header: Depth=2
	v_mov_b32_e32 v2, 1
	s_and_saveexec_b32 s5, s4
	s_cbranch_execz .LBB6_206
; %bb.210:                              ;   in Loop: Header=BB6_209 Depth=2
	global_load_dword v2, v[26:27], off offset:20 glc dlc
	s_waitcnt vmcnt(0)
	buffer_gl1_inv
	buffer_gl0_inv
	v_and_b32_e32 v2, 1, v2
	s_branch .LBB6_206
.LBB6_211:                              ;   in Loop: Header=BB6_140 Depth=1
	global_load_dwordx4 v[6:9], v[6:7], off
	s_and_saveexec_b32 s5, s4
	s_cbranch_execz .LBB6_139
; %bb.212:                              ;   in Loop: Header=BB6_140 Depth=1
	s_clause 0x2
	global_load_dwordx2 v[10:11], v3, s[26:27] offset:40
	global_load_dwordx2 v[14:15], v3, s[26:27] offset:24 glc dlc
	global_load_dwordx2 v[12:13], v3, s[26:27]
	s_waitcnt vmcnt(2)
	v_add_co_u32 v2, vcc_lo, v10, 1
	v_add_co_ci_u32_e32 v16, vcc_lo, 0, v11, vcc_lo
	v_add_co_u32 v8, vcc_lo, v2, s18
	v_add_co_ci_u32_e32 v9, vcc_lo, s19, v16, vcc_lo
	v_cmp_eq_u64_e32 vcc_lo, 0, v[8:9]
	v_cndmask_b32_e32 v9, v9, v16, vcc_lo
	v_cndmask_b32_e32 v8, v8, v2, vcc_lo
	v_and_b32_e32 v2, v9, v11
	v_and_b32_e32 v10, v8, v10
	v_mul_lo_u32 v2, v2, 24
	v_mul_hi_u32 v11, v10, 24
	v_mul_lo_u32 v10, v10, 24
	v_add_nc_u32_e32 v2, v11, v2
	s_waitcnt vmcnt(0)
	v_add_co_u32 v12, vcc_lo, v12, v10
	v_mov_b32_e32 v10, v14
	v_mov_b32_e32 v11, v15
	v_add_co_ci_u32_e32 v13, vcc_lo, v13, v2, vcc_lo
	global_store_dwordx2 v[12:13], v[14:15], off
	s_waitcnt_vscnt null, 0x0
	global_atomic_cmpswap_x2 v[10:11], v3, v[8:11], s[26:27] offset:24 glc
	s_waitcnt vmcnt(0)
	v_cmp_ne_u64_e32 vcc_lo, v[10:11], v[14:15]
	s_and_b32 exec_lo, exec_lo, vcc_lo
	s_cbranch_execz .LBB6_139
; %bb.213:                              ;   in Loop: Header=BB6_140 Depth=1
	s_mov_b32 s4, 0
.LBB6_214:                              ;   Parent Loop BB6_140 Depth=1
                                        ; =>  This Inner Loop Header: Depth=2
	s_sleep 1
	global_store_dwordx2 v[12:13], v[10:11], off
	s_waitcnt_vscnt null, 0x0
	global_atomic_cmpswap_x2 v[14:15], v3, v[8:11], s[26:27] offset:24 glc
	s_waitcnt vmcnt(0)
	v_cmp_eq_u64_e32 vcc_lo, v[14:15], v[10:11]
	v_mov_b32_e32 v10, v14
	v_mov_b32_e32 v11, v15
	s_or_b32 s4, vcc_lo, s4
	s_andn2_b32 exec_lo, exec_lo, s4
	s_cbranch_execnz .LBB6_214
	s_branch .LBB6_139
.LBB6_215:
	s_branch .LBB6_244
.LBB6_216:
	s_cbranch_execz .LBB6_244
; %bb.217:
	v_readfirstlane_b32 s4, v49
	s_waitcnt vmcnt(0)
	v_mov_b32_e32 v8, 0
	v_mov_b32_e32 v9, 0
	v_cmp_eq_u32_e64 s4, s4, v49
	s_and_saveexec_b32 s5, s4
	s_cbranch_execz .LBB6_223
; %bb.218:
	v_mov_b32_e32 v2, 0
	s_mov_b32 s6, exec_lo
	global_load_dwordx2 v[5:6], v2, s[26:27] offset:24 glc dlc
	s_waitcnt vmcnt(0)
	buffer_gl1_inv
	buffer_gl0_inv
	s_clause 0x1
	global_load_dwordx2 v[3:4], v2, s[26:27] offset:40
	global_load_dwordx2 v[7:8], v2, s[26:27]
	s_waitcnt vmcnt(1)
	v_and_b32_e32 v4, v4, v6
	v_and_b32_e32 v3, v3, v5
	v_mul_lo_u32 v4, v4, 24
	v_mul_hi_u32 v9, v3, 24
	v_mul_lo_u32 v3, v3, 24
	v_add_nc_u32_e32 v4, v9, v4
	s_waitcnt vmcnt(0)
	v_add_co_u32 v3, vcc_lo, v7, v3
	v_add_co_ci_u32_e32 v4, vcc_lo, v8, v4, vcc_lo
	global_load_dwordx2 v[3:4], v[3:4], off glc dlc
	s_waitcnt vmcnt(0)
	global_atomic_cmpswap_x2 v[8:9], v2, v[3:6], s[26:27] offset:24 glc
	s_waitcnt vmcnt(0)
	buffer_gl1_inv
	buffer_gl0_inv
	v_cmpx_ne_u64_e64 v[8:9], v[5:6]
	s_cbranch_execz .LBB6_222
; %bb.219:
	s_mov_b32 s7, 0
	.p2align	6
.LBB6_220:                              ; =>This Inner Loop Header: Depth=1
	s_sleep 1
	s_clause 0x1
	global_load_dwordx2 v[3:4], v2, s[26:27] offset:40
	global_load_dwordx2 v[10:11], v2, s[26:27]
	v_mov_b32_e32 v5, v8
	v_mov_b32_e32 v6, v9
	s_waitcnt vmcnt(1)
	v_and_b32_e32 v3, v3, v5
	v_and_b32_e32 v4, v4, v6
	s_waitcnt vmcnt(0)
	v_mad_u64_u32 v[7:8], null, v3, 24, v[10:11]
	v_mov_b32_e32 v3, v8
	v_mad_u64_u32 v[3:4], null, v4, 24, v[3:4]
	v_mov_b32_e32 v8, v3
	global_load_dwordx2 v[3:4], v[7:8], off glc dlc
	s_waitcnt vmcnt(0)
	global_atomic_cmpswap_x2 v[8:9], v2, v[3:6], s[26:27] offset:24 glc
	s_waitcnt vmcnt(0)
	buffer_gl1_inv
	buffer_gl0_inv
	v_cmp_eq_u64_e32 vcc_lo, v[8:9], v[5:6]
	s_or_b32 s7, vcc_lo, s7
	s_andn2_b32 exec_lo, exec_lo, s7
	s_cbranch_execnz .LBB6_220
; %bb.221:
	s_or_b32 exec_lo, exec_lo, s7
.LBB6_222:
	s_or_b32 exec_lo, exec_lo, s6
.LBB6_223:
	s_or_b32 exec_lo, exec_lo, s5
	v_mov_b32_e32 v2, 0
	v_readfirstlane_b32 s6, v8
	v_readfirstlane_b32 s7, v9
	s_mov_b32 s5, exec_lo
	s_clause 0x1
	global_load_dwordx2 v[10:11], v2, s[26:27] offset:40
	global_load_dwordx4 v[4:7], v2, s[26:27]
	s_waitcnt vmcnt(1)
	v_readfirstlane_b32 s10, v10
	v_readfirstlane_b32 s11, v11
	s_and_b64 s[10:11], s[6:7], s[10:11]
	s_mul_i32 s16, s11, 24
	s_mul_hi_u32 s17, s10, 24
	s_mul_i32 s18, s10, 24
	s_add_i32 s17, s17, s16
	s_waitcnt vmcnt(0)
	v_add_co_u32 v8, vcc_lo, v4, s18
	v_add_co_ci_u32_e32 v9, vcc_lo, s17, v5, vcc_lo
	s_and_saveexec_b32 s16, s4
	s_cbranch_execz .LBB6_225
; %bb.224:
	v_mov_b32_e32 v10, s5
	v_mov_b32_e32 v11, v2
	;; [unrolled: 1-line block ×4, first 2 shown]
	global_store_dwordx4 v[8:9], v[10:13], off offset:8
.LBB6_225:
	s_or_b32 exec_lo, exec_lo, s16
	s_lshl_b64 s[10:11], s[10:11], 12
	s_mov_b32 s16, 0
	v_add_co_u32 v6, vcc_lo, v6, s10
	v_add_co_ci_u32_e32 v7, vcc_lo, s11, v7, vcc_lo
	s_mov_b32 s17, s16
	s_mov_b32 s18, s16
	;; [unrolled: 1-line block ×3, first 2 shown]
	v_and_or_b32 v0, 0xffffff1d, v0, 34
	v_mov_b32_e32 v3, v2
	v_readfirstlane_b32 s10, v6
	v_readfirstlane_b32 s11, v7
	v_mov_b32_e32 v10, s16
	v_mov_b32_e32 v11, s17
	;; [unrolled: 1-line block ×4, first 2 shown]
	global_store_dwordx4 v48, v[0:3], s[10:11]
	global_store_dwordx4 v48, v[10:13], s[10:11] offset:16
	global_store_dwordx4 v48, v[10:13], s[10:11] offset:32
	;; [unrolled: 1-line block ×3, first 2 shown]
	s_and_saveexec_b32 s5, s4
	s_cbranch_execz .LBB6_233
; %bb.226:
	v_mov_b32_e32 v6, 0
	v_mov_b32_e32 v10, s6
	;; [unrolled: 1-line block ×3, first 2 shown]
	s_clause 0x1
	global_load_dwordx2 v[12:13], v6, s[26:27] offset:32 glc dlc
	global_load_dwordx2 v[0:1], v6, s[26:27] offset:40
	s_waitcnt vmcnt(0)
	v_readfirstlane_b32 s10, v0
	v_readfirstlane_b32 s11, v1
	s_and_b64 s[10:11], s[10:11], s[6:7]
	s_mul_i32 s11, s11, 24
	s_mul_hi_u32 s16, s10, 24
	s_mul_i32 s10, s10, 24
	s_add_i32 s16, s16, s11
	v_add_co_u32 v4, vcc_lo, v4, s10
	v_add_co_ci_u32_e32 v5, vcc_lo, s16, v5, vcc_lo
	s_mov_b32 s10, exec_lo
	global_store_dwordx2 v[4:5], v[12:13], off
	s_waitcnt_vscnt null, 0x0
	global_atomic_cmpswap_x2 v[2:3], v6, v[10:13], s[26:27] offset:32 glc
	s_waitcnt vmcnt(0)
	v_cmpx_ne_u64_e64 v[2:3], v[12:13]
	s_cbranch_execz .LBB6_229
; %bb.227:
	s_mov_b32 s11, 0
.LBB6_228:                              ; =>This Inner Loop Header: Depth=1
	v_mov_b32_e32 v0, s6
	v_mov_b32_e32 v1, s7
	s_sleep 1
	global_store_dwordx2 v[4:5], v[2:3], off
	s_waitcnt_vscnt null, 0x0
	global_atomic_cmpswap_x2 v[0:1], v6, v[0:3], s[26:27] offset:32 glc
	s_waitcnt vmcnt(0)
	v_cmp_eq_u64_e32 vcc_lo, v[0:1], v[2:3]
	v_mov_b32_e32 v3, v1
	v_mov_b32_e32 v2, v0
	s_or_b32 s11, vcc_lo, s11
	s_andn2_b32 exec_lo, exec_lo, s11
	s_cbranch_execnz .LBB6_228
.LBB6_229:
	s_or_b32 exec_lo, exec_lo, s10
	v_mov_b32_e32 v3, 0
	s_mov_b32 s11, exec_lo
	s_mov_b32 s10, exec_lo
	v_mbcnt_lo_u32_b32 v2, s11, 0
	global_load_dwordx2 v[0:1], v3, s[26:27] offset:16
	v_cmpx_eq_u32_e32 0, v2
	s_cbranch_execz .LBB6_231
; %bb.230:
	s_bcnt1_i32_b32 s11, s11
	v_mov_b32_e32 v2, s11
	s_waitcnt vmcnt(0)
	global_atomic_add_x2 v[0:1], v[2:3], off offset:8
.LBB6_231:
	s_or_b32 exec_lo, exec_lo, s10
	s_waitcnt vmcnt(0)
	global_load_dwordx2 v[2:3], v[0:1], off offset:16
	s_waitcnt vmcnt(0)
	v_cmp_eq_u64_e32 vcc_lo, 0, v[2:3]
	s_cbranch_vccnz .LBB6_233
; %bb.232:
	global_load_dword v0, v[0:1], off offset:24
	v_mov_b32_e32 v1, 0
	s_waitcnt vmcnt(0)
	v_and_b32_e32 v4, 0x7fffff, v0
	s_waitcnt_vscnt null, 0x0
	global_store_dwordx2 v[2:3], v[0:1], off
	v_readfirstlane_b32 m0, v4
	s_sendmsg sendmsg(MSG_INTERRUPT)
.LBB6_233:
	s_or_b32 exec_lo, exec_lo, s5
	s_branch .LBB6_237
	.p2align	6
.LBB6_234:                              ;   in Loop: Header=BB6_237 Depth=1
	s_or_b32 exec_lo, exec_lo, s5
	v_readfirstlane_b32 s5, v0
	s_cmp_eq_u32 s5, 0
	s_cbranch_scc1 .LBB6_236
; %bb.235:                              ;   in Loop: Header=BB6_237 Depth=1
	s_sleep 1
	s_cbranch_execnz .LBB6_237
	s_branch .LBB6_239
	.p2align	6
.LBB6_236:
	s_branch .LBB6_239
.LBB6_237:                              ; =>This Inner Loop Header: Depth=1
	v_mov_b32_e32 v0, 1
	s_and_saveexec_b32 s5, s4
	s_cbranch_execz .LBB6_234
; %bb.238:                              ;   in Loop: Header=BB6_237 Depth=1
	global_load_dword v0, v[8:9], off offset:20 glc dlc
	s_waitcnt vmcnt(0)
	buffer_gl1_inv
	buffer_gl0_inv
	v_and_b32_e32 v0, 1, v0
	s_branch .LBB6_234
.LBB6_239:
	s_and_saveexec_b32 s5, s4
	s_cbranch_execz .LBB6_243
; %bb.240:
	v_mov_b32_e32 v6, 0
	s_clause 0x2
	global_load_dwordx2 v[2:3], v6, s[26:27] offset:40
	global_load_dwordx2 v[7:8], v6, s[26:27] offset:24 glc dlc
	global_load_dwordx2 v[4:5], v6, s[26:27]
	s_waitcnt vmcnt(2)
	v_add_co_u32 v9, vcc_lo, v2, 1
	v_add_co_ci_u32_e32 v10, vcc_lo, 0, v3, vcc_lo
	v_add_co_u32 v0, vcc_lo, v9, s6
	v_add_co_ci_u32_e32 v1, vcc_lo, s7, v10, vcc_lo
	v_cmp_eq_u64_e32 vcc_lo, 0, v[0:1]
	v_cndmask_b32_e32 v1, v1, v10, vcc_lo
	v_cndmask_b32_e32 v0, v0, v9, vcc_lo
	v_and_b32_e32 v3, v1, v3
	v_and_b32_e32 v2, v0, v2
	v_mul_lo_u32 v3, v3, 24
	v_mul_hi_u32 v9, v2, 24
	v_mul_lo_u32 v2, v2, 24
	v_add_nc_u32_e32 v3, v9, v3
	s_waitcnt vmcnt(0)
	v_add_co_u32 v4, vcc_lo, v4, v2
	v_mov_b32_e32 v2, v7
	v_add_co_ci_u32_e32 v5, vcc_lo, v5, v3, vcc_lo
	v_mov_b32_e32 v3, v8
	global_store_dwordx2 v[4:5], v[7:8], off
	s_waitcnt_vscnt null, 0x0
	global_atomic_cmpswap_x2 v[2:3], v6, v[0:3], s[26:27] offset:24 glc
	s_waitcnt vmcnt(0)
	v_cmp_ne_u64_e32 vcc_lo, v[2:3], v[7:8]
	s_and_b32 exec_lo, exec_lo, vcc_lo
	s_cbranch_execz .LBB6_243
; %bb.241:
	s_mov_b32 s4, 0
.LBB6_242:                              ; =>This Inner Loop Header: Depth=1
	s_sleep 1
	global_store_dwordx2 v[4:5], v[2:3], off
	s_waitcnt_vscnt null, 0x0
	global_atomic_cmpswap_x2 v[7:8], v6, v[0:3], s[26:27] offset:24 glc
	s_waitcnt vmcnt(0)
	v_cmp_eq_u64_e32 vcc_lo, v[7:8], v[2:3]
	v_mov_b32_e32 v2, v7
	v_mov_b32_e32 v3, v8
	s_or_b32 s4, vcc_lo, s4
	s_andn2_b32 exec_lo, exec_lo, s4
	s_cbranch_execnz .LBB6_242
.LBB6_243:
	s_or_b32 exec_lo, exec_lo, s5
.LBB6_244:
	v_readfirstlane_b32 s4, v49
	s_waitcnt vmcnt(0)
	v_mov_b32_e32 v6, 0
	v_mov_b32_e32 v7, 0
	v_cmp_eq_u32_e64 s4, s4, v49
	s_and_saveexec_b32 s5, s4
	s_cbranch_execz .LBB6_250
; %bb.245:
	v_mov_b32_e32 v0, 0
	s_mov_b32 s6, exec_lo
	global_load_dwordx2 v[3:4], v0, s[26:27] offset:24 glc dlc
	s_waitcnt vmcnt(0)
	buffer_gl1_inv
	buffer_gl0_inv
	s_clause 0x1
	global_load_dwordx2 v[1:2], v0, s[26:27] offset:40
	global_load_dwordx2 v[5:6], v0, s[26:27]
	s_waitcnt vmcnt(1)
	v_and_b32_e32 v2, v2, v4
	v_and_b32_e32 v1, v1, v3
	v_mul_lo_u32 v2, v2, 24
	v_mul_hi_u32 v7, v1, 24
	v_mul_lo_u32 v1, v1, 24
	v_add_nc_u32_e32 v2, v7, v2
	s_waitcnt vmcnt(0)
	v_add_co_u32 v1, vcc_lo, v5, v1
	v_add_co_ci_u32_e32 v2, vcc_lo, v6, v2, vcc_lo
	global_load_dwordx2 v[1:2], v[1:2], off glc dlc
	s_waitcnt vmcnt(0)
	global_atomic_cmpswap_x2 v[6:7], v0, v[1:4], s[26:27] offset:24 glc
	s_waitcnt vmcnt(0)
	buffer_gl1_inv
	buffer_gl0_inv
	v_cmpx_ne_u64_e64 v[6:7], v[3:4]
	s_cbranch_execz .LBB6_249
; %bb.246:
	s_mov_b32 s7, 0
	.p2align	6
.LBB6_247:                              ; =>This Inner Loop Header: Depth=1
	s_sleep 1
	s_clause 0x1
	global_load_dwordx2 v[1:2], v0, s[26:27] offset:40
	global_load_dwordx2 v[8:9], v0, s[26:27]
	v_mov_b32_e32 v3, v6
	v_mov_b32_e32 v4, v7
	s_waitcnt vmcnt(1)
	v_and_b32_e32 v1, v1, v3
	v_and_b32_e32 v2, v2, v4
	s_waitcnt vmcnt(0)
	v_mad_u64_u32 v[5:6], null, v1, 24, v[8:9]
	v_mov_b32_e32 v1, v6
	v_mad_u64_u32 v[1:2], null, v2, 24, v[1:2]
	v_mov_b32_e32 v6, v1
	global_load_dwordx2 v[1:2], v[5:6], off glc dlc
	s_waitcnt vmcnt(0)
	global_atomic_cmpswap_x2 v[6:7], v0, v[1:4], s[26:27] offset:24 glc
	s_waitcnt vmcnt(0)
	buffer_gl1_inv
	buffer_gl0_inv
	v_cmp_eq_u64_e32 vcc_lo, v[6:7], v[3:4]
	s_or_b32 s7, vcc_lo, s7
	s_andn2_b32 exec_lo, exec_lo, s7
	s_cbranch_execnz .LBB6_247
; %bb.248:
	s_or_b32 exec_lo, exec_lo, s7
.LBB6_249:
	s_or_b32 exec_lo, exec_lo, s6
.LBB6_250:
	s_or_b32 exec_lo, exec_lo, s5
	v_mov_b32_e32 v5, 0
	v_readfirstlane_b32 s6, v6
	v_readfirstlane_b32 s7, v7
	s_mov_b32 s5, exec_lo
	s_clause 0x1
	global_load_dwordx2 v[8:9], v5, s[26:27] offset:40
	global_load_dwordx4 v[0:3], v5, s[26:27]
	s_waitcnt vmcnt(1)
	v_readfirstlane_b32 s10, v8
	v_readfirstlane_b32 s11, v9
	s_and_b64 s[10:11], s[6:7], s[10:11]
	s_mul_i32 s16, s11, 24
	s_mul_hi_u32 s17, s10, 24
	s_mul_i32 s18, s10, 24
	s_add_i32 s17, s17, s16
	s_waitcnt vmcnt(0)
	v_add_co_u32 v8, vcc_lo, v0, s18
	v_add_co_ci_u32_e32 v9, vcc_lo, s17, v1, vcc_lo
	s_and_saveexec_b32 s16, s4
	s_cbranch_execz .LBB6_252
; %bb.251:
	v_mov_b32_e32 v4, s5
	v_mov_b32_e32 v6, 2
	;; [unrolled: 1-line block ×3, first 2 shown]
	global_store_dwordx4 v[8:9], v[4:7], off offset:8
.LBB6_252:
	s_or_b32 exec_lo, exec_lo, s16
	s_lshl_b64 s[10:11], s[10:11], 12
	s_mov_b32 s16, 0
	v_add_co_u32 v2, vcc_lo, v2, s10
	v_add_co_ci_u32_e32 v3, vcc_lo, s11, v3, vcc_lo
	s_mov_b32 s17, s16
	v_add_co_u32 v10, vcc_lo, v2, v48
	s_mov_b32 s18, s16
	s_mov_b32 s19, s16
	v_mov_b32_e32 v4, 33
	v_mov_b32_e32 v6, v5
	;; [unrolled: 1-line block ×3, first 2 shown]
	v_readfirstlane_b32 s10, v2
	v_readfirstlane_b32 s11, v3
	v_mov_b32_e32 v12, s16
	v_add_co_ci_u32_e32 v11, vcc_lo, 0, v3, vcc_lo
	v_mov_b32_e32 v13, s17
	v_mov_b32_e32 v14, s18
	;; [unrolled: 1-line block ×3, first 2 shown]
	global_store_dwordx4 v48, v[4:7], s[10:11]
	global_store_dwordx4 v48, v[12:15], s[10:11] offset:16
	global_store_dwordx4 v48, v[12:15], s[10:11] offset:32
	;; [unrolled: 1-line block ×3, first 2 shown]
	s_and_saveexec_b32 s5, s4
	s_cbranch_execz .LBB6_260
; %bb.253:
	v_mov_b32_e32 v6, 0
	v_mov_b32_e32 v12, s6
	;; [unrolled: 1-line block ×3, first 2 shown]
	s_clause 0x1
	global_load_dwordx2 v[14:15], v6, s[26:27] offset:32 glc dlc
	global_load_dwordx2 v[2:3], v6, s[26:27] offset:40
	s_waitcnt vmcnt(0)
	v_readfirstlane_b32 s10, v2
	v_readfirstlane_b32 s11, v3
	s_and_b64 s[10:11], s[10:11], s[6:7]
	s_mul_i32 s11, s11, 24
	s_mul_hi_u32 s16, s10, 24
	s_mul_i32 s10, s10, 24
	s_add_i32 s16, s16, s11
	v_add_co_u32 v4, vcc_lo, v0, s10
	v_add_co_ci_u32_e32 v5, vcc_lo, s16, v1, vcc_lo
	s_mov_b32 s10, exec_lo
	global_store_dwordx2 v[4:5], v[14:15], off
	s_waitcnt_vscnt null, 0x0
	global_atomic_cmpswap_x2 v[2:3], v6, v[12:15], s[26:27] offset:32 glc
	s_waitcnt vmcnt(0)
	v_cmpx_ne_u64_e64 v[2:3], v[14:15]
	s_cbranch_execz .LBB6_256
; %bb.254:
	s_mov_b32 s11, 0
.LBB6_255:                              ; =>This Inner Loop Header: Depth=1
	v_mov_b32_e32 v0, s6
	v_mov_b32_e32 v1, s7
	s_sleep 1
	global_store_dwordx2 v[4:5], v[2:3], off
	s_waitcnt_vscnt null, 0x0
	global_atomic_cmpswap_x2 v[0:1], v6, v[0:3], s[26:27] offset:32 glc
	s_waitcnt vmcnt(0)
	v_cmp_eq_u64_e32 vcc_lo, v[0:1], v[2:3]
	v_mov_b32_e32 v3, v1
	v_mov_b32_e32 v2, v0
	s_or_b32 s11, vcc_lo, s11
	s_andn2_b32 exec_lo, exec_lo, s11
	s_cbranch_execnz .LBB6_255
.LBB6_256:
	s_or_b32 exec_lo, exec_lo, s10
	v_mov_b32_e32 v3, 0
	s_mov_b32 s11, exec_lo
	s_mov_b32 s10, exec_lo
	v_mbcnt_lo_u32_b32 v2, s11, 0
	global_load_dwordx2 v[0:1], v3, s[26:27] offset:16
	v_cmpx_eq_u32_e32 0, v2
	s_cbranch_execz .LBB6_258
; %bb.257:
	s_bcnt1_i32_b32 s11, s11
	v_mov_b32_e32 v2, s11
	s_waitcnt vmcnt(0)
	global_atomic_add_x2 v[0:1], v[2:3], off offset:8
.LBB6_258:
	s_or_b32 exec_lo, exec_lo, s10
	s_waitcnt vmcnt(0)
	global_load_dwordx2 v[2:3], v[0:1], off offset:16
	s_waitcnt vmcnt(0)
	v_cmp_eq_u64_e32 vcc_lo, 0, v[2:3]
	s_cbranch_vccnz .LBB6_260
; %bb.259:
	global_load_dword v0, v[0:1], off offset:24
	v_mov_b32_e32 v1, 0
	s_waitcnt vmcnt(0)
	v_and_b32_e32 v4, 0x7fffff, v0
	s_waitcnt_vscnt null, 0x0
	global_store_dwordx2 v[2:3], v[0:1], off
	v_readfirstlane_b32 m0, v4
	s_sendmsg sendmsg(MSG_INTERRUPT)
.LBB6_260:
	s_or_b32 exec_lo, exec_lo, s5
	s_branch .LBB6_264
	.p2align	6
.LBB6_261:                              ;   in Loop: Header=BB6_264 Depth=1
	s_or_b32 exec_lo, exec_lo, s5
	v_readfirstlane_b32 s5, v0
	s_cmp_eq_u32 s5, 0
	s_cbranch_scc1 .LBB6_263
; %bb.262:                              ;   in Loop: Header=BB6_264 Depth=1
	s_sleep 1
	s_cbranch_execnz .LBB6_264
	s_branch .LBB6_266
	.p2align	6
.LBB6_263:
	s_branch .LBB6_266
.LBB6_264:                              ; =>This Inner Loop Header: Depth=1
	v_mov_b32_e32 v0, 1
	s_and_saveexec_b32 s5, s4
	s_cbranch_execz .LBB6_261
; %bb.265:                              ;   in Loop: Header=BB6_264 Depth=1
	global_load_dword v0, v[8:9], off offset:20 glc dlc
	s_waitcnt vmcnt(0)
	buffer_gl1_inv
	buffer_gl0_inv
	v_and_b32_e32 v0, 1, v0
	s_branch .LBB6_261
.LBB6_266:
	global_load_dwordx2 v[0:1], v[10:11], off
	s_and_saveexec_b32 s5, s4
	s_cbranch_execz .LBB6_270
; %bb.267:
	v_mov_b32_e32 v8, 0
	s_clause 0x2
	global_load_dwordx2 v[4:5], v8, s[26:27] offset:40
	global_load_dwordx2 v[9:10], v8, s[26:27] offset:24 glc dlc
	global_load_dwordx2 v[6:7], v8, s[26:27]
	s_waitcnt vmcnt(2)
	v_add_co_u32 v11, vcc_lo, v4, 1
	v_add_co_ci_u32_e32 v12, vcc_lo, 0, v5, vcc_lo
	v_add_co_u32 v2, vcc_lo, v11, s6
	v_add_co_ci_u32_e32 v3, vcc_lo, s7, v12, vcc_lo
	v_cmp_eq_u64_e32 vcc_lo, 0, v[2:3]
	v_cndmask_b32_e32 v3, v3, v12, vcc_lo
	v_cndmask_b32_e32 v2, v2, v11, vcc_lo
	v_and_b32_e32 v5, v3, v5
	v_and_b32_e32 v4, v2, v4
	v_mul_lo_u32 v5, v5, 24
	v_mul_hi_u32 v11, v4, 24
	v_mul_lo_u32 v4, v4, 24
	v_add_nc_u32_e32 v5, v11, v5
	s_waitcnt vmcnt(0)
	v_add_co_u32 v6, vcc_lo, v6, v4
	v_mov_b32_e32 v4, v9
	v_add_co_ci_u32_e32 v7, vcc_lo, v7, v5, vcc_lo
	v_mov_b32_e32 v5, v10
	global_store_dwordx2 v[6:7], v[9:10], off
	s_waitcnt_vscnt null, 0x0
	global_atomic_cmpswap_x2 v[4:5], v8, v[2:5], s[26:27] offset:24 glc
	s_waitcnt vmcnt(0)
	v_cmp_ne_u64_e32 vcc_lo, v[4:5], v[9:10]
	s_and_b32 exec_lo, exec_lo, vcc_lo
	s_cbranch_execz .LBB6_270
; %bb.268:
	s_mov_b32 s4, 0
.LBB6_269:                              ; =>This Inner Loop Header: Depth=1
	s_sleep 1
	global_store_dwordx2 v[6:7], v[4:5], off
	s_waitcnt_vscnt null, 0x0
	global_atomic_cmpswap_x2 v[9:10], v8, v[2:5], s[26:27] offset:24 glc
	s_waitcnt vmcnt(0)
	v_cmp_eq_u64_e32 vcc_lo, v[9:10], v[4:5]
	v_mov_b32_e32 v4, v9
	v_mov_b32_e32 v5, v10
	s_or_b32 s4, vcc_lo, s4
	s_andn2_b32 exec_lo, exec_lo, s4
	s_cbranch_execnz .LBB6_269
.LBB6_270:
	s_or_b32 exec_lo, exec_lo, s5
	s_getpc_b64 s[6:7]
	s_add_u32 s6, s6, .str.6@rel32@lo+4
	s_addc_u32 s7, s7, .str.6@rel32@hi+12
	s_cmp_lg_u64 s[6:7], 0
	s_cselect_b32 s34, -1, 0
	s_and_b32 vcc_lo, exec_lo, s34
	s_cbranch_vccz .LBB6_349
; %bb.271:
	s_waitcnt vmcnt(0)
	v_and_b32_e32 v31, 2, v0
	v_mov_b32_e32 v6, 0
	v_and_b32_e32 v2, -3, v0
	v_mov_b32_e32 v3, v1
	v_mov_b32_e32 v7, 2
	;; [unrolled: 1-line block ×3, first 2 shown]
	s_mov_b64 s[10:11], 3
	s_branch .LBB6_273
.LBB6_272:                              ;   in Loop: Header=BB6_273 Depth=1
	s_or_b32 exec_lo, exec_lo, s5
	s_sub_u32 s10, s10, s16
	s_subb_u32 s11, s11, s17
	s_add_u32 s6, s6, s16
	s_addc_u32 s7, s7, s17
	s_cmp_lg_u64 s[10:11], 0
	s_cbranch_scc0 .LBB6_348
.LBB6_273:                              ; =>This Loop Header: Depth=1
                                        ;     Child Loop BB6_282 Depth 2
                                        ;     Child Loop BB6_278 Depth 2
	;; [unrolled: 1-line block ×11, first 2 shown]
	v_cmp_lt_u64_e64 s4, s[10:11], 56
	v_cmp_gt_u64_e64 s5, s[10:11], 7
                                        ; implicit-def: $vgpr11_vgpr12
                                        ; implicit-def: $sgpr22
	s_and_b32 s4, s4, exec_lo
	s_cselect_b32 s17, s11, 0
	s_cselect_b32 s16, s10, 56
	s_and_b32 vcc_lo, exec_lo, s5
	s_mov_b32 s4, -1
	s_cbranch_vccz .LBB6_280
; %bb.274:                              ;   in Loop: Header=BB6_273 Depth=1
	s_andn2_b32 vcc_lo, exec_lo, s4
	s_mov_b64 s[4:5], s[6:7]
	s_cbranch_vccz .LBB6_284
.LBB6_275:                              ;   in Loop: Header=BB6_273 Depth=1
	s_cmp_gt_u32 s22, 7
	s_cbranch_scc1 .LBB6_285
.LBB6_276:                              ;   in Loop: Header=BB6_273 Depth=1
	v_mov_b32_e32 v13, 0
	v_mov_b32_e32 v14, 0
	s_cmp_eq_u32 s22, 0
	s_cbranch_scc1 .LBB6_279
; %bb.277:                              ;   in Loop: Header=BB6_273 Depth=1
	s_mov_b64 s[18:19], 0
	s_mov_b64 s[20:21], 0
.LBB6_278:                              ;   Parent Loop BB6_273 Depth=1
                                        ; =>  This Inner Loop Header: Depth=2
	s_add_u32 s24, s4, s20
	s_addc_u32 s25, s5, s21
	s_add_u32 s20, s20, 1
	global_load_ubyte v4, v6, s[24:25]
	s_addc_u32 s21, s21, 0
	s_waitcnt vmcnt(0)
	v_and_b32_e32 v5, 0xffff, v4
	v_lshlrev_b64 v[4:5], s18, v[5:6]
	s_add_u32 s18, s18, 8
	s_addc_u32 s19, s19, 0
	s_cmp_lg_u32 s22, s20
	v_or_b32_e32 v13, v4, v13
	v_or_b32_e32 v14, v5, v14
	s_cbranch_scc1 .LBB6_278
.LBB6_279:                              ;   in Loop: Header=BB6_273 Depth=1
	s_mov_b32 s23, 0
	s_cbranch_execz .LBB6_286
	s_branch .LBB6_287
.LBB6_280:                              ;   in Loop: Header=BB6_273 Depth=1
	v_mov_b32_e32 v11, 0
	v_mov_b32_e32 v12, 0
	s_cmp_eq_u64 s[10:11], 0
	s_mov_b64 s[4:5], 0
	s_cbranch_scc1 .LBB6_283
; %bb.281:                              ;   in Loop: Header=BB6_273 Depth=1
	v_mov_b32_e32 v11, 0
	v_mov_b32_e32 v12, 0
	s_lshl_b64 s[18:19], s[16:17], 3
	s_mov_b64 s[20:21], s[6:7]
.LBB6_282:                              ;   Parent Loop BB6_273 Depth=1
                                        ; =>  This Inner Loop Header: Depth=2
	global_load_ubyte v4, v6, s[20:21]
	s_waitcnt vmcnt(0)
	v_and_b32_e32 v5, 0xffff, v4
	v_lshlrev_b64 v[4:5], s4, v[5:6]
	s_add_u32 s4, s4, 8
	s_addc_u32 s5, s5, 0
	s_add_u32 s20, s20, 1
	s_addc_u32 s21, s21, 0
	s_cmp_lg_u32 s18, s4
	v_or_b32_e32 v11, v4, v11
	v_or_b32_e32 v12, v5, v12
	s_cbranch_scc1 .LBB6_282
.LBB6_283:                              ;   in Loop: Header=BB6_273 Depth=1
	s_mov_b32 s22, 0
	s_mov_b64 s[4:5], s[6:7]
	s_cbranch_execnz .LBB6_275
.LBB6_284:                              ;   in Loop: Header=BB6_273 Depth=1
	global_load_dwordx2 v[11:12], v6, s[6:7]
	s_add_i32 s22, s16, -8
	s_add_u32 s4, s6, 8
	s_addc_u32 s5, s7, 0
	s_cmp_gt_u32 s22, 7
	s_cbranch_scc0 .LBB6_276
.LBB6_285:                              ;   in Loop: Header=BB6_273 Depth=1
                                        ; implicit-def: $vgpr13_vgpr14
                                        ; implicit-def: $sgpr23
.LBB6_286:                              ;   in Loop: Header=BB6_273 Depth=1
	global_load_dwordx2 v[13:14], v6, s[4:5]
	s_add_i32 s23, s22, -8
	s_add_u32 s4, s4, 8
	s_addc_u32 s5, s5, 0
.LBB6_287:                              ;   in Loop: Header=BB6_273 Depth=1
	s_cmp_gt_u32 s23, 7
	s_cbranch_scc1 .LBB6_292
; %bb.288:                              ;   in Loop: Header=BB6_273 Depth=1
	v_mov_b32_e32 v15, 0
	v_mov_b32_e32 v16, 0
	s_cmp_eq_u32 s23, 0
	s_cbranch_scc1 .LBB6_291
; %bb.289:                              ;   in Loop: Header=BB6_273 Depth=1
	s_mov_b64 s[18:19], 0
	s_mov_b64 s[20:21], 0
.LBB6_290:                              ;   Parent Loop BB6_273 Depth=1
                                        ; =>  This Inner Loop Header: Depth=2
	s_add_u32 s24, s4, s20
	s_addc_u32 s25, s5, s21
	s_add_u32 s20, s20, 1
	global_load_ubyte v4, v6, s[24:25]
	s_addc_u32 s21, s21, 0
	s_waitcnt vmcnt(0)
	v_and_b32_e32 v5, 0xffff, v4
	v_lshlrev_b64 v[4:5], s18, v[5:6]
	s_add_u32 s18, s18, 8
	s_addc_u32 s19, s19, 0
	s_cmp_lg_u32 s23, s20
	v_or_b32_e32 v15, v4, v15
	v_or_b32_e32 v16, v5, v16
	s_cbranch_scc1 .LBB6_290
.LBB6_291:                              ;   in Loop: Header=BB6_273 Depth=1
	s_mov_b32 s22, 0
	s_cbranch_execz .LBB6_293
	s_branch .LBB6_294
.LBB6_292:                              ;   in Loop: Header=BB6_273 Depth=1
                                        ; implicit-def: $sgpr22
.LBB6_293:                              ;   in Loop: Header=BB6_273 Depth=1
	global_load_dwordx2 v[15:16], v6, s[4:5]
	s_add_i32 s22, s23, -8
	s_add_u32 s4, s4, 8
	s_addc_u32 s5, s5, 0
.LBB6_294:                              ;   in Loop: Header=BB6_273 Depth=1
	s_cmp_gt_u32 s22, 7
	s_cbranch_scc1 .LBB6_299
; %bb.295:                              ;   in Loop: Header=BB6_273 Depth=1
	v_mov_b32_e32 v17, 0
	v_mov_b32_e32 v18, 0
	s_cmp_eq_u32 s22, 0
	s_cbranch_scc1 .LBB6_298
; %bb.296:                              ;   in Loop: Header=BB6_273 Depth=1
	s_mov_b64 s[18:19], 0
	s_mov_b64 s[20:21], 0
.LBB6_297:                              ;   Parent Loop BB6_273 Depth=1
                                        ; =>  This Inner Loop Header: Depth=2
	s_add_u32 s24, s4, s20
	s_addc_u32 s25, s5, s21
	s_add_u32 s20, s20, 1
	global_load_ubyte v4, v6, s[24:25]
	s_addc_u32 s21, s21, 0
	s_waitcnt vmcnt(0)
	v_and_b32_e32 v5, 0xffff, v4
	v_lshlrev_b64 v[4:5], s18, v[5:6]
	s_add_u32 s18, s18, 8
	s_addc_u32 s19, s19, 0
	s_cmp_lg_u32 s22, s20
	v_or_b32_e32 v17, v4, v17
	v_or_b32_e32 v18, v5, v18
	s_cbranch_scc1 .LBB6_297
.LBB6_298:                              ;   in Loop: Header=BB6_273 Depth=1
	s_mov_b32 s23, 0
	s_cbranch_execz .LBB6_300
	s_branch .LBB6_301
.LBB6_299:                              ;   in Loop: Header=BB6_273 Depth=1
                                        ; implicit-def: $vgpr17_vgpr18
                                        ; implicit-def: $sgpr23
.LBB6_300:                              ;   in Loop: Header=BB6_273 Depth=1
	global_load_dwordx2 v[17:18], v6, s[4:5]
	s_add_i32 s23, s22, -8
	s_add_u32 s4, s4, 8
	s_addc_u32 s5, s5, 0
.LBB6_301:                              ;   in Loop: Header=BB6_273 Depth=1
	s_cmp_gt_u32 s23, 7
	s_cbranch_scc1 .LBB6_306
; %bb.302:                              ;   in Loop: Header=BB6_273 Depth=1
	v_mov_b32_e32 v19, 0
	v_mov_b32_e32 v20, 0
	s_cmp_eq_u32 s23, 0
	s_cbranch_scc1 .LBB6_305
; %bb.303:                              ;   in Loop: Header=BB6_273 Depth=1
	s_mov_b64 s[18:19], 0
	s_mov_b64 s[20:21], 0
.LBB6_304:                              ;   Parent Loop BB6_273 Depth=1
                                        ; =>  This Inner Loop Header: Depth=2
	s_add_u32 s24, s4, s20
	s_addc_u32 s25, s5, s21
	s_add_u32 s20, s20, 1
	global_load_ubyte v4, v6, s[24:25]
	s_addc_u32 s21, s21, 0
	s_waitcnt vmcnt(0)
	v_and_b32_e32 v5, 0xffff, v4
	v_lshlrev_b64 v[4:5], s18, v[5:6]
	s_add_u32 s18, s18, 8
	s_addc_u32 s19, s19, 0
	s_cmp_lg_u32 s23, s20
	v_or_b32_e32 v19, v4, v19
	v_or_b32_e32 v20, v5, v20
	s_cbranch_scc1 .LBB6_304
.LBB6_305:                              ;   in Loop: Header=BB6_273 Depth=1
	s_mov_b32 s22, 0
	s_cbranch_execz .LBB6_307
	s_branch .LBB6_308
.LBB6_306:                              ;   in Loop: Header=BB6_273 Depth=1
                                        ; implicit-def: $sgpr22
.LBB6_307:                              ;   in Loop: Header=BB6_273 Depth=1
	global_load_dwordx2 v[19:20], v6, s[4:5]
	s_add_i32 s22, s23, -8
	s_add_u32 s4, s4, 8
	s_addc_u32 s5, s5, 0
.LBB6_308:                              ;   in Loop: Header=BB6_273 Depth=1
	s_cmp_gt_u32 s22, 7
	s_cbranch_scc1 .LBB6_313
; %bb.309:                              ;   in Loop: Header=BB6_273 Depth=1
	v_mov_b32_e32 v21, 0
	v_mov_b32_e32 v22, 0
	s_cmp_eq_u32 s22, 0
	s_cbranch_scc1 .LBB6_312
; %bb.310:                              ;   in Loop: Header=BB6_273 Depth=1
	s_mov_b64 s[18:19], 0
	s_mov_b64 s[20:21], 0
.LBB6_311:                              ;   Parent Loop BB6_273 Depth=1
                                        ; =>  This Inner Loop Header: Depth=2
	s_add_u32 s24, s4, s20
	s_addc_u32 s25, s5, s21
	s_add_u32 s20, s20, 1
	global_load_ubyte v4, v6, s[24:25]
	s_addc_u32 s21, s21, 0
	s_waitcnt vmcnt(0)
	v_and_b32_e32 v5, 0xffff, v4
	v_lshlrev_b64 v[4:5], s18, v[5:6]
	s_add_u32 s18, s18, 8
	s_addc_u32 s19, s19, 0
	s_cmp_lg_u32 s22, s20
	v_or_b32_e32 v21, v4, v21
	v_or_b32_e32 v22, v5, v22
	s_cbranch_scc1 .LBB6_311
.LBB6_312:                              ;   in Loop: Header=BB6_273 Depth=1
	s_mov_b32 s23, 0
	s_cbranch_execz .LBB6_314
	s_branch .LBB6_315
.LBB6_313:                              ;   in Loop: Header=BB6_273 Depth=1
                                        ; implicit-def: $vgpr21_vgpr22
                                        ; implicit-def: $sgpr23
.LBB6_314:                              ;   in Loop: Header=BB6_273 Depth=1
	global_load_dwordx2 v[21:22], v6, s[4:5]
	s_add_i32 s23, s22, -8
	s_add_u32 s4, s4, 8
	s_addc_u32 s5, s5, 0
.LBB6_315:                              ;   in Loop: Header=BB6_273 Depth=1
	s_cmp_gt_u32 s23, 7
	s_cbranch_scc1 .LBB6_320
; %bb.316:                              ;   in Loop: Header=BB6_273 Depth=1
	v_mov_b32_e32 v23, 0
	v_mov_b32_e32 v24, 0
	s_cmp_eq_u32 s23, 0
	s_cbranch_scc1 .LBB6_319
; %bb.317:                              ;   in Loop: Header=BB6_273 Depth=1
	s_mov_b64 s[18:19], 0
	s_mov_b64 s[20:21], s[4:5]
.LBB6_318:                              ;   Parent Loop BB6_273 Depth=1
                                        ; =>  This Inner Loop Header: Depth=2
	global_load_ubyte v4, v6, s[20:21]
	s_add_i32 s23, s23, -1
	s_waitcnt vmcnt(0)
	v_and_b32_e32 v5, 0xffff, v4
	v_lshlrev_b64 v[4:5], s18, v[5:6]
	s_add_u32 s18, s18, 8
	s_addc_u32 s19, s19, 0
	s_add_u32 s20, s20, 1
	s_addc_u32 s21, s21, 0
	s_cmp_lg_u32 s23, 0
	v_or_b32_e32 v23, v4, v23
	v_or_b32_e32 v24, v5, v24
	s_cbranch_scc1 .LBB6_318
.LBB6_319:                              ;   in Loop: Header=BB6_273 Depth=1
	s_cbranch_execz .LBB6_321
	s_branch .LBB6_322
.LBB6_320:                              ;   in Loop: Header=BB6_273 Depth=1
.LBB6_321:                              ;   in Loop: Header=BB6_273 Depth=1
	global_load_dwordx2 v[23:24], v6, s[4:5]
.LBB6_322:                              ;   in Loop: Header=BB6_273 Depth=1
	v_readfirstlane_b32 s4, v49
	s_waitcnt vmcnt(0)
	v_mov_b32_e32 v4, 0
	v_mov_b32_e32 v5, 0
	v_cmp_eq_u32_e64 s4, s4, v49
	s_and_saveexec_b32 s5, s4
	s_cbranch_execz .LBB6_328
; %bb.323:                              ;   in Loop: Header=BB6_273 Depth=1
	global_load_dwordx2 v[27:28], v6, s[26:27] offset:24 glc dlc
	s_waitcnt vmcnt(0)
	buffer_gl1_inv
	buffer_gl0_inv
	s_clause 0x1
	global_load_dwordx2 v[4:5], v6, s[26:27] offset:40
	global_load_dwordx2 v[9:10], v6, s[26:27]
	s_mov_b32 s18, exec_lo
	s_waitcnt vmcnt(1)
	v_and_b32_e32 v5, v5, v28
	v_and_b32_e32 v4, v4, v27
	v_mul_lo_u32 v5, v5, 24
	v_mul_hi_u32 v25, v4, 24
	v_mul_lo_u32 v4, v4, 24
	v_add_nc_u32_e32 v5, v25, v5
	s_waitcnt vmcnt(0)
	v_add_co_u32 v4, vcc_lo, v9, v4
	v_add_co_ci_u32_e32 v5, vcc_lo, v10, v5, vcc_lo
	global_load_dwordx2 v[25:26], v[4:5], off glc dlc
	s_waitcnt vmcnt(0)
	global_atomic_cmpswap_x2 v[4:5], v6, v[25:28], s[26:27] offset:24 glc
	s_waitcnt vmcnt(0)
	buffer_gl1_inv
	buffer_gl0_inv
	v_cmpx_ne_u64_e64 v[4:5], v[27:28]
	s_cbranch_execz .LBB6_327
; %bb.324:                              ;   in Loop: Header=BB6_273 Depth=1
	s_mov_b32 s19, 0
	.p2align	6
.LBB6_325:                              ;   Parent Loop BB6_273 Depth=1
                                        ; =>  This Inner Loop Header: Depth=2
	s_sleep 1
	s_clause 0x1
	global_load_dwordx2 v[9:10], v6, s[26:27] offset:40
	global_load_dwordx2 v[25:26], v6, s[26:27]
	v_mov_b32_e32 v28, v5
	v_mov_b32_e32 v27, v4
	s_waitcnt vmcnt(1)
	v_and_b32_e32 v4, v9, v27
	v_and_b32_e32 v9, v10, v28
	s_waitcnt vmcnt(0)
	v_mad_u64_u32 v[4:5], null, v4, 24, v[25:26]
	v_mad_u64_u32 v[9:10], null, v9, 24, v[5:6]
	v_mov_b32_e32 v5, v9
	global_load_dwordx2 v[25:26], v[4:5], off glc dlc
	s_waitcnt vmcnt(0)
	global_atomic_cmpswap_x2 v[4:5], v6, v[25:28], s[26:27] offset:24 glc
	s_waitcnt vmcnt(0)
	buffer_gl1_inv
	buffer_gl0_inv
	v_cmp_eq_u64_e32 vcc_lo, v[4:5], v[27:28]
	s_or_b32 s19, vcc_lo, s19
	s_andn2_b32 exec_lo, exec_lo, s19
	s_cbranch_execnz .LBB6_325
; %bb.326:                              ;   in Loop: Header=BB6_273 Depth=1
	s_or_b32 exec_lo, exec_lo, s19
.LBB6_327:                              ;   in Loop: Header=BB6_273 Depth=1
	s_or_b32 exec_lo, exec_lo, s18
.LBB6_328:                              ;   in Loop: Header=BB6_273 Depth=1
	s_or_b32 exec_lo, exec_lo, s5
	s_clause 0x1
	global_load_dwordx2 v[9:10], v6, s[26:27] offset:40
	global_load_dwordx4 v[25:28], v6, s[26:27]
	v_readfirstlane_b32 s18, v4
	v_readfirstlane_b32 s19, v5
	s_mov_b32 s5, exec_lo
	s_waitcnt vmcnt(1)
	v_readfirstlane_b32 s20, v9
	v_readfirstlane_b32 s21, v10
	s_and_b64 s[20:21], s[18:19], s[20:21]
	s_mul_i32 s22, s21, 24
	s_mul_hi_u32 s23, s20, 24
	s_mul_i32 s24, s20, 24
	s_add_i32 s23, s23, s22
	s_waitcnt vmcnt(0)
	v_add_co_u32 v29, vcc_lo, v25, s24
	v_add_co_ci_u32_e32 v30, vcc_lo, s23, v26, vcc_lo
	s_and_saveexec_b32 s22, s4
	s_cbranch_execz .LBB6_330
; %bb.329:                              ;   in Loop: Header=BB6_273 Depth=1
	v_mov_b32_e32 v5, s5
	global_store_dwordx4 v[29:30], v[5:8], off offset:8
.LBB6_330:                              ;   in Loop: Header=BB6_273 Depth=1
	s_or_b32 exec_lo, exec_lo, s22
	s_lshl_b64 s[20:21], s[20:21], 12
	v_cmp_gt_u64_e64 vcc_lo, s[10:11], 56
	v_or_b32_e32 v5, v2, v31
	v_add_co_u32 v27, s5, v27, s20
	v_add_co_ci_u32_e64 v28, s5, s21, v28, s5
	s_lshl_b32 s5, s16, 2
	v_or_b32_e32 v4, 0, v3
	v_cndmask_b32_e32 v2, v5, v2, vcc_lo
	s_add_i32 s5, s5, 28
	v_readfirstlane_b32 s20, v27
	s_and_b32 s5, s5, 0x1e0
	v_cndmask_b32_e32 v10, v4, v3, vcc_lo
	v_readfirstlane_b32 s21, v28
	v_and_or_b32 v9, 0xffffff1f, v2, s5
	global_store_dwordx4 v48, v[9:12], s[20:21]
	global_store_dwordx4 v48, v[13:16], s[20:21] offset:16
	global_store_dwordx4 v48, v[17:20], s[20:21] offset:32
	;; [unrolled: 1-line block ×3, first 2 shown]
	s_and_saveexec_b32 s5, s4
	s_cbranch_execz .LBB6_338
; %bb.331:                              ;   in Loop: Header=BB6_273 Depth=1
	s_clause 0x1
	global_load_dwordx2 v[13:14], v6, s[26:27] offset:32 glc dlc
	global_load_dwordx2 v[2:3], v6, s[26:27] offset:40
	v_mov_b32_e32 v11, s18
	v_mov_b32_e32 v12, s19
	s_waitcnt vmcnt(0)
	v_readfirstlane_b32 s20, v2
	v_readfirstlane_b32 s21, v3
	s_and_b64 s[20:21], s[20:21], s[18:19]
	s_mul_i32 s21, s21, 24
	s_mul_hi_u32 s22, s20, 24
	s_mul_i32 s20, s20, 24
	s_add_i32 s22, s22, s21
	v_add_co_u32 v9, vcc_lo, v25, s20
	v_add_co_ci_u32_e32 v10, vcc_lo, s22, v26, vcc_lo
	s_mov_b32 s20, exec_lo
	global_store_dwordx2 v[9:10], v[13:14], off
	s_waitcnt_vscnt null, 0x0
	global_atomic_cmpswap_x2 v[4:5], v6, v[11:14], s[26:27] offset:32 glc
	s_waitcnt vmcnt(0)
	v_cmpx_ne_u64_e64 v[4:5], v[13:14]
	s_cbranch_execz .LBB6_334
; %bb.332:                              ;   in Loop: Header=BB6_273 Depth=1
	s_mov_b32 s21, 0
.LBB6_333:                              ;   Parent Loop BB6_273 Depth=1
                                        ; =>  This Inner Loop Header: Depth=2
	v_mov_b32_e32 v2, s18
	v_mov_b32_e32 v3, s19
	s_sleep 1
	global_store_dwordx2 v[9:10], v[4:5], off
	s_waitcnt_vscnt null, 0x0
	global_atomic_cmpswap_x2 v[2:3], v6, v[2:5], s[26:27] offset:32 glc
	s_waitcnt vmcnt(0)
	v_cmp_eq_u64_e32 vcc_lo, v[2:3], v[4:5]
	v_mov_b32_e32 v5, v3
	v_mov_b32_e32 v4, v2
	s_or_b32 s21, vcc_lo, s21
	s_andn2_b32 exec_lo, exec_lo, s21
	s_cbranch_execnz .LBB6_333
.LBB6_334:                              ;   in Loop: Header=BB6_273 Depth=1
	s_or_b32 exec_lo, exec_lo, s20
	global_load_dwordx2 v[2:3], v6, s[26:27] offset:16
	s_mov_b32 s21, exec_lo
	s_mov_b32 s20, exec_lo
	v_mbcnt_lo_u32_b32 v4, s21, 0
	v_cmpx_eq_u32_e32 0, v4
	s_cbranch_execz .LBB6_336
; %bb.335:                              ;   in Loop: Header=BB6_273 Depth=1
	s_bcnt1_i32_b32 s21, s21
	v_mov_b32_e32 v5, s21
	s_waitcnt vmcnt(0)
	global_atomic_add_x2 v[2:3], v[5:6], off offset:8
.LBB6_336:                              ;   in Loop: Header=BB6_273 Depth=1
	s_or_b32 exec_lo, exec_lo, s20
	s_waitcnt vmcnt(0)
	global_load_dwordx2 v[9:10], v[2:3], off offset:16
	s_waitcnt vmcnt(0)
	v_cmp_eq_u64_e32 vcc_lo, 0, v[9:10]
	s_cbranch_vccnz .LBB6_338
; %bb.337:                              ;   in Loop: Header=BB6_273 Depth=1
	global_load_dword v5, v[2:3], off offset:24
	s_waitcnt vmcnt(0)
	v_and_b32_e32 v2, 0x7fffff, v5
	s_waitcnt_vscnt null, 0x0
	global_store_dwordx2 v[9:10], v[5:6], off
	v_readfirstlane_b32 m0, v2
	s_sendmsg sendmsg(MSG_INTERRUPT)
.LBB6_338:                              ;   in Loop: Header=BB6_273 Depth=1
	s_or_b32 exec_lo, exec_lo, s5
	v_add_co_u32 v2, vcc_lo, v27, v48
	v_add_co_ci_u32_e32 v3, vcc_lo, 0, v28, vcc_lo
	s_branch .LBB6_342
	.p2align	6
.LBB6_339:                              ;   in Loop: Header=BB6_342 Depth=2
	s_or_b32 exec_lo, exec_lo, s5
	v_readfirstlane_b32 s5, v4
	s_cmp_eq_u32 s5, 0
	s_cbranch_scc1 .LBB6_341
; %bb.340:                              ;   in Loop: Header=BB6_342 Depth=2
	s_sleep 1
	s_cbranch_execnz .LBB6_342
	s_branch .LBB6_344
	.p2align	6
.LBB6_341:                              ;   in Loop: Header=BB6_273 Depth=1
	s_branch .LBB6_344
.LBB6_342:                              ;   Parent Loop BB6_273 Depth=1
                                        ; =>  This Inner Loop Header: Depth=2
	v_mov_b32_e32 v4, 1
	s_and_saveexec_b32 s5, s4
	s_cbranch_execz .LBB6_339
; %bb.343:                              ;   in Loop: Header=BB6_342 Depth=2
	global_load_dword v4, v[29:30], off offset:20 glc dlc
	s_waitcnt vmcnt(0)
	buffer_gl1_inv
	buffer_gl0_inv
	v_and_b32_e32 v4, 1, v4
	s_branch .LBB6_339
.LBB6_344:                              ;   in Loop: Header=BB6_273 Depth=1
	global_load_dwordx4 v[2:5], v[2:3], off
	s_and_saveexec_b32 s5, s4
	s_cbranch_execz .LBB6_272
; %bb.345:                              ;   in Loop: Header=BB6_273 Depth=1
	s_clause 0x2
	global_load_dwordx2 v[4:5], v6, s[26:27] offset:40
	global_load_dwordx2 v[13:14], v6, s[26:27] offset:24 glc dlc
	global_load_dwordx2 v[11:12], v6, s[26:27]
	s_waitcnt vmcnt(2)
	v_add_co_u32 v15, vcc_lo, v4, 1
	v_add_co_ci_u32_e32 v16, vcc_lo, 0, v5, vcc_lo
	v_add_co_u32 v9, vcc_lo, v15, s18
	v_add_co_ci_u32_e32 v10, vcc_lo, s19, v16, vcc_lo
	v_cmp_eq_u64_e32 vcc_lo, 0, v[9:10]
	v_cndmask_b32_e32 v10, v10, v16, vcc_lo
	v_cndmask_b32_e32 v9, v9, v15, vcc_lo
	v_and_b32_e32 v5, v10, v5
	v_and_b32_e32 v4, v9, v4
	v_mul_lo_u32 v5, v5, 24
	v_mul_hi_u32 v15, v4, 24
	v_mul_lo_u32 v4, v4, 24
	v_add_nc_u32_e32 v5, v15, v5
	s_waitcnt vmcnt(0)
	v_add_co_u32 v4, vcc_lo, v11, v4
	v_mov_b32_e32 v11, v13
	v_add_co_ci_u32_e32 v5, vcc_lo, v12, v5, vcc_lo
	v_mov_b32_e32 v12, v14
	global_store_dwordx2 v[4:5], v[13:14], off
	s_waitcnt_vscnt null, 0x0
	global_atomic_cmpswap_x2 v[11:12], v6, v[9:12], s[26:27] offset:24 glc
	s_waitcnt vmcnt(0)
	v_cmp_ne_u64_e32 vcc_lo, v[11:12], v[13:14]
	s_and_b32 exec_lo, exec_lo, vcc_lo
	s_cbranch_execz .LBB6_272
; %bb.346:                              ;   in Loop: Header=BB6_273 Depth=1
	s_mov_b32 s4, 0
.LBB6_347:                              ;   Parent Loop BB6_273 Depth=1
                                        ; =>  This Inner Loop Header: Depth=2
	s_sleep 1
	global_store_dwordx2 v[4:5], v[11:12], off
	s_waitcnt_vscnt null, 0x0
	global_atomic_cmpswap_x2 v[13:14], v6, v[9:12], s[26:27] offset:24 glc
	s_waitcnt vmcnt(0)
	v_cmp_eq_u64_e32 vcc_lo, v[13:14], v[11:12]
	v_mov_b32_e32 v11, v13
	v_mov_b32_e32 v12, v14
	s_or_b32 s4, vcc_lo, s4
	s_andn2_b32 exec_lo, exec_lo, s4
	s_cbranch_execnz .LBB6_347
	s_branch .LBB6_272
.LBB6_348:
	s_branch .LBB6_377
.LBB6_349:
                                        ; implicit-def: $vgpr2_vgpr3
	s_cbranch_execz .LBB6_377
; %bb.350:
	v_readfirstlane_b32 s4, v49
	v_mov_b32_e32 v8, 0
	v_mov_b32_e32 v9, 0
	v_cmp_eq_u32_e64 s4, s4, v49
	s_and_saveexec_b32 s5, s4
	s_cbranch_execz .LBB6_356
; %bb.351:
	s_waitcnt vmcnt(0)
	v_mov_b32_e32 v2, 0
	s_mov_b32 s6, exec_lo
	global_load_dwordx2 v[5:6], v2, s[26:27] offset:24 glc dlc
	s_waitcnt vmcnt(0)
	buffer_gl1_inv
	buffer_gl0_inv
	s_clause 0x1
	global_load_dwordx2 v[3:4], v2, s[26:27] offset:40
	global_load_dwordx2 v[7:8], v2, s[26:27]
	s_waitcnt vmcnt(1)
	v_and_b32_e32 v4, v4, v6
	v_and_b32_e32 v3, v3, v5
	v_mul_lo_u32 v4, v4, 24
	v_mul_hi_u32 v9, v3, 24
	v_mul_lo_u32 v3, v3, 24
	v_add_nc_u32_e32 v4, v9, v4
	s_waitcnt vmcnt(0)
	v_add_co_u32 v3, vcc_lo, v7, v3
	v_add_co_ci_u32_e32 v4, vcc_lo, v8, v4, vcc_lo
	global_load_dwordx2 v[3:4], v[3:4], off glc dlc
	s_waitcnt vmcnt(0)
	global_atomic_cmpswap_x2 v[8:9], v2, v[3:6], s[26:27] offset:24 glc
	s_waitcnt vmcnt(0)
	buffer_gl1_inv
	buffer_gl0_inv
	v_cmpx_ne_u64_e64 v[8:9], v[5:6]
	s_cbranch_execz .LBB6_355
; %bb.352:
	s_mov_b32 s7, 0
	.p2align	6
.LBB6_353:                              ; =>This Inner Loop Header: Depth=1
	s_sleep 1
	s_clause 0x1
	global_load_dwordx2 v[3:4], v2, s[26:27] offset:40
	global_load_dwordx2 v[10:11], v2, s[26:27]
	v_mov_b32_e32 v5, v8
	v_mov_b32_e32 v6, v9
	s_waitcnt vmcnt(1)
	v_and_b32_e32 v3, v3, v5
	v_and_b32_e32 v4, v4, v6
	s_waitcnt vmcnt(0)
	v_mad_u64_u32 v[7:8], null, v3, 24, v[10:11]
	v_mov_b32_e32 v3, v8
	v_mad_u64_u32 v[3:4], null, v4, 24, v[3:4]
	v_mov_b32_e32 v8, v3
	global_load_dwordx2 v[3:4], v[7:8], off glc dlc
	s_waitcnt vmcnt(0)
	global_atomic_cmpswap_x2 v[8:9], v2, v[3:6], s[26:27] offset:24 glc
	s_waitcnt vmcnt(0)
	buffer_gl1_inv
	buffer_gl0_inv
	v_cmp_eq_u64_e32 vcc_lo, v[8:9], v[5:6]
	s_or_b32 s7, vcc_lo, s7
	s_andn2_b32 exec_lo, exec_lo, s7
	s_cbranch_execnz .LBB6_353
; %bb.354:
	s_or_b32 exec_lo, exec_lo, s7
.LBB6_355:
	s_or_b32 exec_lo, exec_lo, s6
.LBB6_356:
	s_or_b32 exec_lo, exec_lo, s5
	s_waitcnt vmcnt(0)
	v_mov_b32_e32 v2, 0
	v_readfirstlane_b32 s6, v8
	v_readfirstlane_b32 s7, v9
	s_mov_b32 s5, exec_lo
	s_clause 0x1
	global_load_dwordx2 v[10:11], v2, s[26:27] offset:40
	global_load_dwordx4 v[4:7], v2, s[26:27]
	s_waitcnt vmcnt(1)
	v_readfirstlane_b32 s10, v10
	v_readfirstlane_b32 s11, v11
	s_and_b64 s[10:11], s[6:7], s[10:11]
	s_mul_i32 s16, s11, 24
	s_mul_hi_u32 s17, s10, 24
	s_mul_i32 s18, s10, 24
	s_add_i32 s17, s17, s16
	s_waitcnt vmcnt(0)
	v_add_co_u32 v8, vcc_lo, v4, s18
	v_add_co_ci_u32_e32 v9, vcc_lo, s17, v5, vcc_lo
	s_and_saveexec_b32 s16, s4
	s_cbranch_execz .LBB6_358
; %bb.357:
	v_mov_b32_e32 v10, s5
	v_mov_b32_e32 v11, v2
	;; [unrolled: 1-line block ×4, first 2 shown]
	global_store_dwordx4 v[8:9], v[10:13], off offset:8
.LBB6_358:
	s_or_b32 exec_lo, exec_lo, s16
	s_lshl_b64 s[10:11], s[10:11], 12
	s_mov_b32 s16, 0
	v_add_co_u32 v6, vcc_lo, v6, s10
	v_add_co_ci_u32_e32 v7, vcc_lo, s11, v7, vcc_lo
	s_mov_b32 s17, s16
	v_readfirstlane_b32 s10, v6
	v_add_co_u32 v6, vcc_lo, v6, v48
	s_mov_b32 s18, s16
	s_mov_b32 s19, s16
	v_and_or_b32 v0, 0xffffff1f, v0, 32
	v_mov_b32_e32 v3, v2
	v_readfirstlane_b32 s11, v7
	v_mov_b32_e32 v10, s16
	v_add_co_ci_u32_e32 v7, vcc_lo, 0, v7, vcc_lo
	v_mov_b32_e32 v11, s17
	v_mov_b32_e32 v12, s18
	;; [unrolled: 1-line block ×3, first 2 shown]
	global_store_dwordx4 v48, v[0:3], s[10:11]
	global_store_dwordx4 v48, v[10:13], s[10:11] offset:16
	global_store_dwordx4 v48, v[10:13], s[10:11] offset:32
	;; [unrolled: 1-line block ×3, first 2 shown]
	s_and_saveexec_b32 s5, s4
	s_cbranch_execz .LBB6_366
; %bb.359:
	v_mov_b32_e32 v10, 0
	v_mov_b32_e32 v11, s6
	;; [unrolled: 1-line block ×3, first 2 shown]
	s_clause 0x1
	global_load_dwordx2 v[13:14], v10, s[26:27] offset:32 glc dlc
	global_load_dwordx2 v[0:1], v10, s[26:27] offset:40
	s_waitcnt vmcnt(0)
	v_readfirstlane_b32 s10, v0
	v_readfirstlane_b32 s11, v1
	s_and_b64 s[10:11], s[10:11], s[6:7]
	s_mul_i32 s11, s11, 24
	s_mul_hi_u32 s16, s10, 24
	s_mul_i32 s10, s10, 24
	s_add_i32 s16, s16, s11
	v_add_co_u32 v4, vcc_lo, v4, s10
	v_add_co_ci_u32_e32 v5, vcc_lo, s16, v5, vcc_lo
	s_mov_b32 s10, exec_lo
	global_store_dwordx2 v[4:5], v[13:14], off
	s_waitcnt_vscnt null, 0x0
	global_atomic_cmpswap_x2 v[2:3], v10, v[11:14], s[26:27] offset:32 glc
	s_waitcnt vmcnt(0)
	v_cmpx_ne_u64_e64 v[2:3], v[13:14]
	s_cbranch_execz .LBB6_362
; %bb.360:
	s_mov_b32 s11, 0
.LBB6_361:                              ; =>This Inner Loop Header: Depth=1
	v_mov_b32_e32 v0, s6
	v_mov_b32_e32 v1, s7
	s_sleep 1
	global_store_dwordx2 v[4:5], v[2:3], off
	s_waitcnt_vscnt null, 0x0
	global_atomic_cmpswap_x2 v[0:1], v10, v[0:3], s[26:27] offset:32 glc
	s_waitcnt vmcnt(0)
	v_cmp_eq_u64_e32 vcc_lo, v[0:1], v[2:3]
	v_mov_b32_e32 v3, v1
	v_mov_b32_e32 v2, v0
	s_or_b32 s11, vcc_lo, s11
	s_andn2_b32 exec_lo, exec_lo, s11
	s_cbranch_execnz .LBB6_361
.LBB6_362:
	s_or_b32 exec_lo, exec_lo, s10
	v_mov_b32_e32 v3, 0
	s_mov_b32 s11, exec_lo
	s_mov_b32 s10, exec_lo
	v_mbcnt_lo_u32_b32 v2, s11, 0
	global_load_dwordx2 v[0:1], v3, s[26:27] offset:16
	v_cmpx_eq_u32_e32 0, v2
	s_cbranch_execz .LBB6_364
; %bb.363:
	s_bcnt1_i32_b32 s11, s11
	v_mov_b32_e32 v2, s11
	s_waitcnt vmcnt(0)
	global_atomic_add_x2 v[0:1], v[2:3], off offset:8
.LBB6_364:
	s_or_b32 exec_lo, exec_lo, s10
	s_waitcnt vmcnt(0)
	global_load_dwordx2 v[2:3], v[0:1], off offset:16
	s_waitcnt vmcnt(0)
	v_cmp_eq_u64_e32 vcc_lo, 0, v[2:3]
	s_cbranch_vccnz .LBB6_366
; %bb.365:
	global_load_dword v0, v[0:1], off offset:24
	v_mov_b32_e32 v1, 0
	s_waitcnt vmcnt(0)
	v_and_b32_e32 v4, 0x7fffff, v0
	s_waitcnt_vscnt null, 0x0
	global_store_dwordx2 v[2:3], v[0:1], off
	v_readfirstlane_b32 m0, v4
	s_sendmsg sendmsg(MSG_INTERRUPT)
.LBB6_366:
	s_or_b32 exec_lo, exec_lo, s5
	s_branch .LBB6_370
	.p2align	6
.LBB6_367:                              ;   in Loop: Header=BB6_370 Depth=1
	s_or_b32 exec_lo, exec_lo, s5
	v_readfirstlane_b32 s5, v0
	s_cmp_eq_u32 s5, 0
	s_cbranch_scc1 .LBB6_369
; %bb.368:                              ;   in Loop: Header=BB6_370 Depth=1
	s_sleep 1
	s_cbranch_execnz .LBB6_370
	s_branch .LBB6_372
	.p2align	6
.LBB6_369:
	s_branch .LBB6_372
.LBB6_370:                              ; =>This Inner Loop Header: Depth=1
	v_mov_b32_e32 v0, 1
	s_and_saveexec_b32 s5, s4
	s_cbranch_execz .LBB6_367
; %bb.371:                              ;   in Loop: Header=BB6_370 Depth=1
	global_load_dword v0, v[8:9], off offset:20 glc dlc
	s_waitcnt vmcnt(0)
	buffer_gl1_inv
	buffer_gl0_inv
	v_and_b32_e32 v0, 1, v0
	s_branch .LBB6_367
.LBB6_372:
	global_load_dwordx2 v[2:3], v[6:7], off
	s_and_saveexec_b32 s5, s4
	s_cbranch_execz .LBB6_376
; %bb.373:
	v_mov_b32_e32 v8, 0
	s_clause 0x2
	global_load_dwordx2 v[0:1], v8, s[26:27] offset:40
	global_load_dwordx2 v[9:10], v8, s[26:27] offset:24 glc dlc
	global_load_dwordx2 v[6:7], v8, s[26:27]
	s_waitcnt vmcnt(2)
	v_add_co_u32 v11, vcc_lo, v0, 1
	v_add_co_ci_u32_e32 v12, vcc_lo, 0, v1, vcc_lo
	v_add_co_u32 v4, vcc_lo, v11, s6
	v_add_co_ci_u32_e32 v5, vcc_lo, s7, v12, vcc_lo
	v_cmp_eq_u64_e32 vcc_lo, 0, v[4:5]
	v_cndmask_b32_e32 v5, v5, v12, vcc_lo
	v_cndmask_b32_e32 v4, v4, v11, vcc_lo
	v_and_b32_e32 v1, v5, v1
	v_and_b32_e32 v0, v4, v0
	v_mul_lo_u32 v1, v1, 24
	v_mul_hi_u32 v11, v0, 24
	v_mul_lo_u32 v0, v0, 24
	v_add_nc_u32_e32 v1, v11, v1
	s_waitcnt vmcnt(0)
	v_add_co_u32 v0, vcc_lo, v6, v0
	v_mov_b32_e32 v6, v9
	v_add_co_ci_u32_e32 v1, vcc_lo, v7, v1, vcc_lo
	v_mov_b32_e32 v7, v10
	global_store_dwordx2 v[0:1], v[9:10], off
	s_waitcnt_vscnt null, 0x0
	global_atomic_cmpswap_x2 v[6:7], v8, v[4:7], s[26:27] offset:24 glc
	s_waitcnt vmcnt(0)
	v_cmp_ne_u64_e32 vcc_lo, v[6:7], v[9:10]
	s_and_b32 exec_lo, exec_lo, vcc_lo
	s_cbranch_execz .LBB6_376
; %bb.374:
	s_mov_b32 s4, 0
.LBB6_375:                              ; =>This Inner Loop Header: Depth=1
	s_sleep 1
	global_store_dwordx2 v[0:1], v[6:7], off
	s_waitcnt_vscnt null, 0x0
	global_atomic_cmpswap_x2 v[9:10], v8, v[4:7], s[26:27] offset:24 glc
	s_waitcnt vmcnt(0)
	v_cmp_eq_u64_e32 vcc_lo, v[9:10], v[6:7]
	v_mov_b32_e32 v6, v9
	v_mov_b32_e32 v7, v10
	s_or_b32 s4, vcc_lo, s4
	s_andn2_b32 exec_lo, exec_lo, s4
	s_cbranch_execnz .LBB6_375
.LBB6_376:
	s_or_b32 exec_lo, exec_lo, s5
.LBB6_377:
	v_readfirstlane_b32 s4, v49
	s_waitcnt vmcnt(0)
	v_mov_b32_e32 v0, 0
	v_mov_b32_e32 v1, 0
	v_cmp_eq_u32_e64 s4, s4, v49
	s_and_saveexec_b32 s5, s4
	s_cbranch_execz .LBB6_383
; %bb.378:
	v_mov_b32_e32 v4, 0
	s_mov_b32 s6, exec_lo
	global_load_dwordx2 v[7:8], v4, s[26:27] offset:24 glc dlc
	s_waitcnt vmcnt(0)
	buffer_gl1_inv
	buffer_gl0_inv
	s_clause 0x1
	global_load_dwordx2 v[0:1], v4, s[26:27] offset:40
	global_load_dwordx2 v[5:6], v4, s[26:27]
	s_waitcnt vmcnt(1)
	v_and_b32_e32 v1, v1, v8
	v_and_b32_e32 v0, v0, v7
	v_mul_lo_u32 v1, v1, 24
	v_mul_hi_u32 v9, v0, 24
	v_mul_lo_u32 v0, v0, 24
	v_add_nc_u32_e32 v1, v9, v1
	s_waitcnt vmcnt(0)
	v_add_co_u32 v0, vcc_lo, v5, v0
	v_add_co_ci_u32_e32 v1, vcc_lo, v6, v1, vcc_lo
	global_load_dwordx2 v[5:6], v[0:1], off glc dlc
	s_waitcnt vmcnt(0)
	global_atomic_cmpswap_x2 v[0:1], v4, v[5:8], s[26:27] offset:24 glc
	s_waitcnt vmcnt(0)
	buffer_gl1_inv
	buffer_gl0_inv
	v_cmpx_ne_u64_e64 v[0:1], v[7:8]
	s_cbranch_execz .LBB6_382
; %bb.379:
	s_mov_b32 s7, 0
	.p2align	6
.LBB6_380:                              ; =>This Inner Loop Header: Depth=1
	s_sleep 1
	s_clause 0x1
	global_load_dwordx2 v[5:6], v4, s[26:27] offset:40
	global_load_dwordx2 v[9:10], v4, s[26:27]
	v_mov_b32_e32 v8, v1
	v_mov_b32_e32 v7, v0
	s_waitcnt vmcnt(1)
	v_and_b32_e32 v0, v5, v7
	v_and_b32_e32 v5, v6, v8
	s_waitcnt vmcnt(0)
	v_mad_u64_u32 v[0:1], null, v0, 24, v[9:10]
	v_mad_u64_u32 v[5:6], null, v5, 24, v[1:2]
	v_mov_b32_e32 v1, v5
	global_load_dwordx2 v[5:6], v[0:1], off glc dlc
	s_waitcnt vmcnt(0)
	global_atomic_cmpswap_x2 v[0:1], v4, v[5:8], s[26:27] offset:24 glc
	s_waitcnt vmcnt(0)
	buffer_gl1_inv
	buffer_gl0_inv
	v_cmp_eq_u64_e32 vcc_lo, v[0:1], v[7:8]
	s_or_b32 s7, vcc_lo, s7
	s_andn2_b32 exec_lo, exec_lo, s7
	s_cbranch_execnz .LBB6_380
; %bb.381:
	s_or_b32 exec_lo, exec_lo, s7
.LBB6_382:
	s_or_b32 exec_lo, exec_lo, s6
.LBB6_383:
	s_or_b32 exec_lo, exec_lo, s5
	v_mov_b32_e32 v5, 0
	v_readfirstlane_b32 s6, v0
	v_readfirstlane_b32 s7, v1
	s_mov_b32 s5, exec_lo
	s_clause 0x1
	global_load_dwordx2 v[10:11], v5, s[26:27] offset:40
	global_load_dwordx4 v[6:9], v5, s[26:27]
	s_waitcnt vmcnt(1)
	v_readfirstlane_b32 s10, v10
	v_readfirstlane_b32 s11, v11
	s_and_b64 s[10:11], s[6:7], s[10:11]
	s_mul_i32 s16, s11, 24
	s_mul_hi_u32 s17, s10, 24
	s_mul_i32 s18, s10, 24
	s_add_i32 s17, s17, s16
	s_waitcnt vmcnt(0)
	v_add_co_u32 v10, vcc_lo, v6, s18
	v_add_co_ci_u32_e32 v11, vcc_lo, s17, v7, vcc_lo
	s_and_saveexec_b32 s16, s4
	s_cbranch_execz .LBB6_385
; %bb.384:
	v_mov_b32_e32 v4, s5
	v_mov_b32_e32 v13, v5
	;; [unrolled: 1-line block ×5, first 2 shown]
	global_store_dwordx4 v[10:11], v[12:15], off offset:8
.LBB6_385:
	s_or_b32 exec_lo, exec_lo, s16
	s_lshl_b64 s[10:11], s[10:11], 12
	s_mov_b32 s16, 0
	v_add_co_u32 v0, vcc_lo, v8, s10
	v_add_co_ci_u32_e32 v1, vcc_lo, s11, v9, vcc_lo
	s_mov_b32 s17, s16
	s_mov_b32 s18, s16
	;; [unrolled: 1-line block ×3, first 2 shown]
	v_and_or_b32 v2, 0xffffff1d, v2, 34
	v_mov_b32_e32 v4, 10
	v_readfirstlane_b32 s10, v0
	v_readfirstlane_b32 s11, v1
	v_mov_b32_e32 v12, s16
	v_mov_b32_e32 v13, s17
	;; [unrolled: 1-line block ×4, first 2 shown]
	global_store_dwordx4 v48, v[2:5], s[10:11]
	global_store_dwordx4 v48, v[12:15], s[10:11] offset:16
	global_store_dwordx4 v48, v[12:15], s[10:11] offset:32
	;; [unrolled: 1-line block ×3, first 2 shown]
	s_and_saveexec_b32 s5, s4
	s_cbranch_execz .LBB6_393
; %bb.386:
	v_mov_b32_e32 v8, 0
	v_mov_b32_e32 v12, s6
	;; [unrolled: 1-line block ×3, first 2 shown]
	s_clause 0x1
	global_load_dwordx2 v[14:15], v8, s[26:27] offset:32 glc dlc
	global_load_dwordx2 v[0:1], v8, s[26:27] offset:40
	s_waitcnt vmcnt(0)
	v_readfirstlane_b32 s10, v0
	v_readfirstlane_b32 s11, v1
	s_and_b64 s[10:11], s[10:11], s[6:7]
	s_mul_i32 s11, s11, 24
	s_mul_hi_u32 s16, s10, 24
	s_mul_i32 s10, s10, 24
	s_add_i32 s16, s16, s11
	v_add_co_u32 v4, vcc_lo, v6, s10
	v_add_co_ci_u32_e32 v5, vcc_lo, s16, v7, vcc_lo
	s_mov_b32 s10, exec_lo
	global_store_dwordx2 v[4:5], v[14:15], off
	s_waitcnt_vscnt null, 0x0
	global_atomic_cmpswap_x2 v[2:3], v8, v[12:15], s[26:27] offset:32 glc
	s_waitcnt vmcnt(0)
	v_cmpx_ne_u64_e64 v[2:3], v[14:15]
	s_cbranch_execz .LBB6_389
; %bb.387:
	s_mov_b32 s11, 0
.LBB6_388:                              ; =>This Inner Loop Header: Depth=1
	v_mov_b32_e32 v0, s6
	v_mov_b32_e32 v1, s7
	s_sleep 1
	global_store_dwordx2 v[4:5], v[2:3], off
	s_waitcnt_vscnt null, 0x0
	global_atomic_cmpswap_x2 v[0:1], v8, v[0:3], s[26:27] offset:32 glc
	s_waitcnt vmcnt(0)
	v_cmp_eq_u64_e32 vcc_lo, v[0:1], v[2:3]
	v_mov_b32_e32 v3, v1
	v_mov_b32_e32 v2, v0
	s_or_b32 s11, vcc_lo, s11
	s_andn2_b32 exec_lo, exec_lo, s11
	s_cbranch_execnz .LBB6_388
.LBB6_389:
	s_or_b32 exec_lo, exec_lo, s10
	v_mov_b32_e32 v3, 0
	s_mov_b32 s11, exec_lo
	s_mov_b32 s10, exec_lo
	v_mbcnt_lo_u32_b32 v2, s11, 0
	global_load_dwordx2 v[0:1], v3, s[26:27] offset:16
	v_cmpx_eq_u32_e32 0, v2
	s_cbranch_execz .LBB6_391
; %bb.390:
	s_bcnt1_i32_b32 s11, s11
	v_mov_b32_e32 v2, s11
	s_waitcnt vmcnt(0)
	global_atomic_add_x2 v[0:1], v[2:3], off offset:8
.LBB6_391:
	s_or_b32 exec_lo, exec_lo, s10
	s_waitcnt vmcnt(0)
	global_load_dwordx2 v[2:3], v[0:1], off offset:16
	s_waitcnt vmcnt(0)
	v_cmp_eq_u64_e32 vcc_lo, 0, v[2:3]
	s_cbranch_vccnz .LBB6_393
; %bb.392:
	global_load_dword v0, v[0:1], off offset:24
	v_mov_b32_e32 v1, 0
	s_waitcnt vmcnt(0)
	v_and_b32_e32 v4, 0x7fffff, v0
	s_waitcnt_vscnt null, 0x0
	global_store_dwordx2 v[2:3], v[0:1], off
	v_readfirstlane_b32 m0, v4
	s_sendmsg sendmsg(MSG_INTERRUPT)
.LBB6_393:
	s_or_b32 exec_lo, exec_lo, s5
	s_branch .LBB6_397
	.p2align	6
.LBB6_394:                              ;   in Loop: Header=BB6_397 Depth=1
	s_or_b32 exec_lo, exec_lo, s5
	v_readfirstlane_b32 s5, v0
	s_cmp_eq_u32 s5, 0
	s_cbranch_scc1 .LBB6_396
; %bb.395:                              ;   in Loop: Header=BB6_397 Depth=1
	s_sleep 1
	s_cbranch_execnz .LBB6_397
	s_branch .LBB6_399
	.p2align	6
.LBB6_396:
	s_branch .LBB6_399
.LBB6_397:                              ; =>This Inner Loop Header: Depth=1
	v_mov_b32_e32 v0, 1
	s_and_saveexec_b32 s5, s4
	s_cbranch_execz .LBB6_394
; %bb.398:                              ;   in Loop: Header=BB6_397 Depth=1
	global_load_dword v0, v[10:11], off offset:20 glc dlc
	s_waitcnt vmcnt(0)
	buffer_gl1_inv
	buffer_gl0_inv
	v_and_b32_e32 v0, 1, v0
	s_branch .LBB6_394
.LBB6_399:
	s_and_saveexec_b32 s5, s4
	s_cbranch_execz .LBB6_403
; %bb.400:
	v_mov_b32_e32 v6, 0
	s_clause 0x2
	global_load_dwordx2 v[2:3], v6, s[26:27] offset:40
	global_load_dwordx2 v[7:8], v6, s[26:27] offset:24 glc dlc
	global_load_dwordx2 v[4:5], v6, s[26:27]
	s_waitcnt vmcnt(2)
	v_add_co_u32 v9, vcc_lo, v2, 1
	v_add_co_ci_u32_e32 v10, vcc_lo, 0, v3, vcc_lo
	v_add_co_u32 v0, vcc_lo, v9, s6
	v_add_co_ci_u32_e32 v1, vcc_lo, s7, v10, vcc_lo
	v_cmp_eq_u64_e32 vcc_lo, 0, v[0:1]
	v_cndmask_b32_e32 v1, v1, v10, vcc_lo
	v_cndmask_b32_e32 v0, v0, v9, vcc_lo
	v_and_b32_e32 v3, v1, v3
	v_and_b32_e32 v2, v0, v2
	v_mul_lo_u32 v3, v3, 24
	v_mul_hi_u32 v9, v2, 24
	v_mul_lo_u32 v2, v2, 24
	v_add_nc_u32_e32 v3, v9, v3
	s_waitcnt vmcnt(0)
	v_add_co_u32 v4, vcc_lo, v4, v2
	v_mov_b32_e32 v2, v7
	v_add_co_ci_u32_e32 v5, vcc_lo, v5, v3, vcc_lo
	v_mov_b32_e32 v3, v8
	global_store_dwordx2 v[4:5], v[7:8], off
	s_waitcnt_vscnt null, 0x0
	global_atomic_cmpswap_x2 v[2:3], v6, v[0:3], s[26:27] offset:24 glc
	s_waitcnt vmcnt(0)
	v_cmp_ne_u64_e32 vcc_lo, v[2:3], v[7:8]
	s_and_b32 exec_lo, exec_lo, vcc_lo
	s_cbranch_execz .LBB6_403
; %bb.401:
	s_mov_b32 s4, 0
.LBB6_402:                              ; =>This Inner Loop Header: Depth=1
	s_sleep 1
	global_store_dwordx2 v[4:5], v[2:3], off
	s_waitcnt_vscnt null, 0x0
	global_atomic_cmpswap_x2 v[7:8], v6, v[0:3], s[26:27] offset:24 glc
	s_waitcnt vmcnt(0)
	v_cmp_eq_u64_e32 vcc_lo, v[7:8], v[2:3]
	v_mov_b32_e32 v2, v7
	v_mov_b32_e32 v3, v8
	s_or_b32 s4, vcc_lo, s4
	s_andn2_b32 exec_lo, exec_lo, s4
	s_cbranch_execnz .LBB6_402
.LBB6_403:
	s_or_b32 exec_lo, exec_lo, s5
	v_readfirstlane_b32 s4, v49
	v_mov_b32_e32 v6, 0
	v_mov_b32_e32 v7, 0
	v_cmp_eq_u32_e64 s4, s4, v49
	s_and_saveexec_b32 s5, s4
	s_cbranch_execz .LBB6_409
; %bb.404:
	v_mov_b32_e32 v0, 0
	s_mov_b32 s6, exec_lo
	global_load_dwordx2 v[3:4], v0, s[26:27] offset:24 glc dlc
	s_waitcnt vmcnt(0)
	buffer_gl1_inv
	buffer_gl0_inv
	s_clause 0x1
	global_load_dwordx2 v[1:2], v0, s[26:27] offset:40
	global_load_dwordx2 v[5:6], v0, s[26:27]
	s_waitcnt vmcnt(1)
	v_and_b32_e32 v2, v2, v4
	v_and_b32_e32 v1, v1, v3
	v_mul_lo_u32 v2, v2, 24
	v_mul_hi_u32 v7, v1, 24
	v_mul_lo_u32 v1, v1, 24
	v_add_nc_u32_e32 v2, v7, v2
	s_waitcnt vmcnt(0)
	v_add_co_u32 v1, vcc_lo, v5, v1
	v_add_co_ci_u32_e32 v2, vcc_lo, v6, v2, vcc_lo
	global_load_dwordx2 v[1:2], v[1:2], off glc dlc
	s_waitcnt vmcnt(0)
	global_atomic_cmpswap_x2 v[6:7], v0, v[1:4], s[26:27] offset:24 glc
	s_waitcnt vmcnt(0)
	buffer_gl1_inv
	buffer_gl0_inv
	v_cmpx_ne_u64_e64 v[6:7], v[3:4]
	s_cbranch_execz .LBB6_408
; %bb.405:
	s_mov_b32 s7, 0
	.p2align	6
.LBB6_406:                              ; =>This Inner Loop Header: Depth=1
	s_sleep 1
	s_clause 0x1
	global_load_dwordx2 v[1:2], v0, s[26:27] offset:40
	global_load_dwordx2 v[8:9], v0, s[26:27]
	v_mov_b32_e32 v3, v6
	v_mov_b32_e32 v4, v7
	s_waitcnt vmcnt(1)
	v_and_b32_e32 v1, v1, v3
	v_and_b32_e32 v2, v2, v4
	s_waitcnt vmcnt(0)
	v_mad_u64_u32 v[5:6], null, v1, 24, v[8:9]
	v_mov_b32_e32 v1, v6
	v_mad_u64_u32 v[1:2], null, v2, 24, v[1:2]
	v_mov_b32_e32 v6, v1
	global_load_dwordx2 v[1:2], v[5:6], off glc dlc
	s_waitcnt vmcnt(0)
	global_atomic_cmpswap_x2 v[6:7], v0, v[1:4], s[26:27] offset:24 glc
	s_waitcnt vmcnt(0)
	buffer_gl1_inv
	buffer_gl0_inv
	v_cmp_eq_u64_e32 vcc_lo, v[6:7], v[3:4]
	s_or_b32 s7, vcc_lo, s7
	s_andn2_b32 exec_lo, exec_lo, s7
	s_cbranch_execnz .LBB6_406
; %bb.407:
	s_or_b32 exec_lo, exec_lo, s7
.LBB6_408:
	s_or_b32 exec_lo, exec_lo, s6
.LBB6_409:
	s_or_b32 exec_lo, exec_lo, s5
	v_mov_b32_e32 v5, 0
	v_readfirstlane_b32 s6, v6
	v_readfirstlane_b32 s7, v7
	s_mov_b32 s5, exec_lo
	s_clause 0x1
	global_load_dwordx2 v[8:9], v5, s[26:27] offset:40
	global_load_dwordx4 v[0:3], v5, s[26:27]
	s_waitcnt vmcnt(1)
	v_readfirstlane_b32 s10, v8
	v_readfirstlane_b32 s11, v9
	s_and_b64 s[10:11], s[6:7], s[10:11]
	s_mul_i32 s16, s11, 24
	s_mul_hi_u32 s17, s10, 24
	s_mul_i32 s18, s10, 24
	s_add_i32 s17, s17, s16
	s_waitcnt vmcnt(0)
	v_add_co_u32 v8, vcc_lo, v0, s18
	v_add_co_ci_u32_e32 v9, vcc_lo, s17, v1, vcc_lo
	s_and_saveexec_b32 s16, s4
	s_cbranch_execz .LBB6_411
; %bb.410:
	v_mov_b32_e32 v4, s5
	v_mov_b32_e32 v6, 2
	;; [unrolled: 1-line block ×3, first 2 shown]
	global_store_dwordx4 v[8:9], v[4:7], off offset:8
.LBB6_411:
	s_or_b32 exec_lo, exec_lo, s16
	s_lshl_b64 s[10:11], s[10:11], 12
	s_mov_b32 s16, 0
	v_add_co_u32 v2, vcc_lo, v2, s10
	v_add_co_ci_u32_e32 v3, vcc_lo, s11, v3, vcc_lo
	s_mov_b32 s17, s16
	v_add_co_u32 v10, vcc_lo, v2, v48
	s_mov_b32 s18, s16
	s_mov_b32 s19, s16
	v_mov_b32_e32 v4, 33
	v_mov_b32_e32 v6, v5
	;; [unrolled: 1-line block ×3, first 2 shown]
	v_readfirstlane_b32 s10, v2
	v_readfirstlane_b32 s11, v3
	v_mov_b32_e32 v12, s16
	v_add_co_ci_u32_e32 v11, vcc_lo, 0, v3, vcc_lo
	v_mov_b32_e32 v13, s17
	v_mov_b32_e32 v14, s18
	;; [unrolled: 1-line block ×3, first 2 shown]
	global_store_dwordx4 v48, v[4:7], s[10:11]
	global_store_dwordx4 v48, v[12:15], s[10:11] offset:16
	global_store_dwordx4 v48, v[12:15], s[10:11] offset:32
	;; [unrolled: 1-line block ×3, first 2 shown]
	s_and_saveexec_b32 s5, s4
	s_cbranch_execz .LBB6_419
; %bb.412:
	v_mov_b32_e32 v6, 0
	v_mov_b32_e32 v12, s6
	;; [unrolled: 1-line block ×3, first 2 shown]
	s_clause 0x1
	global_load_dwordx2 v[14:15], v6, s[26:27] offset:32 glc dlc
	global_load_dwordx2 v[2:3], v6, s[26:27] offset:40
	s_waitcnt vmcnt(0)
	v_readfirstlane_b32 s10, v2
	v_readfirstlane_b32 s11, v3
	s_and_b64 s[10:11], s[10:11], s[6:7]
	s_mul_i32 s11, s11, 24
	s_mul_hi_u32 s16, s10, 24
	s_mul_i32 s10, s10, 24
	s_add_i32 s16, s16, s11
	v_add_co_u32 v4, vcc_lo, v0, s10
	v_add_co_ci_u32_e32 v5, vcc_lo, s16, v1, vcc_lo
	s_mov_b32 s10, exec_lo
	global_store_dwordx2 v[4:5], v[14:15], off
	s_waitcnt_vscnt null, 0x0
	global_atomic_cmpswap_x2 v[2:3], v6, v[12:15], s[26:27] offset:32 glc
	s_waitcnt vmcnt(0)
	v_cmpx_ne_u64_e64 v[2:3], v[14:15]
	s_cbranch_execz .LBB6_415
; %bb.413:
	s_mov_b32 s11, 0
.LBB6_414:                              ; =>This Inner Loop Header: Depth=1
	v_mov_b32_e32 v0, s6
	v_mov_b32_e32 v1, s7
	s_sleep 1
	global_store_dwordx2 v[4:5], v[2:3], off
	s_waitcnt_vscnt null, 0x0
	global_atomic_cmpswap_x2 v[0:1], v6, v[0:3], s[26:27] offset:32 glc
	s_waitcnt vmcnt(0)
	v_cmp_eq_u64_e32 vcc_lo, v[0:1], v[2:3]
	v_mov_b32_e32 v3, v1
	v_mov_b32_e32 v2, v0
	s_or_b32 s11, vcc_lo, s11
	s_andn2_b32 exec_lo, exec_lo, s11
	s_cbranch_execnz .LBB6_414
.LBB6_415:
	s_or_b32 exec_lo, exec_lo, s10
	v_mov_b32_e32 v3, 0
	s_mov_b32 s11, exec_lo
	s_mov_b32 s10, exec_lo
	v_mbcnt_lo_u32_b32 v2, s11, 0
	global_load_dwordx2 v[0:1], v3, s[26:27] offset:16
	v_cmpx_eq_u32_e32 0, v2
	s_cbranch_execz .LBB6_417
; %bb.416:
	s_bcnt1_i32_b32 s11, s11
	v_mov_b32_e32 v2, s11
	s_waitcnt vmcnt(0)
	global_atomic_add_x2 v[0:1], v[2:3], off offset:8
.LBB6_417:
	s_or_b32 exec_lo, exec_lo, s10
	s_waitcnt vmcnt(0)
	global_load_dwordx2 v[2:3], v[0:1], off offset:16
	s_waitcnt vmcnt(0)
	v_cmp_eq_u64_e32 vcc_lo, 0, v[2:3]
	s_cbranch_vccnz .LBB6_419
; %bb.418:
	global_load_dword v0, v[0:1], off offset:24
	v_mov_b32_e32 v1, 0
	s_waitcnt vmcnt(0)
	v_and_b32_e32 v4, 0x7fffff, v0
	s_waitcnt_vscnt null, 0x0
	global_store_dwordx2 v[2:3], v[0:1], off
	v_readfirstlane_b32 m0, v4
	s_sendmsg sendmsg(MSG_INTERRUPT)
.LBB6_419:
	s_or_b32 exec_lo, exec_lo, s5
	s_branch .LBB6_423
	.p2align	6
.LBB6_420:                              ;   in Loop: Header=BB6_423 Depth=1
	s_or_b32 exec_lo, exec_lo, s5
	v_readfirstlane_b32 s5, v0
	s_cmp_eq_u32 s5, 0
	s_cbranch_scc1 .LBB6_422
; %bb.421:                              ;   in Loop: Header=BB6_423 Depth=1
	s_sleep 1
	s_cbranch_execnz .LBB6_423
	s_branch .LBB6_425
	.p2align	6
.LBB6_422:
	s_branch .LBB6_425
.LBB6_423:                              ; =>This Inner Loop Header: Depth=1
	v_mov_b32_e32 v0, 1
	s_and_saveexec_b32 s5, s4
	s_cbranch_execz .LBB6_420
; %bb.424:                              ;   in Loop: Header=BB6_423 Depth=1
	global_load_dword v0, v[8:9], off offset:20 glc dlc
	s_waitcnt vmcnt(0)
	buffer_gl1_inv
	buffer_gl0_inv
	v_and_b32_e32 v0, 1, v0
	s_branch .LBB6_420
.LBB6_425:
	global_load_dwordx2 v[4:5], v[10:11], off
	s_and_saveexec_b32 s5, s4
	s_cbranch_execz .LBB6_429
; %bb.426:
	v_mov_b32_e32 v8, 0
	s_clause 0x2
	global_load_dwordx2 v[2:3], v8, s[26:27] offset:40
	global_load_dwordx2 v[9:10], v8, s[26:27] offset:24 glc dlc
	global_load_dwordx2 v[6:7], v8, s[26:27]
	s_waitcnt vmcnt(2)
	v_add_co_u32 v11, vcc_lo, v2, 1
	v_add_co_ci_u32_e32 v12, vcc_lo, 0, v3, vcc_lo
	v_add_co_u32 v0, vcc_lo, v11, s6
	v_add_co_ci_u32_e32 v1, vcc_lo, s7, v12, vcc_lo
	v_cmp_eq_u64_e32 vcc_lo, 0, v[0:1]
	v_cndmask_b32_e32 v1, v1, v12, vcc_lo
	v_cndmask_b32_e32 v0, v0, v11, vcc_lo
	v_and_b32_e32 v3, v1, v3
	v_and_b32_e32 v2, v0, v2
	v_mul_lo_u32 v3, v3, 24
	v_mul_hi_u32 v11, v2, 24
	v_mul_lo_u32 v2, v2, 24
	v_add_nc_u32_e32 v3, v11, v3
	s_waitcnt vmcnt(0)
	v_add_co_u32 v6, vcc_lo, v6, v2
	v_mov_b32_e32 v2, v9
	v_add_co_ci_u32_e32 v7, vcc_lo, v7, v3, vcc_lo
	v_mov_b32_e32 v3, v10
	global_store_dwordx2 v[6:7], v[9:10], off
	s_waitcnt_vscnt null, 0x0
	global_atomic_cmpswap_x2 v[2:3], v8, v[0:3], s[26:27] offset:24 glc
	s_waitcnt vmcnt(0)
	v_cmp_ne_u64_e32 vcc_lo, v[2:3], v[9:10]
	s_and_b32 exec_lo, exec_lo, vcc_lo
	s_cbranch_execz .LBB6_429
; %bb.427:
	s_mov_b32 s4, 0
.LBB6_428:                              ; =>This Inner Loop Header: Depth=1
	s_sleep 1
	global_store_dwordx2 v[6:7], v[2:3], off
	s_waitcnt_vscnt null, 0x0
	global_atomic_cmpswap_x2 v[9:10], v8, v[0:3], s[26:27] offset:24 glc
	s_waitcnt vmcnt(0)
	v_cmp_eq_u64_e32 vcc_lo, v[9:10], v[2:3]
	v_mov_b32_e32 v2, v9
	v_mov_b32_e32 v3, v10
	s_or_b32 s4, vcc_lo, s4
	s_andn2_b32 exec_lo, exec_lo, s4
	s_cbranch_execnz .LBB6_428
.LBB6_429:
	s_or_b32 exec_lo, exec_lo, s5
	s_and_b32 vcc_lo, exec_lo, s15
	s_cbranch_vccz .LBB6_508
; %bb.430:
	s_waitcnt vmcnt(0)
	v_and_b32_e32 v28, 2, v4
	v_mov_b32_e32 v7, 0
	v_and_b32_e32 v0, -3, v4
	v_mov_b32_e32 v1, v5
	v_mov_b32_e32 v8, 2
	;; [unrolled: 1-line block ×3, first 2 shown]
	s_mov_b64 s[10:11], 3
	s_getpc_b64 s[6:7]
	s_add_u32 s6, s6, .str.5@rel32@lo+4
	s_addc_u32 s7, s7, .str.5@rel32@hi+12
	s_branch .LBB6_432
.LBB6_431:                              ;   in Loop: Header=BB6_432 Depth=1
	s_or_b32 exec_lo, exec_lo, s5
	s_sub_u32 s10, s10, s16
	s_subb_u32 s11, s11, s17
	s_add_u32 s6, s6, s16
	s_addc_u32 s7, s7, s17
	s_cmp_lg_u64 s[10:11], 0
	s_cbranch_scc0 .LBB6_507
.LBB6_432:                              ; =>This Loop Header: Depth=1
                                        ;     Child Loop BB6_441 Depth 2
                                        ;     Child Loop BB6_437 Depth 2
	;; [unrolled: 1-line block ×11, first 2 shown]
	v_cmp_lt_u64_e64 s4, s[10:11], 56
	v_cmp_gt_u64_e64 s5, s[10:11], 7
                                        ; implicit-def: $vgpr2_vgpr3
                                        ; implicit-def: $sgpr22
	s_and_b32 s4, s4, exec_lo
	s_cselect_b32 s17, s11, 0
	s_cselect_b32 s16, s10, 56
	s_and_b32 vcc_lo, exec_lo, s5
	s_mov_b32 s4, -1
	s_cbranch_vccz .LBB6_439
; %bb.433:                              ;   in Loop: Header=BB6_432 Depth=1
	s_andn2_b32 vcc_lo, exec_lo, s4
	s_mov_b64 s[4:5], s[6:7]
	s_cbranch_vccz .LBB6_443
.LBB6_434:                              ;   in Loop: Header=BB6_432 Depth=1
	s_cmp_gt_u32 s22, 7
	s_cbranch_scc1 .LBB6_444
.LBB6_435:                              ;   in Loop: Header=BB6_432 Depth=1
	v_mov_b32_e32 v10, 0
	v_mov_b32_e32 v11, 0
	s_cmp_eq_u32 s22, 0
	s_cbranch_scc1 .LBB6_438
; %bb.436:                              ;   in Loop: Header=BB6_432 Depth=1
	s_mov_b64 s[18:19], 0
	s_mov_b64 s[20:21], 0
.LBB6_437:                              ;   Parent Loop BB6_432 Depth=1
                                        ; =>  This Inner Loop Header: Depth=2
	s_add_u32 s24, s4, s20
	s_addc_u32 s25, s5, s21
	s_add_u32 s20, s20, 1
	global_load_ubyte v6, v7, s[24:25]
	s_addc_u32 s21, s21, 0
	s_waitcnt vmcnt(0)
	v_and_b32_e32 v6, 0xffff, v6
	v_lshlrev_b64 v[12:13], s18, v[6:7]
	s_add_u32 s18, s18, 8
	s_addc_u32 s19, s19, 0
	s_cmp_lg_u32 s22, s20
	v_or_b32_e32 v10, v12, v10
	v_or_b32_e32 v11, v13, v11
	s_cbranch_scc1 .LBB6_437
.LBB6_438:                              ;   in Loop: Header=BB6_432 Depth=1
	s_mov_b32 s23, 0
	s_cbranch_execz .LBB6_445
	s_branch .LBB6_446
.LBB6_439:                              ;   in Loop: Header=BB6_432 Depth=1
	s_waitcnt vmcnt(0)
	v_mov_b32_e32 v2, 0
	v_mov_b32_e32 v3, 0
	s_cmp_eq_u64 s[10:11], 0
	s_mov_b64 s[4:5], 0
	s_cbranch_scc1 .LBB6_442
; %bb.440:                              ;   in Loop: Header=BB6_432 Depth=1
	v_mov_b32_e32 v2, 0
	v_mov_b32_e32 v3, 0
	s_lshl_b64 s[18:19], s[16:17], 3
	s_mov_b64 s[20:21], s[6:7]
.LBB6_441:                              ;   Parent Loop BB6_432 Depth=1
                                        ; =>  This Inner Loop Header: Depth=2
	global_load_ubyte v6, v7, s[20:21]
	s_waitcnt vmcnt(0)
	v_and_b32_e32 v6, 0xffff, v6
	v_lshlrev_b64 v[10:11], s4, v[6:7]
	s_add_u32 s4, s4, 8
	s_addc_u32 s5, s5, 0
	s_add_u32 s20, s20, 1
	s_addc_u32 s21, s21, 0
	s_cmp_lg_u32 s18, s4
	v_or_b32_e32 v2, v10, v2
	v_or_b32_e32 v3, v11, v3
	s_cbranch_scc1 .LBB6_441
.LBB6_442:                              ;   in Loop: Header=BB6_432 Depth=1
	s_mov_b32 s22, 0
	s_mov_b64 s[4:5], s[6:7]
	s_cbranch_execnz .LBB6_434
.LBB6_443:                              ;   in Loop: Header=BB6_432 Depth=1
	global_load_dwordx2 v[2:3], v7, s[6:7]
	s_add_i32 s22, s16, -8
	s_add_u32 s4, s6, 8
	s_addc_u32 s5, s7, 0
	s_cmp_gt_u32 s22, 7
	s_cbranch_scc0 .LBB6_435
.LBB6_444:                              ;   in Loop: Header=BB6_432 Depth=1
                                        ; implicit-def: $vgpr10_vgpr11
                                        ; implicit-def: $sgpr23
.LBB6_445:                              ;   in Loop: Header=BB6_432 Depth=1
	global_load_dwordx2 v[10:11], v7, s[4:5]
	s_add_i32 s23, s22, -8
	s_add_u32 s4, s4, 8
	s_addc_u32 s5, s5, 0
.LBB6_446:                              ;   in Loop: Header=BB6_432 Depth=1
	s_cmp_gt_u32 s23, 7
	s_cbranch_scc1 .LBB6_451
; %bb.447:                              ;   in Loop: Header=BB6_432 Depth=1
	v_mov_b32_e32 v12, 0
	v_mov_b32_e32 v13, 0
	s_cmp_eq_u32 s23, 0
	s_cbranch_scc1 .LBB6_450
; %bb.448:                              ;   in Loop: Header=BB6_432 Depth=1
	s_mov_b64 s[18:19], 0
	s_mov_b64 s[20:21], 0
.LBB6_449:                              ;   Parent Loop BB6_432 Depth=1
                                        ; =>  This Inner Loop Header: Depth=2
	s_add_u32 s24, s4, s20
	s_addc_u32 s25, s5, s21
	s_add_u32 s20, s20, 1
	global_load_ubyte v6, v7, s[24:25]
	s_addc_u32 s21, s21, 0
	s_waitcnt vmcnt(0)
	v_and_b32_e32 v6, 0xffff, v6
	v_lshlrev_b64 v[14:15], s18, v[6:7]
	s_add_u32 s18, s18, 8
	s_addc_u32 s19, s19, 0
	s_cmp_lg_u32 s23, s20
	v_or_b32_e32 v12, v14, v12
	v_or_b32_e32 v13, v15, v13
	s_cbranch_scc1 .LBB6_449
.LBB6_450:                              ;   in Loop: Header=BB6_432 Depth=1
	s_mov_b32 s22, 0
	s_cbranch_execz .LBB6_452
	s_branch .LBB6_453
.LBB6_451:                              ;   in Loop: Header=BB6_432 Depth=1
                                        ; implicit-def: $sgpr22
.LBB6_452:                              ;   in Loop: Header=BB6_432 Depth=1
	global_load_dwordx2 v[12:13], v7, s[4:5]
	s_add_i32 s22, s23, -8
	s_add_u32 s4, s4, 8
	s_addc_u32 s5, s5, 0
.LBB6_453:                              ;   in Loop: Header=BB6_432 Depth=1
	s_cmp_gt_u32 s22, 7
	s_cbranch_scc1 .LBB6_458
; %bb.454:                              ;   in Loop: Header=BB6_432 Depth=1
	v_mov_b32_e32 v14, 0
	v_mov_b32_e32 v15, 0
	s_cmp_eq_u32 s22, 0
	s_cbranch_scc1 .LBB6_457
; %bb.455:                              ;   in Loop: Header=BB6_432 Depth=1
	s_mov_b64 s[18:19], 0
	s_mov_b64 s[20:21], 0
.LBB6_456:                              ;   Parent Loop BB6_432 Depth=1
                                        ; =>  This Inner Loop Header: Depth=2
	s_add_u32 s24, s4, s20
	s_addc_u32 s25, s5, s21
	s_add_u32 s20, s20, 1
	global_load_ubyte v6, v7, s[24:25]
	s_addc_u32 s21, s21, 0
	s_waitcnt vmcnt(0)
	v_and_b32_e32 v6, 0xffff, v6
	v_lshlrev_b64 v[16:17], s18, v[6:7]
	s_add_u32 s18, s18, 8
	s_addc_u32 s19, s19, 0
	s_cmp_lg_u32 s22, s20
	v_or_b32_e32 v14, v16, v14
	v_or_b32_e32 v15, v17, v15
	s_cbranch_scc1 .LBB6_456
.LBB6_457:                              ;   in Loop: Header=BB6_432 Depth=1
	s_mov_b32 s23, 0
	s_cbranch_execz .LBB6_459
	s_branch .LBB6_460
.LBB6_458:                              ;   in Loop: Header=BB6_432 Depth=1
                                        ; implicit-def: $vgpr14_vgpr15
                                        ; implicit-def: $sgpr23
.LBB6_459:                              ;   in Loop: Header=BB6_432 Depth=1
	global_load_dwordx2 v[14:15], v7, s[4:5]
	s_add_i32 s23, s22, -8
	s_add_u32 s4, s4, 8
	s_addc_u32 s5, s5, 0
.LBB6_460:                              ;   in Loop: Header=BB6_432 Depth=1
	s_cmp_gt_u32 s23, 7
	s_cbranch_scc1 .LBB6_465
; %bb.461:                              ;   in Loop: Header=BB6_432 Depth=1
	v_mov_b32_e32 v16, 0
	v_mov_b32_e32 v17, 0
	s_cmp_eq_u32 s23, 0
	s_cbranch_scc1 .LBB6_464
; %bb.462:                              ;   in Loop: Header=BB6_432 Depth=1
	s_mov_b64 s[18:19], 0
	s_mov_b64 s[20:21], 0
.LBB6_463:                              ;   Parent Loop BB6_432 Depth=1
                                        ; =>  This Inner Loop Header: Depth=2
	s_add_u32 s24, s4, s20
	s_addc_u32 s25, s5, s21
	s_add_u32 s20, s20, 1
	global_load_ubyte v6, v7, s[24:25]
	s_addc_u32 s21, s21, 0
	s_waitcnt vmcnt(0)
	v_and_b32_e32 v6, 0xffff, v6
	v_lshlrev_b64 v[18:19], s18, v[6:7]
	s_add_u32 s18, s18, 8
	s_addc_u32 s19, s19, 0
	s_cmp_lg_u32 s23, s20
	v_or_b32_e32 v16, v18, v16
	v_or_b32_e32 v17, v19, v17
	s_cbranch_scc1 .LBB6_463
.LBB6_464:                              ;   in Loop: Header=BB6_432 Depth=1
	s_mov_b32 s22, 0
	s_cbranch_execz .LBB6_466
	s_branch .LBB6_467
.LBB6_465:                              ;   in Loop: Header=BB6_432 Depth=1
                                        ; implicit-def: $sgpr22
.LBB6_466:                              ;   in Loop: Header=BB6_432 Depth=1
	global_load_dwordx2 v[16:17], v7, s[4:5]
	s_add_i32 s22, s23, -8
	s_add_u32 s4, s4, 8
	s_addc_u32 s5, s5, 0
.LBB6_467:                              ;   in Loop: Header=BB6_432 Depth=1
	s_cmp_gt_u32 s22, 7
	s_cbranch_scc1 .LBB6_472
; %bb.468:                              ;   in Loop: Header=BB6_432 Depth=1
	v_mov_b32_e32 v18, 0
	v_mov_b32_e32 v19, 0
	s_cmp_eq_u32 s22, 0
	s_cbranch_scc1 .LBB6_471
; %bb.469:                              ;   in Loop: Header=BB6_432 Depth=1
	s_mov_b64 s[18:19], 0
	s_mov_b64 s[20:21], 0
.LBB6_470:                              ;   Parent Loop BB6_432 Depth=1
                                        ; =>  This Inner Loop Header: Depth=2
	s_add_u32 s24, s4, s20
	s_addc_u32 s25, s5, s21
	s_add_u32 s20, s20, 1
	global_load_ubyte v6, v7, s[24:25]
	s_addc_u32 s21, s21, 0
	s_waitcnt vmcnt(0)
	v_and_b32_e32 v6, 0xffff, v6
	v_lshlrev_b64 v[20:21], s18, v[6:7]
	s_add_u32 s18, s18, 8
	s_addc_u32 s19, s19, 0
	s_cmp_lg_u32 s22, s20
	v_or_b32_e32 v18, v20, v18
	v_or_b32_e32 v19, v21, v19
	s_cbranch_scc1 .LBB6_470
.LBB6_471:                              ;   in Loop: Header=BB6_432 Depth=1
	s_mov_b32 s23, 0
	s_cbranch_execz .LBB6_473
	s_branch .LBB6_474
.LBB6_472:                              ;   in Loop: Header=BB6_432 Depth=1
                                        ; implicit-def: $vgpr18_vgpr19
                                        ; implicit-def: $sgpr23
.LBB6_473:                              ;   in Loop: Header=BB6_432 Depth=1
	global_load_dwordx2 v[18:19], v7, s[4:5]
	s_add_i32 s23, s22, -8
	s_add_u32 s4, s4, 8
	s_addc_u32 s5, s5, 0
.LBB6_474:                              ;   in Loop: Header=BB6_432 Depth=1
	s_cmp_gt_u32 s23, 7
	s_cbranch_scc1 .LBB6_479
; %bb.475:                              ;   in Loop: Header=BB6_432 Depth=1
	v_mov_b32_e32 v20, 0
	v_mov_b32_e32 v21, 0
	s_cmp_eq_u32 s23, 0
	s_cbranch_scc1 .LBB6_478
; %bb.476:                              ;   in Loop: Header=BB6_432 Depth=1
	s_mov_b64 s[18:19], 0
	s_mov_b64 s[20:21], s[4:5]
.LBB6_477:                              ;   Parent Loop BB6_432 Depth=1
                                        ; =>  This Inner Loop Header: Depth=2
	global_load_ubyte v6, v7, s[20:21]
	s_add_i32 s23, s23, -1
	s_waitcnt vmcnt(0)
	v_and_b32_e32 v6, 0xffff, v6
	v_lshlrev_b64 v[22:23], s18, v[6:7]
	s_add_u32 s18, s18, 8
	s_addc_u32 s19, s19, 0
	s_add_u32 s20, s20, 1
	s_addc_u32 s21, s21, 0
	s_cmp_lg_u32 s23, 0
	v_or_b32_e32 v20, v22, v20
	v_or_b32_e32 v21, v23, v21
	s_cbranch_scc1 .LBB6_477
.LBB6_478:                              ;   in Loop: Header=BB6_432 Depth=1
	s_cbranch_execz .LBB6_480
	s_branch .LBB6_481
.LBB6_479:                              ;   in Loop: Header=BB6_432 Depth=1
.LBB6_480:                              ;   in Loop: Header=BB6_432 Depth=1
	global_load_dwordx2 v[20:21], v7, s[4:5]
.LBB6_481:                              ;   in Loop: Header=BB6_432 Depth=1
	v_readfirstlane_b32 s4, v49
	v_mov_b32_e32 v26, 0
	v_mov_b32_e32 v27, 0
	v_cmp_eq_u32_e64 s4, s4, v49
	s_and_saveexec_b32 s5, s4
	s_cbranch_execz .LBB6_487
; %bb.482:                              ;   in Loop: Header=BB6_432 Depth=1
	global_load_dwordx2 v[24:25], v7, s[26:27] offset:24 glc dlc
	s_waitcnt vmcnt(0)
	buffer_gl1_inv
	buffer_gl0_inv
	s_clause 0x1
	global_load_dwordx2 v[22:23], v7, s[26:27] offset:40
	global_load_dwordx2 v[26:27], v7, s[26:27]
	s_mov_b32 s18, exec_lo
	s_waitcnt vmcnt(1)
	v_and_b32_e32 v6, v23, v25
	v_and_b32_e32 v22, v22, v24
	v_mul_lo_u32 v6, v6, 24
	v_mul_hi_u32 v23, v22, 24
	v_mul_lo_u32 v22, v22, 24
	v_add_nc_u32_e32 v6, v23, v6
	s_waitcnt vmcnt(0)
	v_add_co_u32 v22, vcc_lo, v26, v22
	v_add_co_ci_u32_e32 v23, vcc_lo, v27, v6, vcc_lo
	global_load_dwordx2 v[22:23], v[22:23], off glc dlc
	s_waitcnt vmcnt(0)
	global_atomic_cmpswap_x2 v[26:27], v7, v[22:25], s[26:27] offset:24 glc
	s_waitcnt vmcnt(0)
	buffer_gl1_inv
	buffer_gl0_inv
	v_cmpx_ne_u64_e64 v[26:27], v[24:25]
	s_cbranch_execz .LBB6_486
; %bb.483:                              ;   in Loop: Header=BB6_432 Depth=1
	s_mov_b32 s19, 0
	.p2align	6
.LBB6_484:                              ;   Parent Loop BB6_432 Depth=1
                                        ; =>  This Inner Loop Header: Depth=2
	s_sleep 1
	s_clause 0x1
	global_load_dwordx2 v[22:23], v7, s[26:27] offset:40
	global_load_dwordx2 v[29:30], v7, s[26:27]
	v_mov_b32_e32 v24, v26
	v_mov_b32_e32 v25, v27
	s_waitcnt vmcnt(1)
	v_and_b32_e32 v6, v22, v24
	v_and_b32_e32 v22, v23, v25
	s_waitcnt vmcnt(0)
	v_mad_u64_u32 v[26:27], null, v6, 24, v[29:30]
	v_mov_b32_e32 v6, v27
	v_mad_u64_u32 v[22:23], null, v22, 24, v[6:7]
	v_mov_b32_e32 v27, v22
	global_load_dwordx2 v[22:23], v[26:27], off glc dlc
	s_waitcnt vmcnt(0)
	global_atomic_cmpswap_x2 v[26:27], v7, v[22:25], s[26:27] offset:24 glc
	s_waitcnt vmcnt(0)
	buffer_gl1_inv
	buffer_gl0_inv
	v_cmp_eq_u64_e32 vcc_lo, v[26:27], v[24:25]
	s_or_b32 s19, vcc_lo, s19
	s_andn2_b32 exec_lo, exec_lo, s19
	s_cbranch_execnz .LBB6_484
; %bb.485:                              ;   in Loop: Header=BB6_432 Depth=1
	s_or_b32 exec_lo, exec_lo, s19
.LBB6_486:                              ;   in Loop: Header=BB6_432 Depth=1
	s_or_b32 exec_lo, exec_lo, s18
.LBB6_487:                              ;   in Loop: Header=BB6_432 Depth=1
	s_or_b32 exec_lo, exec_lo, s5
	s_clause 0x1
	global_load_dwordx2 v[29:30], v7, s[26:27] offset:40
	global_load_dwordx4 v[22:25], v7, s[26:27]
	v_readfirstlane_b32 s18, v26
	v_readfirstlane_b32 s19, v27
	s_mov_b32 s5, exec_lo
	s_waitcnt vmcnt(1)
	v_readfirstlane_b32 s20, v29
	v_readfirstlane_b32 s21, v30
	s_and_b64 s[20:21], s[18:19], s[20:21]
	s_mul_i32 s22, s21, 24
	s_mul_hi_u32 s23, s20, 24
	s_mul_i32 s24, s20, 24
	s_add_i32 s23, s23, s22
	s_waitcnt vmcnt(0)
	v_add_co_u32 v26, vcc_lo, v22, s24
	v_add_co_ci_u32_e32 v27, vcc_lo, s23, v23, vcc_lo
	s_and_saveexec_b32 s22, s4
	s_cbranch_execz .LBB6_489
; %bb.488:                              ;   in Loop: Header=BB6_432 Depth=1
	v_mov_b32_e32 v6, s5
	global_store_dwordx4 v[26:27], v[6:9], off offset:8
.LBB6_489:                              ;   in Loop: Header=BB6_432 Depth=1
	s_or_b32 exec_lo, exec_lo, s22
	s_lshl_b64 s[20:21], s[20:21], 12
	v_cmp_gt_u64_e64 vcc_lo, s[10:11], 56
	v_or_b32_e32 v29, v0, v28
	v_add_co_u32 v24, s5, v24, s20
	v_add_co_ci_u32_e64 v25, s5, s21, v25, s5
	s_lshl_b32 s5, s16, 2
	v_or_b32_e32 v6, 0, v1
	v_cndmask_b32_e32 v0, v29, v0, vcc_lo
	s_add_i32 s5, s5, 28
	v_readfirstlane_b32 s20, v24
	s_and_b32 s5, s5, 0x1e0
	v_cndmask_b32_e32 v1, v6, v1, vcc_lo
	v_readfirstlane_b32 s21, v25
	v_and_or_b32 v0, 0xffffff1f, v0, s5
	global_store_dwordx4 v48, v[0:3], s[20:21]
	global_store_dwordx4 v48, v[10:13], s[20:21] offset:16
	global_store_dwordx4 v48, v[14:17], s[20:21] offset:32
	;; [unrolled: 1-line block ×3, first 2 shown]
	s_and_saveexec_b32 s5, s4
	s_cbranch_execz .LBB6_497
; %bb.490:                              ;   in Loop: Header=BB6_432 Depth=1
	s_clause 0x1
	global_load_dwordx2 v[14:15], v7, s[26:27] offset:32 glc dlc
	global_load_dwordx2 v[0:1], v7, s[26:27] offset:40
	v_mov_b32_e32 v12, s18
	v_mov_b32_e32 v13, s19
	s_waitcnt vmcnt(0)
	v_readfirstlane_b32 s20, v0
	v_readfirstlane_b32 s21, v1
	s_and_b64 s[20:21], s[20:21], s[18:19]
	s_mul_i32 s21, s21, 24
	s_mul_hi_u32 s22, s20, 24
	s_mul_i32 s20, s20, 24
	s_add_i32 s22, s22, s21
	v_add_co_u32 v10, vcc_lo, v22, s20
	v_add_co_ci_u32_e32 v11, vcc_lo, s22, v23, vcc_lo
	s_mov_b32 s20, exec_lo
	global_store_dwordx2 v[10:11], v[14:15], off
	s_waitcnt_vscnt null, 0x0
	global_atomic_cmpswap_x2 v[2:3], v7, v[12:15], s[26:27] offset:32 glc
	s_waitcnt vmcnt(0)
	v_cmpx_ne_u64_e64 v[2:3], v[14:15]
	s_cbranch_execz .LBB6_493
; %bb.491:                              ;   in Loop: Header=BB6_432 Depth=1
	s_mov_b32 s21, 0
.LBB6_492:                              ;   Parent Loop BB6_432 Depth=1
                                        ; =>  This Inner Loop Header: Depth=2
	v_mov_b32_e32 v0, s18
	v_mov_b32_e32 v1, s19
	s_sleep 1
	global_store_dwordx2 v[10:11], v[2:3], off
	s_waitcnt_vscnt null, 0x0
	global_atomic_cmpswap_x2 v[0:1], v7, v[0:3], s[26:27] offset:32 glc
	s_waitcnt vmcnt(0)
	v_cmp_eq_u64_e32 vcc_lo, v[0:1], v[2:3]
	v_mov_b32_e32 v3, v1
	v_mov_b32_e32 v2, v0
	s_or_b32 s21, vcc_lo, s21
	s_andn2_b32 exec_lo, exec_lo, s21
	s_cbranch_execnz .LBB6_492
.LBB6_493:                              ;   in Loop: Header=BB6_432 Depth=1
	s_or_b32 exec_lo, exec_lo, s20
	global_load_dwordx2 v[0:1], v7, s[26:27] offset:16
	s_mov_b32 s21, exec_lo
	s_mov_b32 s20, exec_lo
	v_mbcnt_lo_u32_b32 v2, s21, 0
	v_cmpx_eq_u32_e32 0, v2
	s_cbranch_execz .LBB6_495
; %bb.494:                              ;   in Loop: Header=BB6_432 Depth=1
	s_bcnt1_i32_b32 s21, s21
	v_mov_b32_e32 v6, s21
	s_waitcnt vmcnt(0)
	global_atomic_add_x2 v[0:1], v[6:7], off offset:8
.LBB6_495:                              ;   in Loop: Header=BB6_432 Depth=1
	s_or_b32 exec_lo, exec_lo, s20
	s_waitcnt vmcnt(0)
	global_load_dwordx2 v[2:3], v[0:1], off offset:16
	s_waitcnt vmcnt(0)
	v_cmp_eq_u64_e32 vcc_lo, 0, v[2:3]
	s_cbranch_vccnz .LBB6_497
; %bb.496:                              ;   in Loop: Header=BB6_432 Depth=1
	global_load_dword v6, v[0:1], off offset:24
	s_waitcnt vmcnt(0)
	v_and_b32_e32 v0, 0x7fffff, v6
	s_waitcnt_vscnt null, 0x0
	global_store_dwordx2 v[2:3], v[6:7], off
	v_readfirstlane_b32 m0, v0
	s_sendmsg sendmsg(MSG_INTERRUPT)
.LBB6_497:                              ;   in Loop: Header=BB6_432 Depth=1
	s_or_b32 exec_lo, exec_lo, s5
	v_add_co_u32 v0, vcc_lo, v24, v48
	v_add_co_ci_u32_e32 v1, vcc_lo, 0, v25, vcc_lo
	s_branch .LBB6_501
	.p2align	6
.LBB6_498:                              ;   in Loop: Header=BB6_501 Depth=2
	s_or_b32 exec_lo, exec_lo, s5
	v_readfirstlane_b32 s5, v2
	s_cmp_eq_u32 s5, 0
	s_cbranch_scc1 .LBB6_500
; %bb.499:                              ;   in Loop: Header=BB6_501 Depth=2
	s_sleep 1
	s_cbranch_execnz .LBB6_501
	s_branch .LBB6_503
	.p2align	6
.LBB6_500:                              ;   in Loop: Header=BB6_432 Depth=1
	s_branch .LBB6_503
.LBB6_501:                              ;   Parent Loop BB6_432 Depth=1
                                        ; =>  This Inner Loop Header: Depth=2
	v_mov_b32_e32 v2, 1
	s_and_saveexec_b32 s5, s4
	s_cbranch_execz .LBB6_498
; %bb.502:                              ;   in Loop: Header=BB6_501 Depth=2
	global_load_dword v2, v[26:27], off offset:20 glc dlc
	s_waitcnt vmcnt(0)
	buffer_gl1_inv
	buffer_gl0_inv
	v_and_b32_e32 v2, 1, v2
	s_branch .LBB6_498
.LBB6_503:                              ;   in Loop: Header=BB6_432 Depth=1
	global_load_dwordx4 v[0:3], v[0:1], off
	s_and_saveexec_b32 s5, s4
	s_cbranch_execz .LBB6_431
; %bb.504:                              ;   in Loop: Header=BB6_432 Depth=1
	s_clause 0x2
	global_load_dwordx2 v[2:3], v7, s[26:27] offset:40
	global_load_dwordx2 v[14:15], v7, s[26:27] offset:24 glc dlc
	global_load_dwordx2 v[12:13], v7, s[26:27]
	s_waitcnt vmcnt(2)
	v_add_co_u32 v6, vcc_lo, v2, 1
	v_add_co_ci_u32_e32 v16, vcc_lo, 0, v3, vcc_lo
	v_add_co_u32 v10, vcc_lo, v6, s18
	v_add_co_ci_u32_e32 v11, vcc_lo, s19, v16, vcc_lo
	v_cmp_eq_u64_e32 vcc_lo, 0, v[10:11]
	v_cndmask_b32_e32 v11, v11, v16, vcc_lo
	v_cndmask_b32_e32 v10, v10, v6, vcc_lo
	v_and_b32_e32 v3, v11, v3
	v_and_b32_e32 v2, v10, v2
	v_mul_lo_u32 v3, v3, 24
	v_mul_hi_u32 v6, v2, 24
	v_mul_lo_u32 v2, v2, 24
	v_add_nc_u32_e32 v3, v6, v3
	s_waitcnt vmcnt(0)
	v_add_co_u32 v2, vcc_lo, v12, v2
	v_mov_b32_e32 v12, v14
	v_add_co_ci_u32_e32 v3, vcc_lo, v13, v3, vcc_lo
	v_mov_b32_e32 v13, v15
	global_store_dwordx2 v[2:3], v[14:15], off
	s_waitcnt_vscnt null, 0x0
	global_atomic_cmpswap_x2 v[12:13], v7, v[10:13], s[26:27] offset:24 glc
	s_waitcnt vmcnt(0)
	v_cmp_ne_u64_e32 vcc_lo, v[12:13], v[14:15]
	s_and_b32 exec_lo, exec_lo, vcc_lo
	s_cbranch_execz .LBB6_431
; %bb.505:                              ;   in Loop: Header=BB6_432 Depth=1
	s_mov_b32 s4, 0
.LBB6_506:                              ;   Parent Loop BB6_432 Depth=1
                                        ; =>  This Inner Loop Header: Depth=2
	s_sleep 1
	global_store_dwordx2 v[2:3], v[12:13], off
	s_waitcnt_vscnt null, 0x0
	global_atomic_cmpswap_x2 v[14:15], v7, v[10:13], s[26:27] offset:24 glc
	s_waitcnt vmcnt(0)
	v_cmp_eq_u64_e32 vcc_lo, v[14:15], v[12:13]
	v_mov_b32_e32 v12, v14
	v_mov_b32_e32 v13, v15
	s_or_b32 s4, vcc_lo, s4
	s_andn2_b32 exec_lo, exec_lo, s4
	s_cbranch_execnz .LBB6_506
	s_branch .LBB6_431
.LBB6_507:
	s_branch .LBB6_536
.LBB6_508:
                                        ; implicit-def: $vgpr0_vgpr1
	s_cbranch_execz .LBB6_536
; %bb.509:
	v_readfirstlane_b32 s4, v49
	v_mov_b32_e32 v7, 0
	v_mov_b32_e32 v8, 0
	v_cmp_eq_u32_e64 s4, s4, v49
	s_and_saveexec_b32 s5, s4
	s_cbranch_execz .LBB6_515
; %bb.510:
	s_waitcnt vmcnt(0)
	v_mov_b32_e32 v0, 0
	s_mov_b32 s6, exec_lo
	global_load_dwordx2 v[9:10], v0, s[26:27] offset:24 glc dlc
	s_waitcnt vmcnt(0)
	buffer_gl1_inv
	buffer_gl0_inv
	s_clause 0x1
	global_load_dwordx2 v[1:2], v0, s[26:27] offset:40
	global_load_dwordx2 v[6:7], v0, s[26:27]
	s_waitcnt vmcnt(1)
	v_and_b32_e32 v2, v2, v10
	v_and_b32_e32 v1, v1, v9
	v_mul_lo_u32 v2, v2, 24
	v_mul_hi_u32 v3, v1, 24
	v_mul_lo_u32 v1, v1, 24
	v_add_nc_u32_e32 v2, v3, v2
	s_waitcnt vmcnt(0)
	v_add_co_u32 v1, vcc_lo, v6, v1
	v_add_co_ci_u32_e32 v2, vcc_lo, v7, v2, vcc_lo
	global_load_dwordx2 v[7:8], v[1:2], off glc dlc
	s_waitcnt vmcnt(0)
	global_atomic_cmpswap_x2 v[7:8], v0, v[7:10], s[26:27] offset:24 glc
	s_waitcnt vmcnt(0)
	buffer_gl1_inv
	buffer_gl0_inv
	v_cmpx_ne_u64_e64 v[7:8], v[9:10]
	s_cbranch_execz .LBB6_514
; %bb.511:
	s_mov_b32 s7, 0
	.p2align	6
.LBB6_512:                              ; =>This Inner Loop Header: Depth=1
	s_sleep 1
	s_clause 0x1
	global_load_dwordx2 v[1:2], v0, s[26:27] offset:40
	global_load_dwordx2 v[11:12], v0, s[26:27]
	v_mov_b32_e32 v10, v8
	v_mov_b32_e32 v9, v7
	s_waitcnt vmcnt(1)
	v_and_b32_e32 v1, v1, v9
	v_and_b32_e32 v2, v2, v10
	s_waitcnt vmcnt(0)
	v_mad_u64_u32 v[6:7], null, v1, 24, v[11:12]
	v_mov_b32_e32 v1, v7
	v_mad_u64_u32 v[1:2], null, v2, 24, v[1:2]
	v_mov_b32_e32 v7, v1
	global_load_dwordx2 v[7:8], v[6:7], off glc dlc
	s_waitcnt vmcnt(0)
	global_atomic_cmpswap_x2 v[7:8], v0, v[7:10], s[26:27] offset:24 glc
	s_waitcnt vmcnt(0)
	buffer_gl1_inv
	buffer_gl0_inv
	v_cmp_eq_u64_e32 vcc_lo, v[7:8], v[9:10]
	s_or_b32 s7, vcc_lo, s7
	s_andn2_b32 exec_lo, exec_lo, s7
	s_cbranch_execnz .LBB6_512
; %bb.513:
	s_or_b32 exec_lo, exec_lo, s7
.LBB6_514:
	s_or_b32 exec_lo, exec_lo, s6
.LBB6_515:
	s_or_b32 exec_lo, exec_lo, s5
	v_mov_b32_e32 v6, 0
	v_readfirstlane_b32 s6, v7
	v_readfirstlane_b32 s7, v8
	s_mov_b32 s5, exec_lo
	s_clause 0x1
	global_load_dwordx2 v[9:10], v6, s[26:27] offset:40
	global_load_dwordx4 v[0:3], v6, s[26:27]
	s_waitcnt vmcnt(1)
	v_readfirstlane_b32 s10, v9
	v_readfirstlane_b32 s11, v10
	s_and_b64 s[10:11], s[6:7], s[10:11]
	s_mul_i32 s16, s11, 24
	s_mul_hi_u32 s17, s10, 24
	s_mul_i32 s18, s10, 24
	s_add_i32 s17, s17, s16
	s_waitcnt vmcnt(0)
	v_add_co_u32 v8, vcc_lo, v0, s18
	v_add_co_ci_u32_e32 v9, vcc_lo, s17, v1, vcc_lo
	s_and_saveexec_b32 s16, s4
	s_cbranch_execz .LBB6_517
; %bb.516:
	v_mov_b32_e32 v10, s5
	v_mov_b32_e32 v11, v6
	;; [unrolled: 1-line block ×4, first 2 shown]
	global_store_dwordx4 v[8:9], v[10:13], off offset:8
.LBB6_517:
	s_or_b32 exec_lo, exec_lo, s16
	s_lshl_b64 s[10:11], s[10:11], 12
	s_mov_b32 s16, 0
	v_add_co_u32 v2, vcc_lo, v2, s10
	v_add_co_ci_u32_e32 v3, vcc_lo, s11, v3, vcc_lo
	s_mov_b32 s17, s16
	v_add_co_u32 v10, vcc_lo, v2, v48
	s_mov_b32 s18, s16
	s_mov_b32 s19, s16
	v_and_or_b32 v4, 0xffffff1f, v4, 32
	v_mov_b32_e32 v7, v6
	v_readfirstlane_b32 s10, v2
	v_readfirstlane_b32 s11, v3
	v_mov_b32_e32 v12, s16
	v_add_co_ci_u32_e32 v11, vcc_lo, 0, v3, vcc_lo
	v_mov_b32_e32 v13, s17
	v_mov_b32_e32 v14, s18
	;; [unrolled: 1-line block ×3, first 2 shown]
	global_store_dwordx4 v48, v[4:7], s[10:11]
	global_store_dwordx4 v48, v[12:15], s[10:11] offset:16
	global_store_dwordx4 v48, v[12:15], s[10:11] offset:32
	;; [unrolled: 1-line block ×3, first 2 shown]
	s_and_saveexec_b32 s5, s4
	s_cbranch_execz .LBB6_525
; %bb.518:
	v_mov_b32_e32 v6, 0
	v_mov_b32_e32 v12, s6
	;; [unrolled: 1-line block ×3, first 2 shown]
	s_clause 0x1
	global_load_dwordx2 v[14:15], v6, s[26:27] offset:32 glc dlc
	global_load_dwordx2 v[2:3], v6, s[26:27] offset:40
	s_waitcnt vmcnt(0)
	v_readfirstlane_b32 s10, v2
	v_readfirstlane_b32 s11, v3
	s_and_b64 s[10:11], s[10:11], s[6:7]
	s_mul_i32 s11, s11, 24
	s_mul_hi_u32 s16, s10, 24
	s_mul_i32 s10, s10, 24
	s_add_i32 s16, s16, s11
	v_add_co_u32 v4, vcc_lo, v0, s10
	v_add_co_ci_u32_e32 v5, vcc_lo, s16, v1, vcc_lo
	s_mov_b32 s10, exec_lo
	global_store_dwordx2 v[4:5], v[14:15], off
	s_waitcnt_vscnt null, 0x0
	global_atomic_cmpswap_x2 v[2:3], v6, v[12:15], s[26:27] offset:32 glc
	s_waitcnt vmcnt(0)
	v_cmpx_ne_u64_e64 v[2:3], v[14:15]
	s_cbranch_execz .LBB6_521
; %bb.519:
	s_mov_b32 s11, 0
.LBB6_520:                              ; =>This Inner Loop Header: Depth=1
	v_mov_b32_e32 v0, s6
	v_mov_b32_e32 v1, s7
	s_sleep 1
	global_store_dwordx2 v[4:5], v[2:3], off
	s_waitcnt_vscnt null, 0x0
	global_atomic_cmpswap_x2 v[0:1], v6, v[0:3], s[26:27] offset:32 glc
	s_waitcnt vmcnt(0)
	v_cmp_eq_u64_e32 vcc_lo, v[0:1], v[2:3]
	v_mov_b32_e32 v3, v1
	v_mov_b32_e32 v2, v0
	s_or_b32 s11, vcc_lo, s11
	s_andn2_b32 exec_lo, exec_lo, s11
	s_cbranch_execnz .LBB6_520
.LBB6_521:
	s_or_b32 exec_lo, exec_lo, s10
	v_mov_b32_e32 v3, 0
	s_mov_b32 s11, exec_lo
	s_mov_b32 s10, exec_lo
	v_mbcnt_lo_u32_b32 v2, s11, 0
	global_load_dwordx2 v[0:1], v3, s[26:27] offset:16
	v_cmpx_eq_u32_e32 0, v2
	s_cbranch_execz .LBB6_523
; %bb.522:
	s_bcnt1_i32_b32 s11, s11
	v_mov_b32_e32 v2, s11
	s_waitcnt vmcnt(0)
	global_atomic_add_x2 v[0:1], v[2:3], off offset:8
.LBB6_523:
	s_or_b32 exec_lo, exec_lo, s10
	s_waitcnt vmcnt(0)
	global_load_dwordx2 v[2:3], v[0:1], off offset:16
	s_waitcnt vmcnt(0)
	v_cmp_eq_u64_e32 vcc_lo, 0, v[2:3]
	s_cbranch_vccnz .LBB6_525
; %bb.524:
	global_load_dword v0, v[0:1], off offset:24
	v_mov_b32_e32 v1, 0
	s_waitcnt vmcnt(0)
	v_and_b32_e32 v4, 0x7fffff, v0
	s_waitcnt_vscnt null, 0x0
	global_store_dwordx2 v[2:3], v[0:1], off
	v_readfirstlane_b32 m0, v4
	s_sendmsg sendmsg(MSG_INTERRUPT)
.LBB6_525:
	s_or_b32 exec_lo, exec_lo, s5
	s_branch .LBB6_529
	.p2align	6
.LBB6_526:                              ;   in Loop: Header=BB6_529 Depth=1
	s_or_b32 exec_lo, exec_lo, s5
	v_readfirstlane_b32 s5, v0
	s_cmp_eq_u32 s5, 0
	s_cbranch_scc1 .LBB6_528
; %bb.527:                              ;   in Loop: Header=BB6_529 Depth=1
	s_sleep 1
	s_cbranch_execnz .LBB6_529
	s_branch .LBB6_531
	.p2align	6
.LBB6_528:
	s_branch .LBB6_531
.LBB6_529:                              ; =>This Inner Loop Header: Depth=1
	v_mov_b32_e32 v0, 1
	s_and_saveexec_b32 s5, s4
	s_cbranch_execz .LBB6_526
; %bb.530:                              ;   in Loop: Header=BB6_529 Depth=1
	global_load_dword v0, v[8:9], off offset:20 glc dlc
	s_waitcnt vmcnt(0)
	buffer_gl1_inv
	buffer_gl0_inv
	v_and_b32_e32 v0, 1, v0
	s_branch .LBB6_526
.LBB6_531:
	global_load_dwordx2 v[0:1], v[10:11], off
	s_and_saveexec_b32 s5, s4
	s_cbranch_execz .LBB6_535
; %bb.532:
	v_mov_b32_e32 v8, 0
	s_clause 0x2
	global_load_dwordx2 v[4:5], v8, s[26:27] offset:40
	global_load_dwordx2 v[9:10], v8, s[26:27] offset:24 glc dlc
	global_load_dwordx2 v[6:7], v8, s[26:27]
	s_waitcnt vmcnt(2)
	v_add_co_u32 v11, vcc_lo, v4, 1
	v_add_co_ci_u32_e32 v12, vcc_lo, 0, v5, vcc_lo
	v_add_co_u32 v2, vcc_lo, v11, s6
	v_add_co_ci_u32_e32 v3, vcc_lo, s7, v12, vcc_lo
	v_cmp_eq_u64_e32 vcc_lo, 0, v[2:3]
	v_cndmask_b32_e32 v3, v3, v12, vcc_lo
	v_cndmask_b32_e32 v2, v2, v11, vcc_lo
	v_and_b32_e32 v5, v3, v5
	v_and_b32_e32 v4, v2, v4
	v_mul_lo_u32 v5, v5, 24
	v_mul_hi_u32 v11, v4, 24
	v_mul_lo_u32 v4, v4, 24
	v_add_nc_u32_e32 v5, v11, v5
	s_waitcnt vmcnt(0)
	v_add_co_u32 v6, vcc_lo, v6, v4
	v_mov_b32_e32 v4, v9
	v_add_co_ci_u32_e32 v7, vcc_lo, v7, v5, vcc_lo
	v_mov_b32_e32 v5, v10
	global_store_dwordx2 v[6:7], v[9:10], off
	s_waitcnt_vscnt null, 0x0
	global_atomic_cmpswap_x2 v[4:5], v8, v[2:5], s[26:27] offset:24 glc
	s_waitcnt vmcnt(0)
	v_cmp_ne_u64_e32 vcc_lo, v[4:5], v[9:10]
	s_and_b32 exec_lo, exec_lo, vcc_lo
	s_cbranch_execz .LBB6_535
; %bb.533:
	s_mov_b32 s4, 0
.LBB6_534:                              ; =>This Inner Loop Header: Depth=1
	s_sleep 1
	global_store_dwordx2 v[6:7], v[4:5], off
	s_waitcnt_vscnt null, 0x0
	global_atomic_cmpswap_x2 v[9:10], v8, v[2:5], s[26:27] offset:24 glc
	s_waitcnt vmcnt(0)
	v_cmp_eq_u64_e32 vcc_lo, v[9:10], v[4:5]
	v_mov_b32_e32 v4, v9
	v_mov_b32_e32 v5, v10
	s_or_b32 s4, vcc_lo, s4
	s_andn2_b32 exec_lo, exec_lo, s4
	s_cbranch_execnz .LBB6_534
.LBB6_535:
	s_or_b32 exec_lo, exec_lo, s5
.LBB6_536:
	s_getpc_b64 s[6:7]
	s_add_u32 s6, s6, .str.1@rel32@lo+4
	s_addc_u32 s7, s7, .str.1@rel32@hi+12
	s_cmp_lg_u64 s[6:7], 0
	s_cbranch_scc0 .LBB6_615
; %bb.537:
	s_waitcnt vmcnt(0)
	v_and_b32_e32 v6, -3, v0
	v_mov_b32_e32 v7, v1
	v_mov_b32_e32 v3, 0
	v_mov_b32_e32 v4, 2
	v_mov_b32_e32 v5, 1
	s_mov_b64 s[10:11], 0x53
	s_branch .LBB6_539
.LBB6_538:                              ;   in Loop: Header=BB6_539 Depth=1
	s_or_b32 exec_lo, exec_lo, s5
	s_sub_u32 s10, s10, s16
	s_subb_u32 s11, s11, s17
	s_add_u32 s6, s6, s16
	s_addc_u32 s7, s7, s17
	s_cmp_lg_u64 s[10:11], 0
	s_cbranch_scc0 .LBB6_614
.LBB6_539:                              ; =>This Loop Header: Depth=1
                                        ;     Child Loop BB6_548 Depth 2
                                        ;     Child Loop BB6_544 Depth 2
	;; [unrolled: 1-line block ×11, first 2 shown]
	v_cmp_lt_u64_e64 s4, s[10:11], 56
	v_cmp_gt_u64_e64 s5, s[10:11], 7
                                        ; implicit-def: $sgpr22
	s_and_b32 s4, s4, exec_lo
	s_cselect_b32 s17, s11, 0
	s_cselect_b32 s16, s10, 56
	s_and_b32 vcc_lo, exec_lo, s5
	s_mov_b32 s4, -1
	s_cbranch_vccz .LBB6_546
; %bb.540:                              ;   in Loop: Header=BB6_539 Depth=1
	s_andn2_b32 vcc_lo, exec_lo, s4
	s_mov_b64 s[4:5], s[6:7]
	s_cbranch_vccz .LBB6_550
.LBB6_541:                              ;   in Loop: Header=BB6_539 Depth=1
	s_cmp_gt_u32 s22, 7
	s_cbranch_scc1 .LBB6_551
.LBB6_542:                              ;   in Loop: Header=BB6_539 Depth=1
	v_mov_b32_e32 v10, 0
	v_mov_b32_e32 v11, 0
	s_cmp_eq_u32 s22, 0
	s_cbranch_scc1 .LBB6_545
; %bb.543:                              ;   in Loop: Header=BB6_539 Depth=1
	s_mov_b64 s[18:19], 0
	s_mov_b64 s[20:21], 0
.LBB6_544:                              ;   Parent Loop BB6_539 Depth=1
                                        ; =>  This Inner Loop Header: Depth=2
	s_add_u32 s24, s4, s20
	s_addc_u32 s25, s5, s21
	s_add_u32 s20, s20, 1
	global_load_ubyte v2, v3, s[24:25]
	s_addc_u32 s21, s21, 0
	s_waitcnt vmcnt(0)
	v_and_b32_e32 v2, 0xffff, v2
	v_lshlrev_b64 v[12:13], s18, v[2:3]
	s_add_u32 s18, s18, 8
	s_addc_u32 s19, s19, 0
	s_cmp_lg_u32 s22, s20
	v_or_b32_e32 v10, v12, v10
	v_or_b32_e32 v11, v13, v11
	s_cbranch_scc1 .LBB6_544
.LBB6_545:                              ;   in Loop: Header=BB6_539 Depth=1
	s_mov_b32 s23, 0
	s_cbranch_execz .LBB6_552
	s_branch .LBB6_553
.LBB6_546:                              ;   in Loop: Header=BB6_539 Depth=1
	s_waitcnt vmcnt(0)
	v_mov_b32_e32 v8, 0
	v_mov_b32_e32 v9, 0
	s_cmp_eq_u64 s[10:11], 0
	s_mov_b64 s[4:5], 0
	s_cbranch_scc1 .LBB6_549
; %bb.547:                              ;   in Loop: Header=BB6_539 Depth=1
	v_mov_b32_e32 v8, 0
	v_mov_b32_e32 v9, 0
	s_lshl_b64 s[18:19], s[16:17], 3
	s_mov_b64 s[20:21], s[6:7]
.LBB6_548:                              ;   Parent Loop BB6_539 Depth=1
                                        ; =>  This Inner Loop Header: Depth=2
	global_load_ubyte v2, v3, s[20:21]
	s_waitcnt vmcnt(0)
	v_and_b32_e32 v2, 0xffff, v2
	v_lshlrev_b64 v[10:11], s4, v[2:3]
	s_add_u32 s4, s4, 8
	s_addc_u32 s5, s5, 0
	s_add_u32 s20, s20, 1
	s_addc_u32 s21, s21, 0
	s_cmp_lg_u32 s18, s4
	v_or_b32_e32 v8, v10, v8
	v_or_b32_e32 v9, v11, v9
	s_cbranch_scc1 .LBB6_548
.LBB6_549:                              ;   in Loop: Header=BB6_539 Depth=1
	s_mov_b32 s22, 0
	s_mov_b64 s[4:5], s[6:7]
	s_cbranch_execnz .LBB6_541
.LBB6_550:                              ;   in Loop: Header=BB6_539 Depth=1
	global_load_dwordx2 v[8:9], v3, s[6:7]
	s_add_i32 s22, s16, -8
	s_add_u32 s4, s6, 8
	s_addc_u32 s5, s7, 0
	s_cmp_gt_u32 s22, 7
	s_cbranch_scc0 .LBB6_542
.LBB6_551:                              ;   in Loop: Header=BB6_539 Depth=1
                                        ; implicit-def: $vgpr10_vgpr11
                                        ; implicit-def: $sgpr23
.LBB6_552:                              ;   in Loop: Header=BB6_539 Depth=1
	global_load_dwordx2 v[10:11], v3, s[4:5]
	s_add_i32 s23, s22, -8
	s_add_u32 s4, s4, 8
	s_addc_u32 s5, s5, 0
.LBB6_553:                              ;   in Loop: Header=BB6_539 Depth=1
	s_cmp_gt_u32 s23, 7
	s_cbranch_scc1 .LBB6_558
; %bb.554:                              ;   in Loop: Header=BB6_539 Depth=1
	v_mov_b32_e32 v12, 0
	v_mov_b32_e32 v13, 0
	s_cmp_eq_u32 s23, 0
	s_cbranch_scc1 .LBB6_557
; %bb.555:                              ;   in Loop: Header=BB6_539 Depth=1
	s_mov_b64 s[18:19], 0
	s_mov_b64 s[20:21], 0
.LBB6_556:                              ;   Parent Loop BB6_539 Depth=1
                                        ; =>  This Inner Loop Header: Depth=2
	s_add_u32 s24, s4, s20
	s_addc_u32 s25, s5, s21
	s_add_u32 s20, s20, 1
	global_load_ubyte v2, v3, s[24:25]
	s_addc_u32 s21, s21, 0
	s_waitcnt vmcnt(0)
	v_and_b32_e32 v2, 0xffff, v2
	v_lshlrev_b64 v[14:15], s18, v[2:3]
	s_add_u32 s18, s18, 8
	s_addc_u32 s19, s19, 0
	s_cmp_lg_u32 s23, s20
	v_or_b32_e32 v12, v14, v12
	v_or_b32_e32 v13, v15, v13
	s_cbranch_scc1 .LBB6_556
.LBB6_557:                              ;   in Loop: Header=BB6_539 Depth=1
	s_mov_b32 s22, 0
	s_cbranch_execz .LBB6_559
	s_branch .LBB6_560
.LBB6_558:                              ;   in Loop: Header=BB6_539 Depth=1
                                        ; implicit-def: $sgpr22
.LBB6_559:                              ;   in Loop: Header=BB6_539 Depth=1
	global_load_dwordx2 v[12:13], v3, s[4:5]
	s_add_i32 s22, s23, -8
	s_add_u32 s4, s4, 8
	s_addc_u32 s5, s5, 0
.LBB6_560:                              ;   in Loop: Header=BB6_539 Depth=1
	s_cmp_gt_u32 s22, 7
	s_cbranch_scc1 .LBB6_565
; %bb.561:                              ;   in Loop: Header=BB6_539 Depth=1
	v_mov_b32_e32 v14, 0
	v_mov_b32_e32 v15, 0
	s_cmp_eq_u32 s22, 0
	s_cbranch_scc1 .LBB6_564
; %bb.562:                              ;   in Loop: Header=BB6_539 Depth=1
	s_mov_b64 s[18:19], 0
	s_mov_b64 s[20:21], 0
.LBB6_563:                              ;   Parent Loop BB6_539 Depth=1
                                        ; =>  This Inner Loop Header: Depth=2
	s_add_u32 s24, s4, s20
	s_addc_u32 s25, s5, s21
	s_add_u32 s20, s20, 1
	global_load_ubyte v2, v3, s[24:25]
	s_addc_u32 s21, s21, 0
	s_waitcnt vmcnt(0)
	v_and_b32_e32 v2, 0xffff, v2
	v_lshlrev_b64 v[16:17], s18, v[2:3]
	s_add_u32 s18, s18, 8
	s_addc_u32 s19, s19, 0
	s_cmp_lg_u32 s22, s20
	v_or_b32_e32 v14, v16, v14
	v_or_b32_e32 v15, v17, v15
	s_cbranch_scc1 .LBB6_563
.LBB6_564:                              ;   in Loop: Header=BB6_539 Depth=1
	s_mov_b32 s23, 0
	s_cbranch_execz .LBB6_566
	s_branch .LBB6_567
.LBB6_565:                              ;   in Loop: Header=BB6_539 Depth=1
                                        ; implicit-def: $vgpr14_vgpr15
                                        ; implicit-def: $sgpr23
.LBB6_566:                              ;   in Loop: Header=BB6_539 Depth=1
	global_load_dwordx2 v[14:15], v3, s[4:5]
	s_add_i32 s23, s22, -8
	s_add_u32 s4, s4, 8
	s_addc_u32 s5, s5, 0
.LBB6_567:                              ;   in Loop: Header=BB6_539 Depth=1
	s_cmp_gt_u32 s23, 7
	s_cbranch_scc1 .LBB6_572
; %bb.568:                              ;   in Loop: Header=BB6_539 Depth=1
	v_mov_b32_e32 v16, 0
	v_mov_b32_e32 v17, 0
	s_cmp_eq_u32 s23, 0
	s_cbranch_scc1 .LBB6_571
; %bb.569:                              ;   in Loop: Header=BB6_539 Depth=1
	s_mov_b64 s[18:19], 0
	s_mov_b64 s[20:21], 0
.LBB6_570:                              ;   Parent Loop BB6_539 Depth=1
                                        ; =>  This Inner Loop Header: Depth=2
	s_add_u32 s24, s4, s20
	s_addc_u32 s25, s5, s21
	s_add_u32 s20, s20, 1
	global_load_ubyte v2, v3, s[24:25]
	s_addc_u32 s21, s21, 0
	s_waitcnt vmcnt(0)
	v_and_b32_e32 v2, 0xffff, v2
	v_lshlrev_b64 v[18:19], s18, v[2:3]
	s_add_u32 s18, s18, 8
	s_addc_u32 s19, s19, 0
	s_cmp_lg_u32 s23, s20
	v_or_b32_e32 v16, v18, v16
	v_or_b32_e32 v17, v19, v17
	s_cbranch_scc1 .LBB6_570
.LBB6_571:                              ;   in Loop: Header=BB6_539 Depth=1
	s_mov_b32 s22, 0
	s_cbranch_execz .LBB6_573
	s_branch .LBB6_574
.LBB6_572:                              ;   in Loop: Header=BB6_539 Depth=1
                                        ; implicit-def: $sgpr22
.LBB6_573:                              ;   in Loop: Header=BB6_539 Depth=1
	global_load_dwordx2 v[16:17], v3, s[4:5]
	s_add_i32 s22, s23, -8
	s_add_u32 s4, s4, 8
	s_addc_u32 s5, s5, 0
.LBB6_574:                              ;   in Loop: Header=BB6_539 Depth=1
	s_cmp_gt_u32 s22, 7
	s_cbranch_scc1 .LBB6_579
; %bb.575:                              ;   in Loop: Header=BB6_539 Depth=1
	v_mov_b32_e32 v18, 0
	v_mov_b32_e32 v19, 0
	s_cmp_eq_u32 s22, 0
	s_cbranch_scc1 .LBB6_578
; %bb.576:                              ;   in Loop: Header=BB6_539 Depth=1
	s_mov_b64 s[18:19], 0
	s_mov_b64 s[20:21], 0
.LBB6_577:                              ;   Parent Loop BB6_539 Depth=1
                                        ; =>  This Inner Loop Header: Depth=2
	s_add_u32 s24, s4, s20
	s_addc_u32 s25, s5, s21
	s_add_u32 s20, s20, 1
	global_load_ubyte v2, v3, s[24:25]
	s_addc_u32 s21, s21, 0
	s_waitcnt vmcnt(0)
	v_and_b32_e32 v2, 0xffff, v2
	v_lshlrev_b64 v[20:21], s18, v[2:3]
	s_add_u32 s18, s18, 8
	s_addc_u32 s19, s19, 0
	s_cmp_lg_u32 s22, s20
	v_or_b32_e32 v18, v20, v18
	v_or_b32_e32 v19, v21, v19
	s_cbranch_scc1 .LBB6_577
.LBB6_578:                              ;   in Loop: Header=BB6_539 Depth=1
	s_mov_b32 s23, 0
	s_cbranch_execz .LBB6_580
	s_branch .LBB6_581
.LBB6_579:                              ;   in Loop: Header=BB6_539 Depth=1
                                        ; implicit-def: $vgpr18_vgpr19
                                        ; implicit-def: $sgpr23
.LBB6_580:                              ;   in Loop: Header=BB6_539 Depth=1
	global_load_dwordx2 v[18:19], v3, s[4:5]
	s_add_i32 s23, s22, -8
	s_add_u32 s4, s4, 8
	s_addc_u32 s5, s5, 0
.LBB6_581:                              ;   in Loop: Header=BB6_539 Depth=1
	s_cmp_gt_u32 s23, 7
	s_cbranch_scc1 .LBB6_586
; %bb.582:                              ;   in Loop: Header=BB6_539 Depth=1
	v_mov_b32_e32 v20, 0
	v_mov_b32_e32 v21, 0
	s_cmp_eq_u32 s23, 0
	s_cbranch_scc1 .LBB6_585
; %bb.583:                              ;   in Loop: Header=BB6_539 Depth=1
	s_mov_b64 s[18:19], 0
	s_mov_b64 s[20:21], s[4:5]
.LBB6_584:                              ;   Parent Loop BB6_539 Depth=1
                                        ; =>  This Inner Loop Header: Depth=2
	global_load_ubyte v2, v3, s[20:21]
	s_add_i32 s23, s23, -1
	s_waitcnt vmcnt(0)
	v_and_b32_e32 v2, 0xffff, v2
	v_lshlrev_b64 v[22:23], s18, v[2:3]
	s_add_u32 s18, s18, 8
	s_addc_u32 s19, s19, 0
	s_add_u32 s20, s20, 1
	s_addc_u32 s21, s21, 0
	s_cmp_lg_u32 s23, 0
	v_or_b32_e32 v20, v22, v20
	v_or_b32_e32 v21, v23, v21
	s_cbranch_scc1 .LBB6_584
.LBB6_585:                              ;   in Loop: Header=BB6_539 Depth=1
	s_cbranch_execz .LBB6_587
	s_branch .LBB6_588
.LBB6_586:                              ;   in Loop: Header=BB6_539 Depth=1
.LBB6_587:                              ;   in Loop: Header=BB6_539 Depth=1
	global_load_dwordx2 v[20:21], v3, s[4:5]
.LBB6_588:                              ;   in Loop: Header=BB6_539 Depth=1
	v_readfirstlane_b32 s4, v49
	v_mov_b32_e32 v26, 0
	v_mov_b32_e32 v27, 0
	v_cmp_eq_u32_e64 s4, s4, v49
	s_and_saveexec_b32 s5, s4
	s_cbranch_execz .LBB6_594
; %bb.589:                              ;   in Loop: Header=BB6_539 Depth=1
	global_load_dwordx2 v[24:25], v3, s[26:27] offset:24 glc dlc
	s_waitcnt vmcnt(0)
	buffer_gl1_inv
	buffer_gl0_inv
	s_clause 0x1
	global_load_dwordx2 v[22:23], v3, s[26:27] offset:40
	global_load_dwordx2 v[26:27], v3, s[26:27]
	s_mov_b32 s18, exec_lo
	s_waitcnt vmcnt(1)
	v_and_b32_e32 v2, v23, v25
	v_and_b32_e32 v22, v22, v24
	v_mul_lo_u32 v2, v2, 24
	v_mul_hi_u32 v23, v22, 24
	v_mul_lo_u32 v22, v22, 24
	v_add_nc_u32_e32 v2, v23, v2
	s_waitcnt vmcnt(0)
	v_add_co_u32 v22, vcc_lo, v26, v22
	v_add_co_ci_u32_e32 v23, vcc_lo, v27, v2, vcc_lo
	global_load_dwordx2 v[22:23], v[22:23], off glc dlc
	s_waitcnt vmcnt(0)
	global_atomic_cmpswap_x2 v[26:27], v3, v[22:25], s[26:27] offset:24 glc
	s_waitcnt vmcnt(0)
	buffer_gl1_inv
	buffer_gl0_inv
	v_cmpx_ne_u64_e64 v[26:27], v[24:25]
	s_cbranch_execz .LBB6_593
; %bb.590:                              ;   in Loop: Header=BB6_539 Depth=1
	s_mov_b32 s19, 0
	.p2align	6
.LBB6_591:                              ;   Parent Loop BB6_539 Depth=1
                                        ; =>  This Inner Loop Header: Depth=2
	s_sleep 1
	s_clause 0x1
	global_load_dwordx2 v[22:23], v3, s[26:27] offset:40
	global_load_dwordx2 v[28:29], v3, s[26:27]
	v_mov_b32_e32 v24, v26
	v_mov_b32_e32 v25, v27
	s_waitcnt vmcnt(1)
	v_and_b32_e32 v2, v22, v24
	v_and_b32_e32 v22, v23, v25
	s_waitcnt vmcnt(0)
	v_mad_u64_u32 v[26:27], null, v2, 24, v[28:29]
	v_mov_b32_e32 v2, v27
	v_mad_u64_u32 v[22:23], null, v22, 24, v[2:3]
	v_mov_b32_e32 v27, v22
	global_load_dwordx2 v[22:23], v[26:27], off glc dlc
	s_waitcnt vmcnt(0)
	global_atomic_cmpswap_x2 v[26:27], v3, v[22:25], s[26:27] offset:24 glc
	s_waitcnt vmcnt(0)
	buffer_gl1_inv
	buffer_gl0_inv
	v_cmp_eq_u64_e32 vcc_lo, v[26:27], v[24:25]
	s_or_b32 s19, vcc_lo, s19
	s_andn2_b32 exec_lo, exec_lo, s19
	s_cbranch_execnz .LBB6_591
; %bb.592:                              ;   in Loop: Header=BB6_539 Depth=1
	s_or_b32 exec_lo, exec_lo, s19
.LBB6_593:                              ;   in Loop: Header=BB6_539 Depth=1
	s_or_b32 exec_lo, exec_lo, s18
.LBB6_594:                              ;   in Loop: Header=BB6_539 Depth=1
	s_or_b32 exec_lo, exec_lo, s5
	s_clause 0x1
	global_load_dwordx2 v[28:29], v3, s[26:27] offset:40
	global_load_dwordx4 v[22:25], v3, s[26:27]
	v_readfirstlane_b32 s18, v26
	v_readfirstlane_b32 s19, v27
	s_mov_b32 s5, exec_lo
	s_waitcnt vmcnt(1)
	v_readfirstlane_b32 s20, v28
	v_readfirstlane_b32 s21, v29
	s_and_b64 s[20:21], s[18:19], s[20:21]
	s_mul_i32 s22, s21, 24
	s_mul_hi_u32 s23, s20, 24
	s_mul_i32 s24, s20, 24
	s_add_i32 s23, s23, s22
	s_waitcnt vmcnt(0)
	v_add_co_u32 v26, vcc_lo, v22, s24
	v_add_co_ci_u32_e32 v27, vcc_lo, s23, v23, vcc_lo
	s_and_saveexec_b32 s22, s4
	s_cbranch_execz .LBB6_596
; %bb.595:                              ;   in Loop: Header=BB6_539 Depth=1
	v_mov_b32_e32 v2, s5
	global_store_dwordx4 v[26:27], v[2:5], off offset:8
.LBB6_596:                              ;   in Loop: Header=BB6_539 Depth=1
	s_or_b32 exec_lo, exec_lo, s22
	s_lshl_b64 s[20:21], s[20:21], 12
	v_or_b32_e32 v2, 2, v6
	v_add_co_u32 v24, vcc_lo, v24, s20
	v_add_co_ci_u32_e32 v25, vcc_lo, s21, v25, vcc_lo
	v_cmp_gt_u64_e64 vcc_lo, s[10:11], 56
	s_lshl_b32 s5, s16, 2
	v_readfirstlane_b32 s20, v24
	s_add_i32 s5, s5, 28
	v_readfirstlane_b32 s21, v25
	s_and_b32 s5, s5, 0x1e0
	v_cndmask_b32_e32 v2, v2, v6, vcc_lo
	v_and_or_b32 v6, 0xffffff1f, v2, s5
	global_store_dwordx4 v48, v[10:13], s[20:21] offset:16
	global_store_dwordx4 v48, v[6:9], s[20:21]
	global_store_dwordx4 v48, v[14:17], s[20:21] offset:32
	global_store_dwordx4 v48, v[18:21], s[20:21] offset:48
	s_and_saveexec_b32 s5, s4
	s_cbranch_execz .LBB6_604
; %bb.597:                              ;   in Loop: Header=BB6_539 Depth=1
	s_clause 0x1
	global_load_dwordx2 v[14:15], v3, s[26:27] offset:32 glc dlc
	global_load_dwordx2 v[6:7], v3, s[26:27] offset:40
	v_mov_b32_e32 v12, s18
	v_mov_b32_e32 v13, s19
	s_waitcnt vmcnt(0)
	v_readfirstlane_b32 s20, v6
	v_readfirstlane_b32 s21, v7
	s_and_b64 s[20:21], s[20:21], s[18:19]
	s_mul_i32 s21, s21, 24
	s_mul_hi_u32 s22, s20, 24
	s_mul_i32 s20, s20, 24
	s_add_i32 s22, s22, s21
	v_add_co_u32 v10, vcc_lo, v22, s20
	v_add_co_ci_u32_e32 v11, vcc_lo, s22, v23, vcc_lo
	s_mov_b32 s20, exec_lo
	global_store_dwordx2 v[10:11], v[14:15], off
	s_waitcnt_vscnt null, 0x0
	global_atomic_cmpswap_x2 v[8:9], v3, v[12:15], s[26:27] offset:32 glc
	s_waitcnt vmcnt(0)
	v_cmpx_ne_u64_e64 v[8:9], v[14:15]
	s_cbranch_execz .LBB6_600
; %bb.598:                              ;   in Loop: Header=BB6_539 Depth=1
	s_mov_b32 s21, 0
.LBB6_599:                              ;   Parent Loop BB6_539 Depth=1
                                        ; =>  This Inner Loop Header: Depth=2
	v_mov_b32_e32 v6, s18
	v_mov_b32_e32 v7, s19
	s_sleep 1
	global_store_dwordx2 v[10:11], v[8:9], off
	s_waitcnt_vscnt null, 0x0
	global_atomic_cmpswap_x2 v[6:7], v3, v[6:9], s[26:27] offset:32 glc
	s_waitcnt vmcnt(0)
	v_cmp_eq_u64_e32 vcc_lo, v[6:7], v[8:9]
	v_mov_b32_e32 v9, v7
	v_mov_b32_e32 v8, v6
	s_or_b32 s21, vcc_lo, s21
	s_andn2_b32 exec_lo, exec_lo, s21
	s_cbranch_execnz .LBB6_599
.LBB6_600:                              ;   in Loop: Header=BB6_539 Depth=1
	s_or_b32 exec_lo, exec_lo, s20
	global_load_dwordx2 v[6:7], v3, s[26:27] offset:16
	s_mov_b32 s21, exec_lo
	s_mov_b32 s20, exec_lo
	v_mbcnt_lo_u32_b32 v2, s21, 0
	v_cmpx_eq_u32_e32 0, v2
	s_cbranch_execz .LBB6_602
; %bb.601:                              ;   in Loop: Header=BB6_539 Depth=1
	s_bcnt1_i32_b32 s21, s21
	v_mov_b32_e32 v2, s21
	s_waitcnt vmcnt(0)
	global_atomic_add_x2 v[6:7], v[2:3], off offset:8
.LBB6_602:                              ;   in Loop: Header=BB6_539 Depth=1
	s_or_b32 exec_lo, exec_lo, s20
	s_waitcnt vmcnt(0)
	global_load_dwordx2 v[8:9], v[6:7], off offset:16
	s_waitcnt vmcnt(0)
	v_cmp_eq_u64_e32 vcc_lo, 0, v[8:9]
	s_cbranch_vccnz .LBB6_604
; %bb.603:                              ;   in Loop: Header=BB6_539 Depth=1
	global_load_dword v2, v[6:7], off offset:24
	s_waitcnt vmcnt(0)
	v_and_b32_e32 v6, 0x7fffff, v2
	s_waitcnt_vscnt null, 0x0
	global_store_dwordx2 v[8:9], v[2:3], off
	v_readfirstlane_b32 m0, v6
	s_sendmsg sendmsg(MSG_INTERRUPT)
.LBB6_604:                              ;   in Loop: Header=BB6_539 Depth=1
	s_or_b32 exec_lo, exec_lo, s5
	v_add_co_u32 v6, vcc_lo, v24, v48
	v_add_co_ci_u32_e32 v7, vcc_lo, 0, v25, vcc_lo
	s_branch .LBB6_608
	.p2align	6
.LBB6_605:                              ;   in Loop: Header=BB6_608 Depth=2
	s_or_b32 exec_lo, exec_lo, s5
	v_readfirstlane_b32 s5, v2
	s_cmp_eq_u32 s5, 0
	s_cbranch_scc1 .LBB6_607
; %bb.606:                              ;   in Loop: Header=BB6_608 Depth=2
	s_sleep 1
	s_cbranch_execnz .LBB6_608
	s_branch .LBB6_610
	.p2align	6
.LBB6_607:                              ;   in Loop: Header=BB6_539 Depth=1
	s_branch .LBB6_610
.LBB6_608:                              ;   Parent Loop BB6_539 Depth=1
                                        ; =>  This Inner Loop Header: Depth=2
	v_mov_b32_e32 v2, 1
	s_and_saveexec_b32 s5, s4
	s_cbranch_execz .LBB6_605
; %bb.609:                              ;   in Loop: Header=BB6_608 Depth=2
	global_load_dword v2, v[26:27], off offset:20 glc dlc
	s_waitcnt vmcnt(0)
	buffer_gl1_inv
	buffer_gl0_inv
	v_and_b32_e32 v2, 1, v2
	s_branch .LBB6_605
.LBB6_610:                              ;   in Loop: Header=BB6_539 Depth=1
	global_load_dwordx4 v[6:9], v[6:7], off
	s_and_saveexec_b32 s5, s4
	s_cbranch_execz .LBB6_538
; %bb.611:                              ;   in Loop: Header=BB6_539 Depth=1
	s_clause 0x2
	global_load_dwordx2 v[10:11], v3, s[26:27] offset:40
	global_load_dwordx2 v[14:15], v3, s[26:27] offset:24 glc dlc
	global_load_dwordx2 v[12:13], v3, s[26:27]
	s_waitcnt vmcnt(2)
	v_add_co_u32 v2, vcc_lo, v10, 1
	v_add_co_ci_u32_e32 v16, vcc_lo, 0, v11, vcc_lo
	v_add_co_u32 v8, vcc_lo, v2, s18
	v_add_co_ci_u32_e32 v9, vcc_lo, s19, v16, vcc_lo
	v_cmp_eq_u64_e32 vcc_lo, 0, v[8:9]
	v_cndmask_b32_e32 v9, v9, v16, vcc_lo
	v_cndmask_b32_e32 v8, v8, v2, vcc_lo
	v_and_b32_e32 v2, v9, v11
	v_and_b32_e32 v10, v8, v10
	v_mul_lo_u32 v2, v2, 24
	v_mul_hi_u32 v11, v10, 24
	v_mul_lo_u32 v10, v10, 24
	v_add_nc_u32_e32 v2, v11, v2
	s_waitcnt vmcnt(0)
	v_add_co_u32 v12, vcc_lo, v12, v10
	v_mov_b32_e32 v10, v14
	v_mov_b32_e32 v11, v15
	v_add_co_ci_u32_e32 v13, vcc_lo, v13, v2, vcc_lo
	global_store_dwordx2 v[12:13], v[14:15], off
	s_waitcnt_vscnt null, 0x0
	global_atomic_cmpswap_x2 v[10:11], v3, v[8:11], s[26:27] offset:24 glc
	s_waitcnt vmcnt(0)
	v_cmp_ne_u64_e32 vcc_lo, v[10:11], v[14:15]
	s_and_b32 exec_lo, exec_lo, vcc_lo
	s_cbranch_execz .LBB6_538
; %bb.612:                              ;   in Loop: Header=BB6_539 Depth=1
	s_mov_b32 s4, 0
.LBB6_613:                              ;   Parent Loop BB6_539 Depth=1
                                        ; =>  This Inner Loop Header: Depth=2
	s_sleep 1
	global_store_dwordx2 v[12:13], v[10:11], off
	s_waitcnt_vscnt null, 0x0
	global_atomic_cmpswap_x2 v[14:15], v3, v[8:11], s[26:27] offset:24 glc
	s_waitcnt vmcnt(0)
	v_cmp_eq_u64_e32 vcc_lo, v[14:15], v[10:11]
	v_mov_b32_e32 v10, v14
	v_mov_b32_e32 v11, v15
	s_or_b32 s4, vcc_lo, s4
	s_andn2_b32 exec_lo, exec_lo, s4
	s_cbranch_execnz .LBB6_613
	s_branch .LBB6_538
.LBB6_614:
	s_branch .LBB6_643
.LBB6_615:
	s_cbranch_execz .LBB6_643
; %bb.616:
	v_readfirstlane_b32 s4, v49
	s_waitcnt vmcnt(0)
	v_mov_b32_e32 v8, 0
	v_mov_b32_e32 v9, 0
	v_cmp_eq_u32_e64 s4, s4, v49
	s_and_saveexec_b32 s5, s4
	s_cbranch_execz .LBB6_622
; %bb.617:
	v_mov_b32_e32 v2, 0
	s_mov_b32 s6, exec_lo
	global_load_dwordx2 v[5:6], v2, s[26:27] offset:24 glc dlc
	s_waitcnt vmcnt(0)
	buffer_gl1_inv
	buffer_gl0_inv
	s_clause 0x1
	global_load_dwordx2 v[3:4], v2, s[26:27] offset:40
	global_load_dwordx2 v[7:8], v2, s[26:27]
	s_waitcnt vmcnt(1)
	v_and_b32_e32 v4, v4, v6
	v_and_b32_e32 v3, v3, v5
	v_mul_lo_u32 v4, v4, 24
	v_mul_hi_u32 v9, v3, 24
	v_mul_lo_u32 v3, v3, 24
	v_add_nc_u32_e32 v4, v9, v4
	s_waitcnt vmcnt(0)
	v_add_co_u32 v3, vcc_lo, v7, v3
	v_add_co_ci_u32_e32 v4, vcc_lo, v8, v4, vcc_lo
	global_load_dwordx2 v[3:4], v[3:4], off glc dlc
	s_waitcnt vmcnt(0)
	global_atomic_cmpswap_x2 v[8:9], v2, v[3:6], s[26:27] offset:24 glc
	s_waitcnt vmcnt(0)
	buffer_gl1_inv
	buffer_gl0_inv
	v_cmpx_ne_u64_e64 v[8:9], v[5:6]
	s_cbranch_execz .LBB6_621
; %bb.618:
	s_mov_b32 s7, 0
	.p2align	6
.LBB6_619:                              ; =>This Inner Loop Header: Depth=1
	s_sleep 1
	s_clause 0x1
	global_load_dwordx2 v[3:4], v2, s[26:27] offset:40
	global_load_dwordx2 v[10:11], v2, s[26:27]
	v_mov_b32_e32 v5, v8
	v_mov_b32_e32 v6, v9
	s_waitcnt vmcnt(1)
	v_and_b32_e32 v3, v3, v5
	v_and_b32_e32 v4, v4, v6
	s_waitcnt vmcnt(0)
	v_mad_u64_u32 v[7:8], null, v3, 24, v[10:11]
	v_mov_b32_e32 v3, v8
	v_mad_u64_u32 v[3:4], null, v4, 24, v[3:4]
	v_mov_b32_e32 v8, v3
	global_load_dwordx2 v[3:4], v[7:8], off glc dlc
	s_waitcnt vmcnt(0)
	global_atomic_cmpswap_x2 v[8:9], v2, v[3:6], s[26:27] offset:24 glc
	s_waitcnt vmcnt(0)
	buffer_gl1_inv
	buffer_gl0_inv
	v_cmp_eq_u64_e32 vcc_lo, v[8:9], v[5:6]
	s_or_b32 s7, vcc_lo, s7
	s_andn2_b32 exec_lo, exec_lo, s7
	s_cbranch_execnz .LBB6_619
; %bb.620:
	s_or_b32 exec_lo, exec_lo, s7
.LBB6_621:
	s_or_b32 exec_lo, exec_lo, s6
.LBB6_622:
	s_or_b32 exec_lo, exec_lo, s5
	v_mov_b32_e32 v2, 0
	v_readfirstlane_b32 s6, v8
	v_readfirstlane_b32 s7, v9
	s_mov_b32 s5, exec_lo
	s_clause 0x1
	global_load_dwordx2 v[10:11], v2, s[26:27] offset:40
	global_load_dwordx4 v[4:7], v2, s[26:27]
	s_waitcnt vmcnt(1)
	v_readfirstlane_b32 s10, v10
	v_readfirstlane_b32 s11, v11
	s_and_b64 s[10:11], s[6:7], s[10:11]
	s_mul_i32 s16, s11, 24
	s_mul_hi_u32 s17, s10, 24
	s_mul_i32 s18, s10, 24
	s_add_i32 s17, s17, s16
	s_waitcnt vmcnt(0)
	v_add_co_u32 v8, vcc_lo, v4, s18
	v_add_co_ci_u32_e32 v9, vcc_lo, s17, v5, vcc_lo
	s_and_saveexec_b32 s16, s4
	s_cbranch_execz .LBB6_624
; %bb.623:
	v_mov_b32_e32 v10, s5
	v_mov_b32_e32 v11, v2
	;; [unrolled: 1-line block ×4, first 2 shown]
	global_store_dwordx4 v[8:9], v[10:13], off offset:8
.LBB6_624:
	s_or_b32 exec_lo, exec_lo, s16
	s_lshl_b64 s[10:11], s[10:11], 12
	s_mov_b32 s16, 0
	v_add_co_u32 v6, vcc_lo, v6, s10
	v_add_co_ci_u32_e32 v7, vcc_lo, s11, v7, vcc_lo
	s_mov_b32 s17, s16
	s_mov_b32 s18, s16
	;; [unrolled: 1-line block ×3, first 2 shown]
	v_and_or_b32 v0, 0xffffff1d, v0, 34
	v_mov_b32_e32 v3, v2
	v_readfirstlane_b32 s10, v6
	v_readfirstlane_b32 s11, v7
	v_mov_b32_e32 v10, s16
	v_mov_b32_e32 v11, s17
	;; [unrolled: 1-line block ×4, first 2 shown]
	global_store_dwordx4 v48, v[0:3], s[10:11]
	global_store_dwordx4 v48, v[10:13], s[10:11] offset:16
	global_store_dwordx4 v48, v[10:13], s[10:11] offset:32
	global_store_dwordx4 v48, v[10:13], s[10:11] offset:48
	s_and_saveexec_b32 s5, s4
	s_cbranch_execz .LBB6_632
; %bb.625:
	v_mov_b32_e32 v6, 0
	v_mov_b32_e32 v10, s6
	;; [unrolled: 1-line block ×3, first 2 shown]
	s_clause 0x1
	global_load_dwordx2 v[12:13], v6, s[26:27] offset:32 glc dlc
	global_load_dwordx2 v[0:1], v6, s[26:27] offset:40
	s_waitcnt vmcnt(0)
	v_readfirstlane_b32 s10, v0
	v_readfirstlane_b32 s11, v1
	s_and_b64 s[10:11], s[10:11], s[6:7]
	s_mul_i32 s11, s11, 24
	s_mul_hi_u32 s16, s10, 24
	s_mul_i32 s10, s10, 24
	s_add_i32 s16, s16, s11
	v_add_co_u32 v4, vcc_lo, v4, s10
	v_add_co_ci_u32_e32 v5, vcc_lo, s16, v5, vcc_lo
	s_mov_b32 s10, exec_lo
	global_store_dwordx2 v[4:5], v[12:13], off
	s_waitcnt_vscnt null, 0x0
	global_atomic_cmpswap_x2 v[2:3], v6, v[10:13], s[26:27] offset:32 glc
	s_waitcnt vmcnt(0)
	v_cmpx_ne_u64_e64 v[2:3], v[12:13]
	s_cbranch_execz .LBB6_628
; %bb.626:
	s_mov_b32 s11, 0
.LBB6_627:                              ; =>This Inner Loop Header: Depth=1
	v_mov_b32_e32 v0, s6
	v_mov_b32_e32 v1, s7
	s_sleep 1
	global_store_dwordx2 v[4:5], v[2:3], off
	s_waitcnt_vscnt null, 0x0
	global_atomic_cmpswap_x2 v[0:1], v6, v[0:3], s[26:27] offset:32 glc
	s_waitcnt vmcnt(0)
	v_cmp_eq_u64_e32 vcc_lo, v[0:1], v[2:3]
	v_mov_b32_e32 v3, v1
	v_mov_b32_e32 v2, v0
	s_or_b32 s11, vcc_lo, s11
	s_andn2_b32 exec_lo, exec_lo, s11
	s_cbranch_execnz .LBB6_627
.LBB6_628:
	s_or_b32 exec_lo, exec_lo, s10
	v_mov_b32_e32 v3, 0
	s_mov_b32 s11, exec_lo
	s_mov_b32 s10, exec_lo
	v_mbcnt_lo_u32_b32 v2, s11, 0
	global_load_dwordx2 v[0:1], v3, s[26:27] offset:16
	v_cmpx_eq_u32_e32 0, v2
	s_cbranch_execz .LBB6_630
; %bb.629:
	s_bcnt1_i32_b32 s11, s11
	v_mov_b32_e32 v2, s11
	s_waitcnt vmcnt(0)
	global_atomic_add_x2 v[0:1], v[2:3], off offset:8
.LBB6_630:
	s_or_b32 exec_lo, exec_lo, s10
	s_waitcnt vmcnt(0)
	global_load_dwordx2 v[2:3], v[0:1], off offset:16
	s_waitcnt vmcnt(0)
	v_cmp_eq_u64_e32 vcc_lo, 0, v[2:3]
	s_cbranch_vccnz .LBB6_632
; %bb.631:
	global_load_dword v0, v[0:1], off offset:24
	v_mov_b32_e32 v1, 0
	s_waitcnt vmcnt(0)
	v_and_b32_e32 v4, 0x7fffff, v0
	s_waitcnt_vscnt null, 0x0
	global_store_dwordx2 v[2:3], v[0:1], off
	v_readfirstlane_b32 m0, v4
	s_sendmsg sendmsg(MSG_INTERRUPT)
.LBB6_632:
	s_or_b32 exec_lo, exec_lo, s5
	s_branch .LBB6_636
	.p2align	6
.LBB6_633:                              ;   in Loop: Header=BB6_636 Depth=1
	s_or_b32 exec_lo, exec_lo, s5
	v_readfirstlane_b32 s5, v0
	s_cmp_eq_u32 s5, 0
	s_cbranch_scc1 .LBB6_635
; %bb.634:                              ;   in Loop: Header=BB6_636 Depth=1
	s_sleep 1
	s_cbranch_execnz .LBB6_636
	s_branch .LBB6_638
	.p2align	6
.LBB6_635:
	s_branch .LBB6_638
.LBB6_636:                              ; =>This Inner Loop Header: Depth=1
	v_mov_b32_e32 v0, 1
	s_and_saveexec_b32 s5, s4
	s_cbranch_execz .LBB6_633
; %bb.637:                              ;   in Loop: Header=BB6_636 Depth=1
	global_load_dword v0, v[8:9], off offset:20 glc dlc
	s_waitcnt vmcnt(0)
	buffer_gl1_inv
	buffer_gl0_inv
	v_and_b32_e32 v0, 1, v0
	s_branch .LBB6_633
.LBB6_638:
	s_and_saveexec_b32 s5, s4
	s_cbranch_execz .LBB6_642
; %bb.639:
	v_mov_b32_e32 v6, 0
	s_clause 0x2
	global_load_dwordx2 v[2:3], v6, s[26:27] offset:40
	global_load_dwordx2 v[7:8], v6, s[26:27] offset:24 glc dlc
	global_load_dwordx2 v[4:5], v6, s[26:27]
	s_waitcnt vmcnt(2)
	v_add_co_u32 v9, vcc_lo, v2, 1
	v_add_co_ci_u32_e32 v10, vcc_lo, 0, v3, vcc_lo
	v_add_co_u32 v0, vcc_lo, v9, s6
	v_add_co_ci_u32_e32 v1, vcc_lo, s7, v10, vcc_lo
	v_cmp_eq_u64_e32 vcc_lo, 0, v[0:1]
	v_cndmask_b32_e32 v1, v1, v10, vcc_lo
	v_cndmask_b32_e32 v0, v0, v9, vcc_lo
	v_and_b32_e32 v3, v1, v3
	v_and_b32_e32 v2, v0, v2
	v_mul_lo_u32 v3, v3, 24
	v_mul_hi_u32 v9, v2, 24
	v_mul_lo_u32 v2, v2, 24
	v_add_nc_u32_e32 v3, v9, v3
	s_waitcnt vmcnt(0)
	v_add_co_u32 v4, vcc_lo, v4, v2
	v_mov_b32_e32 v2, v7
	v_add_co_ci_u32_e32 v5, vcc_lo, v5, v3, vcc_lo
	v_mov_b32_e32 v3, v8
	global_store_dwordx2 v[4:5], v[7:8], off
	s_waitcnt_vscnt null, 0x0
	global_atomic_cmpswap_x2 v[2:3], v6, v[0:3], s[26:27] offset:24 glc
	s_waitcnt vmcnt(0)
	v_cmp_ne_u64_e32 vcc_lo, v[2:3], v[7:8]
	s_and_b32 exec_lo, exec_lo, vcc_lo
	s_cbranch_execz .LBB6_642
; %bb.640:
	s_mov_b32 s4, 0
.LBB6_641:                              ; =>This Inner Loop Header: Depth=1
	s_sleep 1
	global_store_dwordx2 v[4:5], v[2:3], off
	s_waitcnt_vscnt null, 0x0
	global_atomic_cmpswap_x2 v[7:8], v6, v[0:3], s[26:27] offset:24 glc
	s_waitcnt vmcnt(0)
	v_cmp_eq_u64_e32 vcc_lo, v[7:8], v[2:3]
	v_mov_b32_e32 v2, v7
	v_mov_b32_e32 v3, v8
	s_or_b32 s4, vcc_lo, s4
	s_andn2_b32 exec_lo, exec_lo, s4
	s_cbranch_execnz .LBB6_641
.LBB6_642:
	s_or_b32 exec_lo, exec_lo, s5
.LBB6_643:
	v_readfirstlane_b32 s4, v49
	s_waitcnt vmcnt(0)
	v_mov_b32_e32 v6, 0
	v_mov_b32_e32 v7, 0
	v_cmp_eq_u32_e64 s4, s4, v49
	s_and_saveexec_b32 s5, s4
	s_cbranch_execz .LBB6_649
; %bb.644:
	v_mov_b32_e32 v0, 0
	s_mov_b32 s6, exec_lo
	global_load_dwordx2 v[3:4], v0, s[26:27] offset:24 glc dlc
	s_waitcnt vmcnt(0)
	buffer_gl1_inv
	buffer_gl0_inv
	s_clause 0x1
	global_load_dwordx2 v[1:2], v0, s[26:27] offset:40
	global_load_dwordx2 v[5:6], v0, s[26:27]
	s_waitcnt vmcnt(1)
	v_and_b32_e32 v2, v2, v4
	v_and_b32_e32 v1, v1, v3
	v_mul_lo_u32 v2, v2, 24
	v_mul_hi_u32 v7, v1, 24
	v_mul_lo_u32 v1, v1, 24
	v_add_nc_u32_e32 v2, v7, v2
	s_waitcnt vmcnt(0)
	v_add_co_u32 v1, vcc_lo, v5, v1
	v_add_co_ci_u32_e32 v2, vcc_lo, v6, v2, vcc_lo
	global_load_dwordx2 v[1:2], v[1:2], off glc dlc
	s_waitcnt vmcnt(0)
	global_atomic_cmpswap_x2 v[6:7], v0, v[1:4], s[26:27] offset:24 glc
	s_waitcnt vmcnt(0)
	buffer_gl1_inv
	buffer_gl0_inv
	v_cmpx_ne_u64_e64 v[6:7], v[3:4]
	s_cbranch_execz .LBB6_648
; %bb.645:
	s_mov_b32 s7, 0
	.p2align	6
.LBB6_646:                              ; =>This Inner Loop Header: Depth=1
	s_sleep 1
	s_clause 0x1
	global_load_dwordx2 v[1:2], v0, s[26:27] offset:40
	global_load_dwordx2 v[8:9], v0, s[26:27]
	v_mov_b32_e32 v3, v6
	v_mov_b32_e32 v4, v7
	s_waitcnt vmcnt(1)
	v_and_b32_e32 v1, v1, v3
	v_and_b32_e32 v2, v2, v4
	s_waitcnt vmcnt(0)
	v_mad_u64_u32 v[5:6], null, v1, 24, v[8:9]
	v_mov_b32_e32 v1, v6
	v_mad_u64_u32 v[1:2], null, v2, 24, v[1:2]
	v_mov_b32_e32 v6, v1
	global_load_dwordx2 v[1:2], v[5:6], off glc dlc
	s_waitcnt vmcnt(0)
	global_atomic_cmpswap_x2 v[6:7], v0, v[1:4], s[26:27] offset:24 glc
	s_waitcnt vmcnt(0)
	buffer_gl1_inv
	buffer_gl0_inv
	v_cmp_eq_u64_e32 vcc_lo, v[6:7], v[3:4]
	s_or_b32 s7, vcc_lo, s7
	s_andn2_b32 exec_lo, exec_lo, s7
	s_cbranch_execnz .LBB6_646
; %bb.647:
	s_or_b32 exec_lo, exec_lo, s7
.LBB6_648:
	s_or_b32 exec_lo, exec_lo, s6
.LBB6_649:
	s_or_b32 exec_lo, exec_lo, s5
	v_mov_b32_e32 v5, 0
	v_readfirstlane_b32 s6, v6
	v_readfirstlane_b32 s7, v7
	s_mov_b32 s5, exec_lo
	s_clause 0x1
	global_load_dwordx2 v[8:9], v5, s[26:27] offset:40
	global_load_dwordx4 v[0:3], v5, s[26:27]
	s_waitcnt vmcnt(1)
	v_readfirstlane_b32 s10, v8
	v_readfirstlane_b32 s11, v9
	s_and_b64 s[10:11], s[6:7], s[10:11]
	s_mul_i32 s16, s11, 24
	s_mul_hi_u32 s17, s10, 24
	s_mul_i32 s18, s10, 24
	s_add_i32 s17, s17, s16
	s_waitcnt vmcnt(0)
	v_add_co_u32 v8, vcc_lo, v0, s18
	v_add_co_ci_u32_e32 v9, vcc_lo, s17, v1, vcc_lo
	s_and_saveexec_b32 s16, s4
	s_cbranch_execz .LBB6_651
; %bb.650:
	v_mov_b32_e32 v4, s5
	v_mov_b32_e32 v6, 2
	;; [unrolled: 1-line block ×3, first 2 shown]
	global_store_dwordx4 v[8:9], v[4:7], off offset:8
.LBB6_651:
	s_or_b32 exec_lo, exec_lo, s16
	s_lshl_b64 s[10:11], s[10:11], 12
	s_mov_b32 s16, 0
	v_add_co_u32 v2, vcc_lo, v2, s10
	v_add_co_ci_u32_e32 v3, vcc_lo, s11, v3, vcc_lo
	s_mov_b32 s17, s16
	v_add_co_u32 v10, vcc_lo, v2, v48
	s_mov_b32 s18, s16
	s_mov_b32 s19, s16
	v_mov_b32_e32 v4, 33
	v_mov_b32_e32 v6, v5
	;; [unrolled: 1-line block ×3, first 2 shown]
	v_readfirstlane_b32 s10, v2
	v_readfirstlane_b32 s11, v3
	v_mov_b32_e32 v12, s16
	v_add_co_ci_u32_e32 v11, vcc_lo, 0, v3, vcc_lo
	v_mov_b32_e32 v13, s17
	v_mov_b32_e32 v14, s18
	;; [unrolled: 1-line block ×3, first 2 shown]
	global_store_dwordx4 v48, v[4:7], s[10:11]
	global_store_dwordx4 v48, v[12:15], s[10:11] offset:16
	global_store_dwordx4 v48, v[12:15], s[10:11] offset:32
	;; [unrolled: 1-line block ×3, first 2 shown]
	s_and_saveexec_b32 s5, s4
	s_cbranch_execz .LBB6_659
; %bb.652:
	v_mov_b32_e32 v6, 0
	v_mov_b32_e32 v12, s6
	v_mov_b32_e32 v13, s7
	s_clause 0x1
	global_load_dwordx2 v[14:15], v6, s[26:27] offset:32 glc dlc
	global_load_dwordx2 v[2:3], v6, s[26:27] offset:40
	s_waitcnt vmcnt(0)
	v_readfirstlane_b32 s10, v2
	v_readfirstlane_b32 s11, v3
	s_and_b64 s[10:11], s[10:11], s[6:7]
	s_mul_i32 s11, s11, 24
	s_mul_hi_u32 s16, s10, 24
	s_mul_i32 s10, s10, 24
	s_add_i32 s16, s16, s11
	v_add_co_u32 v4, vcc_lo, v0, s10
	v_add_co_ci_u32_e32 v5, vcc_lo, s16, v1, vcc_lo
	s_mov_b32 s10, exec_lo
	global_store_dwordx2 v[4:5], v[14:15], off
	s_waitcnt_vscnt null, 0x0
	global_atomic_cmpswap_x2 v[2:3], v6, v[12:15], s[26:27] offset:32 glc
	s_waitcnt vmcnt(0)
	v_cmpx_ne_u64_e64 v[2:3], v[14:15]
	s_cbranch_execz .LBB6_655
; %bb.653:
	s_mov_b32 s11, 0
.LBB6_654:                              ; =>This Inner Loop Header: Depth=1
	v_mov_b32_e32 v0, s6
	v_mov_b32_e32 v1, s7
	s_sleep 1
	global_store_dwordx2 v[4:5], v[2:3], off
	s_waitcnt_vscnt null, 0x0
	global_atomic_cmpswap_x2 v[0:1], v6, v[0:3], s[26:27] offset:32 glc
	s_waitcnt vmcnt(0)
	v_cmp_eq_u64_e32 vcc_lo, v[0:1], v[2:3]
	v_mov_b32_e32 v3, v1
	v_mov_b32_e32 v2, v0
	s_or_b32 s11, vcc_lo, s11
	s_andn2_b32 exec_lo, exec_lo, s11
	s_cbranch_execnz .LBB6_654
.LBB6_655:
	s_or_b32 exec_lo, exec_lo, s10
	v_mov_b32_e32 v3, 0
	s_mov_b32 s11, exec_lo
	s_mov_b32 s10, exec_lo
	v_mbcnt_lo_u32_b32 v2, s11, 0
	global_load_dwordx2 v[0:1], v3, s[26:27] offset:16
	v_cmpx_eq_u32_e32 0, v2
	s_cbranch_execz .LBB6_657
; %bb.656:
	s_bcnt1_i32_b32 s11, s11
	v_mov_b32_e32 v2, s11
	s_waitcnt vmcnt(0)
	global_atomic_add_x2 v[0:1], v[2:3], off offset:8
.LBB6_657:
	s_or_b32 exec_lo, exec_lo, s10
	s_waitcnt vmcnt(0)
	global_load_dwordx2 v[2:3], v[0:1], off offset:16
	s_waitcnt vmcnt(0)
	v_cmp_eq_u64_e32 vcc_lo, 0, v[2:3]
	s_cbranch_vccnz .LBB6_659
; %bb.658:
	global_load_dword v0, v[0:1], off offset:24
	v_mov_b32_e32 v1, 0
	s_waitcnt vmcnt(0)
	v_and_b32_e32 v4, 0x7fffff, v0
	s_waitcnt_vscnt null, 0x0
	global_store_dwordx2 v[2:3], v[0:1], off
	v_readfirstlane_b32 m0, v4
	s_sendmsg sendmsg(MSG_INTERRUPT)
.LBB6_659:
	s_or_b32 exec_lo, exec_lo, s5
	s_branch .LBB6_663
	.p2align	6
.LBB6_660:                              ;   in Loop: Header=BB6_663 Depth=1
	s_or_b32 exec_lo, exec_lo, s5
	v_readfirstlane_b32 s5, v0
	s_cmp_eq_u32 s5, 0
	s_cbranch_scc1 .LBB6_662
; %bb.661:                              ;   in Loop: Header=BB6_663 Depth=1
	s_sleep 1
	s_cbranch_execnz .LBB6_663
	s_branch .LBB6_665
	.p2align	6
.LBB6_662:
	s_branch .LBB6_665
.LBB6_663:                              ; =>This Inner Loop Header: Depth=1
	v_mov_b32_e32 v0, 1
	s_and_saveexec_b32 s5, s4
	s_cbranch_execz .LBB6_660
; %bb.664:                              ;   in Loop: Header=BB6_663 Depth=1
	global_load_dword v0, v[8:9], off offset:20 glc dlc
	s_waitcnt vmcnt(0)
	buffer_gl1_inv
	buffer_gl0_inv
	v_and_b32_e32 v0, 1, v0
	s_branch .LBB6_660
.LBB6_665:
	global_load_dwordx2 v[0:1], v[10:11], off
	s_and_saveexec_b32 s5, s4
	s_cbranch_execz .LBB6_669
; %bb.666:
	v_mov_b32_e32 v8, 0
	s_clause 0x2
	global_load_dwordx2 v[4:5], v8, s[26:27] offset:40
	global_load_dwordx2 v[9:10], v8, s[26:27] offset:24 glc dlc
	global_load_dwordx2 v[6:7], v8, s[26:27]
	s_waitcnt vmcnt(2)
	v_add_co_u32 v11, vcc_lo, v4, 1
	v_add_co_ci_u32_e32 v12, vcc_lo, 0, v5, vcc_lo
	v_add_co_u32 v2, vcc_lo, v11, s6
	v_add_co_ci_u32_e32 v3, vcc_lo, s7, v12, vcc_lo
	v_cmp_eq_u64_e32 vcc_lo, 0, v[2:3]
	v_cndmask_b32_e32 v3, v3, v12, vcc_lo
	v_cndmask_b32_e32 v2, v2, v11, vcc_lo
	v_and_b32_e32 v5, v3, v5
	v_and_b32_e32 v4, v2, v4
	v_mul_lo_u32 v5, v5, 24
	v_mul_hi_u32 v11, v4, 24
	v_mul_lo_u32 v4, v4, 24
	v_add_nc_u32_e32 v5, v11, v5
	s_waitcnt vmcnt(0)
	v_add_co_u32 v6, vcc_lo, v6, v4
	v_mov_b32_e32 v4, v9
	v_add_co_ci_u32_e32 v7, vcc_lo, v7, v5, vcc_lo
	v_mov_b32_e32 v5, v10
	global_store_dwordx2 v[6:7], v[9:10], off
	s_waitcnt_vscnt null, 0x0
	global_atomic_cmpswap_x2 v[4:5], v8, v[2:5], s[26:27] offset:24 glc
	s_waitcnt vmcnt(0)
	v_cmp_ne_u64_e32 vcc_lo, v[4:5], v[9:10]
	s_and_b32 exec_lo, exec_lo, vcc_lo
	s_cbranch_execz .LBB6_669
; %bb.667:
	s_mov_b32 s4, 0
.LBB6_668:                              ; =>This Inner Loop Header: Depth=1
	s_sleep 1
	global_store_dwordx2 v[6:7], v[4:5], off
	s_waitcnt_vscnt null, 0x0
	global_atomic_cmpswap_x2 v[9:10], v8, v[2:5], s[26:27] offset:24 glc
	s_waitcnt vmcnt(0)
	v_cmp_eq_u64_e32 vcc_lo, v[9:10], v[4:5]
	v_mov_b32_e32 v4, v9
	v_mov_b32_e32 v5, v10
	s_or_b32 s4, vcc_lo, s4
	s_andn2_b32 exec_lo, exec_lo, s4
	s_cbranch_execnz .LBB6_668
.LBB6_669:
	s_or_b32 exec_lo, exec_lo, s5
	s_and_b32 vcc_lo, exec_lo, s34
	s_cbranch_vccz .LBB6_748
; %bb.670:
	s_waitcnt vmcnt(0)
	v_and_b32_e32 v31, 2, v0
	v_mov_b32_e32 v6, 0
	v_and_b32_e32 v2, -3, v0
	v_mov_b32_e32 v3, v1
	v_mov_b32_e32 v7, 2
	v_mov_b32_e32 v8, 1
	s_mov_b64 s[10:11], 3
	s_getpc_b64 s[6:7]
	s_add_u32 s6, s6, .str.6@rel32@lo+4
	s_addc_u32 s7, s7, .str.6@rel32@hi+12
	s_branch .LBB6_672
.LBB6_671:                              ;   in Loop: Header=BB6_672 Depth=1
	s_or_b32 exec_lo, exec_lo, s5
	s_sub_u32 s10, s10, s16
	s_subb_u32 s11, s11, s17
	s_add_u32 s6, s6, s16
	s_addc_u32 s7, s7, s17
	s_cmp_lg_u64 s[10:11], 0
	s_cbranch_scc0 .LBB6_747
.LBB6_672:                              ; =>This Loop Header: Depth=1
                                        ;     Child Loop BB6_681 Depth 2
                                        ;     Child Loop BB6_677 Depth 2
	;; [unrolled: 1-line block ×11, first 2 shown]
	v_cmp_lt_u64_e64 s4, s[10:11], 56
	v_cmp_gt_u64_e64 s5, s[10:11], 7
                                        ; implicit-def: $vgpr11_vgpr12
                                        ; implicit-def: $sgpr22
	s_and_b32 s4, s4, exec_lo
	s_cselect_b32 s17, s11, 0
	s_cselect_b32 s16, s10, 56
	s_and_b32 vcc_lo, exec_lo, s5
	s_mov_b32 s4, -1
	s_cbranch_vccz .LBB6_679
; %bb.673:                              ;   in Loop: Header=BB6_672 Depth=1
	s_andn2_b32 vcc_lo, exec_lo, s4
	s_mov_b64 s[4:5], s[6:7]
	s_cbranch_vccz .LBB6_683
.LBB6_674:                              ;   in Loop: Header=BB6_672 Depth=1
	s_cmp_gt_u32 s22, 7
	s_cbranch_scc1 .LBB6_684
.LBB6_675:                              ;   in Loop: Header=BB6_672 Depth=1
	v_mov_b32_e32 v13, 0
	v_mov_b32_e32 v14, 0
	s_cmp_eq_u32 s22, 0
	s_cbranch_scc1 .LBB6_678
; %bb.676:                              ;   in Loop: Header=BB6_672 Depth=1
	s_mov_b64 s[18:19], 0
	s_mov_b64 s[20:21], 0
.LBB6_677:                              ;   Parent Loop BB6_672 Depth=1
                                        ; =>  This Inner Loop Header: Depth=2
	s_add_u32 s24, s4, s20
	s_addc_u32 s25, s5, s21
	s_add_u32 s20, s20, 1
	global_load_ubyte v4, v6, s[24:25]
	s_addc_u32 s21, s21, 0
	s_waitcnt vmcnt(0)
	v_and_b32_e32 v5, 0xffff, v4
	v_lshlrev_b64 v[4:5], s18, v[5:6]
	s_add_u32 s18, s18, 8
	s_addc_u32 s19, s19, 0
	s_cmp_lg_u32 s22, s20
	v_or_b32_e32 v13, v4, v13
	v_or_b32_e32 v14, v5, v14
	s_cbranch_scc1 .LBB6_677
.LBB6_678:                              ;   in Loop: Header=BB6_672 Depth=1
	s_mov_b32 s23, 0
	s_cbranch_execz .LBB6_685
	s_branch .LBB6_686
.LBB6_679:                              ;   in Loop: Header=BB6_672 Depth=1
	v_mov_b32_e32 v11, 0
	v_mov_b32_e32 v12, 0
	s_cmp_eq_u64 s[10:11], 0
	s_mov_b64 s[4:5], 0
	s_cbranch_scc1 .LBB6_682
; %bb.680:                              ;   in Loop: Header=BB6_672 Depth=1
	v_mov_b32_e32 v11, 0
	v_mov_b32_e32 v12, 0
	s_lshl_b64 s[18:19], s[16:17], 3
	s_mov_b64 s[20:21], s[6:7]
.LBB6_681:                              ;   Parent Loop BB6_672 Depth=1
                                        ; =>  This Inner Loop Header: Depth=2
	global_load_ubyte v4, v6, s[20:21]
	s_waitcnt vmcnt(0)
	v_and_b32_e32 v5, 0xffff, v4
	v_lshlrev_b64 v[4:5], s4, v[5:6]
	s_add_u32 s4, s4, 8
	s_addc_u32 s5, s5, 0
	s_add_u32 s20, s20, 1
	s_addc_u32 s21, s21, 0
	s_cmp_lg_u32 s18, s4
	v_or_b32_e32 v11, v4, v11
	v_or_b32_e32 v12, v5, v12
	s_cbranch_scc1 .LBB6_681
.LBB6_682:                              ;   in Loop: Header=BB6_672 Depth=1
	s_mov_b32 s22, 0
	s_mov_b64 s[4:5], s[6:7]
	s_cbranch_execnz .LBB6_674
.LBB6_683:                              ;   in Loop: Header=BB6_672 Depth=1
	global_load_dwordx2 v[11:12], v6, s[6:7]
	s_add_i32 s22, s16, -8
	s_add_u32 s4, s6, 8
	s_addc_u32 s5, s7, 0
	s_cmp_gt_u32 s22, 7
	s_cbranch_scc0 .LBB6_675
.LBB6_684:                              ;   in Loop: Header=BB6_672 Depth=1
                                        ; implicit-def: $vgpr13_vgpr14
                                        ; implicit-def: $sgpr23
.LBB6_685:                              ;   in Loop: Header=BB6_672 Depth=1
	global_load_dwordx2 v[13:14], v6, s[4:5]
	s_add_i32 s23, s22, -8
	s_add_u32 s4, s4, 8
	s_addc_u32 s5, s5, 0
.LBB6_686:                              ;   in Loop: Header=BB6_672 Depth=1
	s_cmp_gt_u32 s23, 7
	s_cbranch_scc1 .LBB6_691
; %bb.687:                              ;   in Loop: Header=BB6_672 Depth=1
	v_mov_b32_e32 v15, 0
	v_mov_b32_e32 v16, 0
	s_cmp_eq_u32 s23, 0
	s_cbranch_scc1 .LBB6_690
; %bb.688:                              ;   in Loop: Header=BB6_672 Depth=1
	s_mov_b64 s[18:19], 0
	s_mov_b64 s[20:21], 0
.LBB6_689:                              ;   Parent Loop BB6_672 Depth=1
                                        ; =>  This Inner Loop Header: Depth=2
	s_add_u32 s24, s4, s20
	s_addc_u32 s25, s5, s21
	s_add_u32 s20, s20, 1
	global_load_ubyte v4, v6, s[24:25]
	s_addc_u32 s21, s21, 0
	s_waitcnt vmcnt(0)
	v_and_b32_e32 v5, 0xffff, v4
	v_lshlrev_b64 v[4:5], s18, v[5:6]
	s_add_u32 s18, s18, 8
	s_addc_u32 s19, s19, 0
	s_cmp_lg_u32 s23, s20
	v_or_b32_e32 v15, v4, v15
	v_or_b32_e32 v16, v5, v16
	s_cbranch_scc1 .LBB6_689
.LBB6_690:                              ;   in Loop: Header=BB6_672 Depth=1
	s_mov_b32 s22, 0
	s_cbranch_execz .LBB6_692
	s_branch .LBB6_693
.LBB6_691:                              ;   in Loop: Header=BB6_672 Depth=1
                                        ; implicit-def: $sgpr22
.LBB6_692:                              ;   in Loop: Header=BB6_672 Depth=1
	global_load_dwordx2 v[15:16], v6, s[4:5]
	s_add_i32 s22, s23, -8
	s_add_u32 s4, s4, 8
	s_addc_u32 s5, s5, 0
.LBB6_693:                              ;   in Loop: Header=BB6_672 Depth=1
	s_cmp_gt_u32 s22, 7
	s_cbranch_scc1 .LBB6_698
; %bb.694:                              ;   in Loop: Header=BB6_672 Depth=1
	v_mov_b32_e32 v17, 0
	v_mov_b32_e32 v18, 0
	s_cmp_eq_u32 s22, 0
	s_cbranch_scc1 .LBB6_697
; %bb.695:                              ;   in Loop: Header=BB6_672 Depth=1
	s_mov_b64 s[18:19], 0
	s_mov_b64 s[20:21], 0
.LBB6_696:                              ;   Parent Loop BB6_672 Depth=1
                                        ; =>  This Inner Loop Header: Depth=2
	s_add_u32 s24, s4, s20
	s_addc_u32 s25, s5, s21
	s_add_u32 s20, s20, 1
	global_load_ubyte v4, v6, s[24:25]
	s_addc_u32 s21, s21, 0
	s_waitcnt vmcnt(0)
	v_and_b32_e32 v5, 0xffff, v4
	v_lshlrev_b64 v[4:5], s18, v[5:6]
	s_add_u32 s18, s18, 8
	s_addc_u32 s19, s19, 0
	s_cmp_lg_u32 s22, s20
	v_or_b32_e32 v17, v4, v17
	v_or_b32_e32 v18, v5, v18
	s_cbranch_scc1 .LBB6_696
.LBB6_697:                              ;   in Loop: Header=BB6_672 Depth=1
	s_mov_b32 s23, 0
	s_cbranch_execz .LBB6_699
	s_branch .LBB6_700
.LBB6_698:                              ;   in Loop: Header=BB6_672 Depth=1
                                        ; implicit-def: $vgpr17_vgpr18
                                        ; implicit-def: $sgpr23
.LBB6_699:                              ;   in Loop: Header=BB6_672 Depth=1
	global_load_dwordx2 v[17:18], v6, s[4:5]
	s_add_i32 s23, s22, -8
	s_add_u32 s4, s4, 8
	s_addc_u32 s5, s5, 0
.LBB6_700:                              ;   in Loop: Header=BB6_672 Depth=1
	s_cmp_gt_u32 s23, 7
	s_cbranch_scc1 .LBB6_705
; %bb.701:                              ;   in Loop: Header=BB6_672 Depth=1
	v_mov_b32_e32 v19, 0
	v_mov_b32_e32 v20, 0
	s_cmp_eq_u32 s23, 0
	s_cbranch_scc1 .LBB6_704
; %bb.702:                              ;   in Loop: Header=BB6_672 Depth=1
	s_mov_b64 s[18:19], 0
	s_mov_b64 s[20:21], 0
.LBB6_703:                              ;   Parent Loop BB6_672 Depth=1
                                        ; =>  This Inner Loop Header: Depth=2
	s_add_u32 s24, s4, s20
	s_addc_u32 s25, s5, s21
	s_add_u32 s20, s20, 1
	global_load_ubyte v4, v6, s[24:25]
	s_addc_u32 s21, s21, 0
	s_waitcnt vmcnt(0)
	v_and_b32_e32 v5, 0xffff, v4
	v_lshlrev_b64 v[4:5], s18, v[5:6]
	s_add_u32 s18, s18, 8
	s_addc_u32 s19, s19, 0
	s_cmp_lg_u32 s23, s20
	v_or_b32_e32 v19, v4, v19
	v_or_b32_e32 v20, v5, v20
	s_cbranch_scc1 .LBB6_703
.LBB6_704:                              ;   in Loop: Header=BB6_672 Depth=1
	s_mov_b32 s22, 0
	s_cbranch_execz .LBB6_706
	s_branch .LBB6_707
.LBB6_705:                              ;   in Loop: Header=BB6_672 Depth=1
                                        ; implicit-def: $sgpr22
.LBB6_706:                              ;   in Loop: Header=BB6_672 Depth=1
	global_load_dwordx2 v[19:20], v6, s[4:5]
	s_add_i32 s22, s23, -8
	s_add_u32 s4, s4, 8
	s_addc_u32 s5, s5, 0
.LBB6_707:                              ;   in Loop: Header=BB6_672 Depth=1
	s_cmp_gt_u32 s22, 7
	s_cbranch_scc1 .LBB6_712
; %bb.708:                              ;   in Loop: Header=BB6_672 Depth=1
	v_mov_b32_e32 v21, 0
	v_mov_b32_e32 v22, 0
	s_cmp_eq_u32 s22, 0
	s_cbranch_scc1 .LBB6_711
; %bb.709:                              ;   in Loop: Header=BB6_672 Depth=1
	s_mov_b64 s[18:19], 0
	s_mov_b64 s[20:21], 0
.LBB6_710:                              ;   Parent Loop BB6_672 Depth=1
                                        ; =>  This Inner Loop Header: Depth=2
	s_add_u32 s24, s4, s20
	s_addc_u32 s25, s5, s21
	s_add_u32 s20, s20, 1
	global_load_ubyte v4, v6, s[24:25]
	s_addc_u32 s21, s21, 0
	s_waitcnt vmcnt(0)
	v_and_b32_e32 v5, 0xffff, v4
	v_lshlrev_b64 v[4:5], s18, v[5:6]
	s_add_u32 s18, s18, 8
	s_addc_u32 s19, s19, 0
	s_cmp_lg_u32 s22, s20
	v_or_b32_e32 v21, v4, v21
	v_or_b32_e32 v22, v5, v22
	s_cbranch_scc1 .LBB6_710
.LBB6_711:                              ;   in Loop: Header=BB6_672 Depth=1
	s_mov_b32 s23, 0
	s_cbranch_execz .LBB6_713
	s_branch .LBB6_714
.LBB6_712:                              ;   in Loop: Header=BB6_672 Depth=1
                                        ; implicit-def: $vgpr21_vgpr22
                                        ; implicit-def: $sgpr23
.LBB6_713:                              ;   in Loop: Header=BB6_672 Depth=1
	global_load_dwordx2 v[21:22], v6, s[4:5]
	s_add_i32 s23, s22, -8
	s_add_u32 s4, s4, 8
	s_addc_u32 s5, s5, 0
.LBB6_714:                              ;   in Loop: Header=BB6_672 Depth=1
	s_cmp_gt_u32 s23, 7
	s_cbranch_scc1 .LBB6_719
; %bb.715:                              ;   in Loop: Header=BB6_672 Depth=1
	v_mov_b32_e32 v23, 0
	v_mov_b32_e32 v24, 0
	s_cmp_eq_u32 s23, 0
	s_cbranch_scc1 .LBB6_718
; %bb.716:                              ;   in Loop: Header=BB6_672 Depth=1
	s_mov_b64 s[18:19], 0
	s_mov_b64 s[20:21], s[4:5]
.LBB6_717:                              ;   Parent Loop BB6_672 Depth=1
                                        ; =>  This Inner Loop Header: Depth=2
	global_load_ubyte v4, v6, s[20:21]
	s_add_i32 s23, s23, -1
	s_waitcnt vmcnt(0)
	v_and_b32_e32 v5, 0xffff, v4
	v_lshlrev_b64 v[4:5], s18, v[5:6]
	s_add_u32 s18, s18, 8
	s_addc_u32 s19, s19, 0
	s_add_u32 s20, s20, 1
	s_addc_u32 s21, s21, 0
	s_cmp_lg_u32 s23, 0
	v_or_b32_e32 v23, v4, v23
	v_or_b32_e32 v24, v5, v24
	s_cbranch_scc1 .LBB6_717
.LBB6_718:                              ;   in Loop: Header=BB6_672 Depth=1
	s_cbranch_execz .LBB6_720
	s_branch .LBB6_721
.LBB6_719:                              ;   in Loop: Header=BB6_672 Depth=1
.LBB6_720:                              ;   in Loop: Header=BB6_672 Depth=1
	global_load_dwordx2 v[23:24], v6, s[4:5]
.LBB6_721:                              ;   in Loop: Header=BB6_672 Depth=1
	v_readfirstlane_b32 s4, v49
	s_waitcnt vmcnt(0)
	v_mov_b32_e32 v4, 0
	v_mov_b32_e32 v5, 0
	v_cmp_eq_u32_e64 s4, s4, v49
	s_and_saveexec_b32 s5, s4
	s_cbranch_execz .LBB6_727
; %bb.722:                              ;   in Loop: Header=BB6_672 Depth=1
	global_load_dwordx2 v[27:28], v6, s[26:27] offset:24 glc dlc
	s_waitcnt vmcnt(0)
	buffer_gl1_inv
	buffer_gl0_inv
	s_clause 0x1
	global_load_dwordx2 v[4:5], v6, s[26:27] offset:40
	global_load_dwordx2 v[9:10], v6, s[26:27]
	s_mov_b32 s18, exec_lo
	s_waitcnt vmcnt(1)
	v_and_b32_e32 v5, v5, v28
	v_and_b32_e32 v4, v4, v27
	v_mul_lo_u32 v5, v5, 24
	v_mul_hi_u32 v25, v4, 24
	v_mul_lo_u32 v4, v4, 24
	v_add_nc_u32_e32 v5, v25, v5
	s_waitcnt vmcnt(0)
	v_add_co_u32 v4, vcc_lo, v9, v4
	v_add_co_ci_u32_e32 v5, vcc_lo, v10, v5, vcc_lo
	global_load_dwordx2 v[25:26], v[4:5], off glc dlc
	s_waitcnt vmcnt(0)
	global_atomic_cmpswap_x2 v[4:5], v6, v[25:28], s[26:27] offset:24 glc
	s_waitcnt vmcnt(0)
	buffer_gl1_inv
	buffer_gl0_inv
	v_cmpx_ne_u64_e64 v[4:5], v[27:28]
	s_cbranch_execz .LBB6_726
; %bb.723:                              ;   in Loop: Header=BB6_672 Depth=1
	s_mov_b32 s19, 0
	.p2align	6
.LBB6_724:                              ;   Parent Loop BB6_672 Depth=1
                                        ; =>  This Inner Loop Header: Depth=2
	s_sleep 1
	s_clause 0x1
	global_load_dwordx2 v[9:10], v6, s[26:27] offset:40
	global_load_dwordx2 v[25:26], v6, s[26:27]
	v_mov_b32_e32 v28, v5
	v_mov_b32_e32 v27, v4
	s_waitcnt vmcnt(1)
	v_and_b32_e32 v4, v9, v27
	v_and_b32_e32 v9, v10, v28
	s_waitcnt vmcnt(0)
	v_mad_u64_u32 v[4:5], null, v4, 24, v[25:26]
	v_mad_u64_u32 v[9:10], null, v9, 24, v[5:6]
	v_mov_b32_e32 v5, v9
	global_load_dwordx2 v[25:26], v[4:5], off glc dlc
	s_waitcnt vmcnt(0)
	global_atomic_cmpswap_x2 v[4:5], v6, v[25:28], s[26:27] offset:24 glc
	s_waitcnt vmcnt(0)
	buffer_gl1_inv
	buffer_gl0_inv
	v_cmp_eq_u64_e32 vcc_lo, v[4:5], v[27:28]
	s_or_b32 s19, vcc_lo, s19
	s_andn2_b32 exec_lo, exec_lo, s19
	s_cbranch_execnz .LBB6_724
; %bb.725:                              ;   in Loop: Header=BB6_672 Depth=1
	s_or_b32 exec_lo, exec_lo, s19
.LBB6_726:                              ;   in Loop: Header=BB6_672 Depth=1
	s_or_b32 exec_lo, exec_lo, s18
.LBB6_727:                              ;   in Loop: Header=BB6_672 Depth=1
	s_or_b32 exec_lo, exec_lo, s5
	s_clause 0x1
	global_load_dwordx2 v[9:10], v6, s[26:27] offset:40
	global_load_dwordx4 v[25:28], v6, s[26:27]
	v_readfirstlane_b32 s18, v4
	v_readfirstlane_b32 s19, v5
	s_mov_b32 s5, exec_lo
	s_waitcnt vmcnt(1)
	v_readfirstlane_b32 s20, v9
	v_readfirstlane_b32 s21, v10
	s_and_b64 s[20:21], s[18:19], s[20:21]
	s_mul_i32 s22, s21, 24
	s_mul_hi_u32 s23, s20, 24
	s_mul_i32 s24, s20, 24
	s_add_i32 s23, s23, s22
	s_waitcnt vmcnt(0)
	v_add_co_u32 v29, vcc_lo, v25, s24
	v_add_co_ci_u32_e32 v30, vcc_lo, s23, v26, vcc_lo
	s_and_saveexec_b32 s22, s4
	s_cbranch_execz .LBB6_729
; %bb.728:                              ;   in Loop: Header=BB6_672 Depth=1
	v_mov_b32_e32 v5, s5
	global_store_dwordx4 v[29:30], v[5:8], off offset:8
.LBB6_729:                              ;   in Loop: Header=BB6_672 Depth=1
	s_or_b32 exec_lo, exec_lo, s22
	s_lshl_b64 s[20:21], s[20:21], 12
	v_cmp_gt_u64_e64 vcc_lo, s[10:11], 56
	v_or_b32_e32 v5, v2, v31
	v_add_co_u32 v27, s5, v27, s20
	v_add_co_ci_u32_e64 v28, s5, s21, v28, s5
	s_lshl_b32 s5, s16, 2
	v_or_b32_e32 v4, 0, v3
	v_cndmask_b32_e32 v2, v5, v2, vcc_lo
	s_add_i32 s5, s5, 28
	v_readfirstlane_b32 s20, v27
	s_and_b32 s5, s5, 0x1e0
	v_cndmask_b32_e32 v10, v4, v3, vcc_lo
	v_readfirstlane_b32 s21, v28
	v_and_or_b32 v9, 0xffffff1f, v2, s5
	global_store_dwordx4 v48, v[9:12], s[20:21]
	global_store_dwordx4 v48, v[13:16], s[20:21] offset:16
	global_store_dwordx4 v48, v[17:20], s[20:21] offset:32
	;; [unrolled: 1-line block ×3, first 2 shown]
	s_and_saveexec_b32 s5, s4
	s_cbranch_execz .LBB6_737
; %bb.730:                              ;   in Loop: Header=BB6_672 Depth=1
	s_clause 0x1
	global_load_dwordx2 v[13:14], v6, s[26:27] offset:32 glc dlc
	global_load_dwordx2 v[2:3], v6, s[26:27] offset:40
	v_mov_b32_e32 v11, s18
	v_mov_b32_e32 v12, s19
	s_waitcnt vmcnt(0)
	v_readfirstlane_b32 s20, v2
	v_readfirstlane_b32 s21, v3
	s_and_b64 s[20:21], s[20:21], s[18:19]
	s_mul_i32 s21, s21, 24
	s_mul_hi_u32 s22, s20, 24
	s_mul_i32 s20, s20, 24
	s_add_i32 s22, s22, s21
	v_add_co_u32 v9, vcc_lo, v25, s20
	v_add_co_ci_u32_e32 v10, vcc_lo, s22, v26, vcc_lo
	s_mov_b32 s20, exec_lo
	global_store_dwordx2 v[9:10], v[13:14], off
	s_waitcnt_vscnt null, 0x0
	global_atomic_cmpswap_x2 v[4:5], v6, v[11:14], s[26:27] offset:32 glc
	s_waitcnt vmcnt(0)
	v_cmpx_ne_u64_e64 v[4:5], v[13:14]
	s_cbranch_execz .LBB6_733
; %bb.731:                              ;   in Loop: Header=BB6_672 Depth=1
	s_mov_b32 s21, 0
.LBB6_732:                              ;   Parent Loop BB6_672 Depth=1
                                        ; =>  This Inner Loop Header: Depth=2
	v_mov_b32_e32 v2, s18
	v_mov_b32_e32 v3, s19
	s_sleep 1
	global_store_dwordx2 v[9:10], v[4:5], off
	s_waitcnt_vscnt null, 0x0
	global_atomic_cmpswap_x2 v[2:3], v6, v[2:5], s[26:27] offset:32 glc
	s_waitcnt vmcnt(0)
	v_cmp_eq_u64_e32 vcc_lo, v[2:3], v[4:5]
	v_mov_b32_e32 v5, v3
	v_mov_b32_e32 v4, v2
	s_or_b32 s21, vcc_lo, s21
	s_andn2_b32 exec_lo, exec_lo, s21
	s_cbranch_execnz .LBB6_732
.LBB6_733:                              ;   in Loop: Header=BB6_672 Depth=1
	s_or_b32 exec_lo, exec_lo, s20
	global_load_dwordx2 v[2:3], v6, s[26:27] offset:16
	s_mov_b32 s21, exec_lo
	s_mov_b32 s20, exec_lo
	v_mbcnt_lo_u32_b32 v4, s21, 0
	v_cmpx_eq_u32_e32 0, v4
	s_cbranch_execz .LBB6_735
; %bb.734:                              ;   in Loop: Header=BB6_672 Depth=1
	s_bcnt1_i32_b32 s21, s21
	v_mov_b32_e32 v5, s21
	s_waitcnt vmcnt(0)
	global_atomic_add_x2 v[2:3], v[5:6], off offset:8
.LBB6_735:                              ;   in Loop: Header=BB6_672 Depth=1
	s_or_b32 exec_lo, exec_lo, s20
	s_waitcnt vmcnt(0)
	global_load_dwordx2 v[9:10], v[2:3], off offset:16
	s_waitcnt vmcnt(0)
	v_cmp_eq_u64_e32 vcc_lo, 0, v[9:10]
	s_cbranch_vccnz .LBB6_737
; %bb.736:                              ;   in Loop: Header=BB6_672 Depth=1
	global_load_dword v5, v[2:3], off offset:24
	s_waitcnt vmcnt(0)
	v_and_b32_e32 v2, 0x7fffff, v5
	s_waitcnt_vscnt null, 0x0
	global_store_dwordx2 v[9:10], v[5:6], off
	v_readfirstlane_b32 m0, v2
	s_sendmsg sendmsg(MSG_INTERRUPT)
.LBB6_737:                              ;   in Loop: Header=BB6_672 Depth=1
	s_or_b32 exec_lo, exec_lo, s5
	v_add_co_u32 v2, vcc_lo, v27, v48
	v_add_co_ci_u32_e32 v3, vcc_lo, 0, v28, vcc_lo
	s_branch .LBB6_741
	.p2align	6
.LBB6_738:                              ;   in Loop: Header=BB6_741 Depth=2
	s_or_b32 exec_lo, exec_lo, s5
	v_readfirstlane_b32 s5, v4
	s_cmp_eq_u32 s5, 0
	s_cbranch_scc1 .LBB6_740
; %bb.739:                              ;   in Loop: Header=BB6_741 Depth=2
	s_sleep 1
	s_cbranch_execnz .LBB6_741
	s_branch .LBB6_743
	.p2align	6
.LBB6_740:                              ;   in Loop: Header=BB6_672 Depth=1
	s_branch .LBB6_743
.LBB6_741:                              ;   Parent Loop BB6_672 Depth=1
                                        ; =>  This Inner Loop Header: Depth=2
	v_mov_b32_e32 v4, 1
	s_and_saveexec_b32 s5, s4
	s_cbranch_execz .LBB6_738
; %bb.742:                              ;   in Loop: Header=BB6_741 Depth=2
	global_load_dword v4, v[29:30], off offset:20 glc dlc
	s_waitcnt vmcnt(0)
	buffer_gl1_inv
	buffer_gl0_inv
	v_and_b32_e32 v4, 1, v4
	s_branch .LBB6_738
.LBB6_743:                              ;   in Loop: Header=BB6_672 Depth=1
	global_load_dwordx4 v[2:5], v[2:3], off
	s_and_saveexec_b32 s5, s4
	s_cbranch_execz .LBB6_671
; %bb.744:                              ;   in Loop: Header=BB6_672 Depth=1
	s_clause 0x2
	global_load_dwordx2 v[4:5], v6, s[26:27] offset:40
	global_load_dwordx2 v[13:14], v6, s[26:27] offset:24 glc dlc
	global_load_dwordx2 v[11:12], v6, s[26:27]
	s_waitcnt vmcnt(2)
	v_add_co_u32 v15, vcc_lo, v4, 1
	v_add_co_ci_u32_e32 v16, vcc_lo, 0, v5, vcc_lo
	v_add_co_u32 v9, vcc_lo, v15, s18
	v_add_co_ci_u32_e32 v10, vcc_lo, s19, v16, vcc_lo
	v_cmp_eq_u64_e32 vcc_lo, 0, v[9:10]
	v_cndmask_b32_e32 v10, v10, v16, vcc_lo
	v_cndmask_b32_e32 v9, v9, v15, vcc_lo
	v_and_b32_e32 v5, v10, v5
	v_and_b32_e32 v4, v9, v4
	v_mul_lo_u32 v5, v5, 24
	v_mul_hi_u32 v15, v4, 24
	v_mul_lo_u32 v4, v4, 24
	v_add_nc_u32_e32 v5, v15, v5
	s_waitcnt vmcnt(0)
	v_add_co_u32 v4, vcc_lo, v11, v4
	v_mov_b32_e32 v11, v13
	v_add_co_ci_u32_e32 v5, vcc_lo, v12, v5, vcc_lo
	v_mov_b32_e32 v12, v14
	global_store_dwordx2 v[4:5], v[13:14], off
	s_waitcnt_vscnt null, 0x0
	global_atomic_cmpswap_x2 v[11:12], v6, v[9:12], s[26:27] offset:24 glc
	s_waitcnt vmcnt(0)
	v_cmp_ne_u64_e32 vcc_lo, v[11:12], v[13:14]
	s_and_b32 exec_lo, exec_lo, vcc_lo
	s_cbranch_execz .LBB6_671
; %bb.745:                              ;   in Loop: Header=BB6_672 Depth=1
	s_mov_b32 s4, 0
.LBB6_746:                              ;   Parent Loop BB6_672 Depth=1
                                        ; =>  This Inner Loop Header: Depth=2
	s_sleep 1
	global_store_dwordx2 v[4:5], v[11:12], off
	s_waitcnt_vscnt null, 0x0
	global_atomic_cmpswap_x2 v[13:14], v6, v[9:12], s[26:27] offset:24 glc
	s_waitcnt vmcnt(0)
	v_cmp_eq_u64_e32 vcc_lo, v[13:14], v[11:12]
	v_mov_b32_e32 v11, v13
	v_mov_b32_e32 v12, v14
	s_or_b32 s4, vcc_lo, s4
	s_andn2_b32 exec_lo, exec_lo, s4
	s_cbranch_execnz .LBB6_746
	s_branch .LBB6_671
.LBB6_747:
	s_branch .LBB6_776
.LBB6_748:
                                        ; implicit-def: $vgpr2_vgpr3
	s_cbranch_execz .LBB6_776
; %bb.749:
	v_readfirstlane_b32 s4, v49
	v_mov_b32_e32 v8, 0
	v_mov_b32_e32 v9, 0
	v_cmp_eq_u32_e64 s4, s4, v49
	s_and_saveexec_b32 s5, s4
	s_cbranch_execz .LBB6_755
; %bb.750:
	s_waitcnt vmcnt(0)
	v_mov_b32_e32 v2, 0
	s_mov_b32 s6, exec_lo
	global_load_dwordx2 v[5:6], v2, s[26:27] offset:24 glc dlc
	s_waitcnt vmcnt(0)
	buffer_gl1_inv
	buffer_gl0_inv
	s_clause 0x1
	global_load_dwordx2 v[3:4], v2, s[26:27] offset:40
	global_load_dwordx2 v[7:8], v2, s[26:27]
	s_waitcnt vmcnt(1)
	v_and_b32_e32 v4, v4, v6
	v_and_b32_e32 v3, v3, v5
	v_mul_lo_u32 v4, v4, 24
	v_mul_hi_u32 v9, v3, 24
	v_mul_lo_u32 v3, v3, 24
	v_add_nc_u32_e32 v4, v9, v4
	s_waitcnt vmcnt(0)
	v_add_co_u32 v3, vcc_lo, v7, v3
	v_add_co_ci_u32_e32 v4, vcc_lo, v8, v4, vcc_lo
	global_load_dwordx2 v[3:4], v[3:4], off glc dlc
	s_waitcnt vmcnt(0)
	global_atomic_cmpswap_x2 v[8:9], v2, v[3:6], s[26:27] offset:24 glc
	s_waitcnt vmcnt(0)
	buffer_gl1_inv
	buffer_gl0_inv
	v_cmpx_ne_u64_e64 v[8:9], v[5:6]
	s_cbranch_execz .LBB6_754
; %bb.751:
	s_mov_b32 s7, 0
	.p2align	6
.LBB6_752:                              ; =>This Inner Loop Header: Depth=1
	s_sleep 1
	s_clause 0x1
	global_load_dwordx2 v[3:4], v2, s[26:27] offset:40
	global_load_dwordx2 v[10:11], v2, s[26:27]
	v_mov_b32_e32 v5, v8
	v_mov_b32_e32 v6, v9
	s_waitcnt vmcnt(1)
	v_and_b32_e32 v3, v3, v5
	v_and_b32_e32 v4, v4, v6
	s_waitcnt vmcnt(0)
	v_mad_u64_u32 v[7:8], null, v3, 24, v[10:11]
	v_mov_b32_e32 v3, v8
	v_mad_u64_u32 v[3:4], null, v4, 24, v[3:4]
	v_mov_b32_e32 v8, v3
	global_load_dwordx2 v[3:4], v[7:8], off glc dlc
	s_waitcnt vmcnt(0)
	global_atomic_cmpswap_x2 v[8:9], v2, v[3:6], s[26:27] offset:24 glc
	s_waitcnt vmcnt(0)
	buffer_gl1_inv
	buffer_gl0_inv
	v_cmp_eq_u64_e32 vcc_lo, v[8:9], v[5:6]
	s_or_b32 s7, vcc_lo, s7
	s_andn2_b32 exec_lo, exec_lo, s7
	s_cbranch_execnz .LBB6_752
; %bb.753:
	s_or_b32 exec_lo, exec_lo, s7
.LBB6_754:
	s_or_b32 exec_lo, exec_lo, s6
.LBB6_755:
	s_or_b32 exec_lo, exec_lo, s5
	s_waitcnt vmcnt(0)
	v_mov_b32_e32 v2, 0
	v_readfirstlane_b32 s6, v8
	v_readfirstlane_b32 s7, v9
	s_mov_b32 s5, exec_lo
	s_clause 0x1
	global_load_dwordx2 v[10:11], v2, s[26:27] offset:40
	global_load_dwordx4 v[4:7], v2, s[26:27]
	s_waitcnt vmcnt(1)
	v_readfirstlane_b32 s10, v10
	v_readfirstlane_b32 s11, v11
	s_and_b64 s[10:11], s[6:7], s[10:11]
	s_mul_i32 s16, s11, 24
	s_mul_hi_u32 s17, s10, 24
	s_mul_i32 s18, s10, 24
	s_add_i32 s17, s17, s16
	s_waitcnt vmcnt(0)
	v_add_co_u32 v8, vcc_lo, v4, s18
	v_add_co_ci_u32_e32 v9, vcc_lo, s17, v5, vcc_lo
	s_and_saveexec_b32 s16, s4
	s_cbranch_execz .LBB6_757
; %bb.756:
	v_mov_b32_e32 v10, s5
	v_mov_b32_e32 v11, v2
	v_mov_b32_e32 v12, 2
	v_mov_b32_e32 v13, 1
	global_store_dwordx4 v[8:9], v[10:13], off offset:8
.LBB6_757:
	s_or_b32 exec_lo, exec_lo, s16
	s_lshl_b64 s[10:11], s[10:11], 12
	s_mov_b32 s16, 0
	v_add_co_u32 v6, vcc_lo, v6, s10
	v_add_co_ci_u32_e32 v7, vcc_lo, s11, v7, vcc_lo
	s_mov_b32 s17, s16
	v_readfirstlane_b32 s10, v6
	v_add_co_u32 v6, vcc_lo, v6, v48
	s_mov_b32 s18, s16
	s_mov_b32 s19, s16
	v_and_or_b32 v0, 0xffffff1f, v0, 32
	v_mov_b32_e32 v3, v2
	v_readfirstlane_b32 s11, v7
	v_mov_b32_e32 v10, s16
	v_add_co_ci_u32_e32 v7, vcc_lo, 0, v7, vcc_lo
	v_mov_b32_e32 v11, s17
	v_mov_b32_e32 v12, s18
	v_mov_b32_e32 v13, s19
	global_store_dwordx4 v48, v[0:3], s[10:11]
	global_store_dwordx4 v48, v[10:13], s[10:11] offset:16
	global_store_dwordx4 v48, v[10:13], s[10:11] offset:32
	;; [unrolled: 1-line block ×3, first 2 shown]
	s_and_saveexec_b32 s5, s4
	s_cbranch_execz .LBB6_765
; %bb.758:
	v_mov_b32_e32 v10, 0
	v_mov_b32_e32 v11, s6
	;; [unrolled: 1-line block ×3, first 2 shown]
	s_clause 0x1
	global_load_dwordx2 v[13:14], v10, s[26:27] offset:32 glc dlc
	global_load_dwordx2 v[0:1], v10, s[26:27] offset:40
	s_waitcnt vmcnt(0)
	v_readfirstlane_b32 s10, v0
	v_readfirstlane_b32 s11, v1
	s_and_b64 s[10:11], s[10:11], s[6:7]
	s_mul_i32 s11, s11, 24
	s_mul_hi_u32 s16, s10, 24
	s_mul_i32 s10, s10, 24
	s_add_i32 s16, s16, s11
	v_add_co_u32 v4, vcc_lo, v4, s10
	v_add_co_ci_u32_e32 v5, vcc_lo, s16, v5, vcc_lo
	s_mov_b32 s10, exec_lo
	global_store_dwordx2 v[4:5], v[13:14], off
	s_waitcnt_vscnt null, 0x0
	global_atomic_cmpswap_x2 v[2:3], v10, v[11:14], s[26:27] offset:32 glc
	s_waitcnt vmcnt(0)
	v_cmpx_ne_u64_e64 v[2:3], v[13:14]
	s_cbranch_execz .LBB6_761
; %bb.759:
	s_mov_b32 s11, 0
.LBB6_760:                              ; =>This Inner Loop Header: Depth=1
	v_mov_b32_e32 v0, s6
	v_mov_b32_e32 v1, s7
	s_sleep 1
	global_store_dwordx2 v[4:5], v[2:3], off
	s_waitcnt_vscnt null, 0x0
	global_atomic_cmpswap_x2 v[0:1], v10, v[0:3], s[26:27] offset:32 glc
	s_waitcnt vmcnt(0)
	v_cmp_eq_u64_e32 vcc_lo, v[0:1], v[2:3]
	v_mov_b32_e32 v3, v1
	v_mov_b32_e32 v2, v0
	s_or_b32 s11, vcc_lo, s11
	s_andn2_b32 exec_lo, exec_lo, s11
	s_cbranch_execnz .LBB6_760
.LBB6_761:
	s_or_b32 exec_lo, exec_lo, s10
	v_mov_b32_e32 v3, 0
	s_mov_b32 s11, exec_lo
	s_mov_b32 s10, exec_lo
	v_mbcnt_lo_u32_b32 v2, s11, 0
	global_load_dwordx2 v[0:1], v3, s[26:27] offset:16
	v_cmpx_eq_u32_e32 0, v2
	s_cbranch_execz .LBB6_763
; %bb.762:
	s_bcnt1_i32_b32 s11, s11
	v_mov_b32_e32 v2, s11
	s_waitcnt vmcnt(0)
	global_atomic_add_x2 v[0:1], v[2:3], off offset:8
.LBB6_763:
	s_or_b32 exec_lo, exec_lo, s10
	s_waitcnt vmcnt(0)
	global_load_dwordx2 v[2:3], v[0:1], off offset:16
	s_waitcnt vmcnt(0)
	v_cmp_eq_u64_e32 vcc_lo, 0, v[2:3]
	s_cbranch_vccnz .LBB6_765
; %bb.764:
	global_load_dword v0, v[0:1], off offset:24
	v_mov_b32_e32 v1, 0
	s_waitcnt vmcnt(0)
	v_and_b32_e32 v4, 0x7fffff, v0
	s_waitcnt_vscnt null, 0x0
	global_store_dwordx2 v[2:3], v[0:1], off
	v_readfirstlane_b32 m0, v4
	s_sendmsg sendmsg(MSG_INTERRUPT)
.LBB6_765:
	s_or_b32 exec_lo, exec_lo, s5
	s_branch .LBB6_769
	.p2align	6
.LBB6_766:                              ;   in Loop: Header=BB6_769 Depth=1
	s_or_b32 exec_lo, exec_lo, s5
	v_readfirstlane_b32 s5, v0
	s_cmp_eq_u32 s5, 0
	s_cbranch_scc1 .LBB6_768
; %bb.767:                              ;   in Loop: Header=BB6_769 Depth=1
	s_sleep 1
	s_cbranch_execnz .LBB6_769
	s_branch .LBB6_771
	.p2align	6
.LBB6_768:
	s_branch .LBB6_771
.LBB6_769:                              ; =>This Inner Loop Header: Depth=1
	v_mov_b32_e32 v0, 1
	s_and_saveexec_b32 s5, s4
	s_cbranch_execz .LBB6_766
; %bb.770:                              ;   in Loop: Header=BB6_769 Depth=1
	global_load_dword v0, v[8:9], off offset:20 glc dlc
	s_waitcnt vmcnt(0)
	buffer_gl1_inv
	buffer_gl0_inv
	v_and_b32_e32 v0, 1, v0
	s_branch .LBB6_766
.LBB6_771:
	global_load_dwordx2 v[2:3], v[6:7], off
	s_and_saveexec_b32 s5, s4
	s_cbranch_execz .LBB6_775
; %bb.772:
	v_mov_b32_e32 v8, 0
	s_clause 0x2
	global_load_dwordx2 v[0:1], v8, s[26:27] offset:40
	global_load_dwordx2 v[9:10], v8, s[26:27] offset:24 glc dlc
	global_load_dwordx2 v[6:7], v8, s[26:27]
	s_waitcnt vmcnt(2)
	v_add_co_u32 v11, vcc_lo, v0, 1
	v_add_co_ci_u32_e32 v12, vcc_lo, 0, v1, vcc_lo
	v_add_co_u32 v4, vcc_lo, v11, s6
	v_add_co_ci_u32_e32 v5, vcc_lo, s7, v12, vcc_lo
	v_cmp_eq_u64_e32 vcc_lo, 0, v[4:5]
	v_cndmask_b32_e32 v5, v5, v12, vcc_lo
	v_cndmask_b32_e32 v4, v4, v11, vcc_lo
	v_and_b32_e32 v1, v5, v1
	v_and_b32_e32 v0, v4, v0
	v_mul_lo_u32 v1, v1, 24
	v_mul_hi_u32 v11, v0, 24
	v_mul_lo_u32 v0, v0, 24
	v_add_nc_u32_e32 v1, v11, v1
	s_waitcnt vmcnt(0)
	v_add_co_u32 v0, vcc_lo, v6, v0
	v_mov_b32_e32 v6, v9
	v_add_co_ci_u32_e32 v1, vcc_lo, v7, v1, vcc_lo
	v_mov_b32_e32 v7, v10
	global_store_dwordx2 v[0:1], v[9:10], off
	s_waitcnt_vscnt null, 0x0
	global_atomic_cmpswap_x2 v[6:7], v8, v[4:7], s[26:27] offset:24 glc
	s_waitcnt vmcnt(0)
	v_cmp_ne_u64_e32 vcc_lo, v[6:7], v[9:10]
	s_and_b32 exec_lo, exec_lo, vcc_lo
	s_cbranch_execz .LBB6_775
; %bb.773:
	s_mov_b32 s4, 0
.LBB6_774:                              ; =>This Inner Loop Header: Depth=1
	s_sleep 1
	global_store_dwordx2 v[0:1], v[6:7], off
	s_waitcnt_vscnt null, 0x0
	global_atomic_cmpswap_x2 v[9:10], v8, v[4:7], s[26:27] offset:24 glc
	s_waitcnt vmcnt(0)
	v_cmp_eq_u64_e32 vcc_lo, v[9:10], v[6:7]
	v_mov_b32_e32 v6, v9
	v_mov_b32_e32 v7, v10
	s_or_b32 s4, vcc_lo, s4
	s_andn2_b32 exec_lo, exec_lo, s4
	s_cbranch_execnz .LBB6_774
.LBB6_775:
	s_or_b32 exec_lo, exec_lo, s5
.LBB6_776:
	v_readfirstlane_b32 s4, v49
	s_waitcnt vmcnt(0)
	v_mov_b32_e32 v0, 0
	v_mov_b32_e32 v1, 0
	v_cmp_eq_u32_e64 s4, s4, v49
	s_and_saveexec_b32 s5, s4
	s_cbranch_execz .LBB6_782
; %bb.777:
	v_mov_b32_e32 v4, 0
	s_mov_b32 s6, exec_lo
	global_load_dwordx2 v[7:8], v4, s[26:27] offset:24 glc dlc
	s_waitcnt vmcnt(0)
	buffer_gl1_inv
	buffer_gl0_inv
	s_clause 0x1
	global_load_dwordx2 v[0:1], v4, s[26:27] offset:40
	global_load_dwordx2 v[5:6], v4, s[26:27]
	s_waitcnt vmcnt(1)
	v_and_b32_e32 v1, v1, v8
	v_and_b32_e32 v0, v0, v7
	v_mul_lo_u32 v1, v1, 24
	v_mul_hi_u32 v9, v0, 24
	v_mul_lo_u32 v0, v0, 24
	v_add_nc_u32_e32 v1, v9, v1
	s_waitcnt vmcnt(0)
	v_add_co_u32 v0, vcc_lo, v5, v0
	v_add_co_ci_u32_e32 v1, vcc_lo, v6, v1, vcc_lo
	global_load_dwordx2 v[5:6], v[0:1], off glc dlc
	s_waitcnt vmcnt(0)
	global_atomic_cmpswap_x2 v[0:1], v4, v[5:8], s[26:27] offset:24 glc
	s_waitcnt vmcnt(0)
	buffer_gl1_inv
	buffer_gl0_inv
	v_cmpx_ne_u64_e64 v[0:1], v[7:8]
	s_cbranch_execz .LBB6_781
; %bb.778:
	s_mov_b32 s7, 0
	.p2align	6
.LBB6_779:                              ; =>This Inner Loop Header: Depth=1
	s_sleep 1
	s_clause 0x1
	global_load_dwordx2 v[5:6], v4, s[26:27] offset:40
	global_load_dwordx2 v[9:10], v4, s[26:27]
	v_mov_b32_e32 v8, v1
	v_mov_b32_e32 v7, v0
	s_waitcnt vmcnt(1)
	v_and_b32_e32 v0, v5, v7
	v_and_b32_e32 v5, v6, v8
	s_waitcnt vmcnt(0)
	v_mad_u64_u32 v[0:1], null, v0, 24, v[9:10]
	v_mad_u64_u32 v[5:6], null, v5, 24, v[1:2]
	v_mov_b32_e32 v1, v5
	global_load_dwordx2 v[5:6], v[0:1], off glc dlc
	s_waitcnt vmcnt(0)
	global_atomic_cmpswap_x2 v[0:1], v4, v[5:8], s[26:27] offset:24 glc
	s_waitcnt vmcnt(0)
	buffer_gl1_inv
	buffer_gl0_inv
	v_cmp_eq_u64_e32 vcc_lo, v[0:1], v[7:8]
	s_or_b32 s7, vcc_lo, s7
	s_andn2_b32 exec_lo, exec_lo, s7
	s_cbranch_execnz .LBB6_779
; %bb.780:
	s_or_b32 exec_lo, exec_lo, s7
.LBB6_781:
	s_or_b32 exec_lo, exec_lo, s6
.LBB6_782:
	s_or_b32 exec_lo, exec_lo, s5
	v_mov_b32_e32 v5, 0
	v_readfirstlane_b32 s6, v0
	v_readfirstlane_b32 s7, v1
	s_mov_b32 s5, exec_lo
	s_clause 0x1
	global_load_dwordx2 v[10:11], v5, s[26:27] offset:40
	global_load_dwordx4 v[6:9], v5, s[26:27]
	s_waitcnt vmcnt(1)
	v_readfirstlane_b32 s10, v10
	v_readfirstlane_b32 s11, v11
	s_and_b64 s[10:11], s[6:7], s[10:11]
	s_mul_i32 s16, s11, 24
	s_mul_hi_u32 s17, s10, 24
	s_mul_i32 s18, s10, 24
	s_add_i32 s17, s17, s16
	s_waitcnt vmcnt(0)
	v_add_co_u32 v10, vcc_lo, v6, s18
	v_add_co_ci_u32_e32 v11, vcc_lo, s17, v7, vcc_lo
	s_and_saveexec_b32 s16, s4
	s_cbranch_execz .LBB6_784
; %bb.783:
	v_mov_b32_e32 v4, s5
	v_mov_b32_e32 v13, v5
	;; [unrolled: 1-line block ×5, first 2 shown]
	global_store_dwordx4 v[10:11], v[12:15], off offset:8
.LBB6_784:
	s_or_b32 exec_lo, exec_lo, s16
	s_lshl_b64 s[10:11], s[10:11], 12
	s_mov_b32 s16, 0
	v_add_co_u32 v0, vcc_lo, v8, s10
	v_add_co_ci_u32_e32 v1, vcc_lo, s11, v9, vcc_lo
	s_mov_b32 s17, s16
	s_mov_b32 s18, s16
	;; [unrolled: 1-line block ×3, first 2 shown]
	v_and_or_b32 v2, 0xffffff1d, v2, 34
	v_mov_b32_e32 v4, 58
	v_readfirstlane_b32 s10, v0
	v_readfirstlane_b32 s11, v1
	v_mov_b32_e32 v12, s16
	v_mov_b32_e32 v13, s17
	;; [unrolled: 1-line block ×4, first 2 shown]
	global_store_dwordx4 v48, v[2:5], s[10:11]
	global_store_dwordx4 v48, v[12:15], s[10:11] offset:16
	global_store_dwordx4 v48, v[12:15], s[10:11] offset:32
	;; [unrolled: 1-line block ×3, first 2 shown]
	s_and_saveexec_b32 s5, s4
	s_cbranch_execz .LBB6_792
; %bb.785:
	v_mov_b32_e32 v8, 0
	v_mov_b32_e32 v12, s6
	;; [unrolled: 1-line block ×3, first 2 shown]
	s_clause 0x1
	global_load_dwordx2 v[14:15], v8, s[26:27] offset:32 glc dlc
	global_load_dwordx2 v[0:1], v8, s[26:27] offset:40
	s_waitcnt vmcnt(0)
	v_readfirstlane_b32 s10, v0
	v_readfirstlane_b32 s11, v1
	s_and_b64 s[10:11], s[10:11], s[6:7]
	s_mul_i32 s11, s11, 24
	s_mul_hi_u32 s16, s10, 24
	s_mul_i32 s10, s10, 24
	s_add_i32 s16, s16, s11
	v_add_co_u32 v4, vcc_lo, v6, s10
	v_add_co_ci_u32_e32 v5, vcc_lo, s16, v7, vcc_lo
	s_mov_b32 s10, exec_lo
	global_store_dwordx2 v[4:5], v[14:15], off
	s_waitcnt_vscnt null, 0x0
	global_atomic_cmpswap_x2 v[2:3], v8, v[12:15], s[26:27] offset:32 glc
	s_waitcnt vmcnt(0)
	v_cmpx_ne_u64_e64 v[2:3], v[14:15]
	s_cbranch_execz .LBB6_788
; %bb.786:
	s_mov_b32 s11, 0
.LBB6_787:                              ; =>This Inner Loop Header: Depth=1
	v_mov_b32_e32 v0, s6
	v_mov_b32_e32 v1, s7
	s_sleep 1
	global_store_dwordx2 v[4:5], v[2:3], off
	s_waitcnt_vscnt null, 0x0
	global_atomic_cmpswap_x2 v[0:1], v8, v[0:3], s[26:27] offset:32 glc
	s_waitcnt vmcnt(0)
	v_cmp_eq_u64_e32 vcc_lo, v[0:1], v[2:3]
	v_mov_b32_e32 v3, v1
	v_mov_b32_e32 v2, v0
	s_or_b32 s11, vcc_lo, s11
	s_andn2_b32 exec_lo, exec_lo, s11
	s_cbranch_execnz .LBB6_787
.LBB6_788:
	s_or_b32 exec_lo, exec_lo, s10
	v_mov_b32_e32 v3, 0
	s_mov_b32 s11, exec_lo
	s_mov_b32 s10, exec_lo
	v_mbcnt_lo_u32_b32 v2, s11, 0
	global_load_dwordx2 v[0:1], v3, s[26:27] offset:16
	v_cmpx_eq_u32_e32 0, v2
	s_cbranch_execz .LBB6_790
; %bb.789:
	s_bcnt1_i32_b32 s11, s11
	v_mov_b32_e32 v2, s11
	s_waitcnt vmcnt(0)
	global_atomic_add_x2 v[0:1], v[2:3], off offset:8
.LBB6_790:
	s_or_b32 exec_lo, exec_lo, s10
	s_waitcnt vmcnt(0)
	global_load_dwordx2 v[2:3], v[0:1], off offset:16
	s_waitcnt vmcnt(0)
	v_cmp_eq_u64_e32 vcc_lo, 0, v[2:3]
	s_cbranch_vccnz .LBB6_792
; %bb.791:
	global_load_dword v0, v[0:1], off offset:24
	v_mov_b32_e32 v1, 0
	s_waitcnt vmcnt(0)
	v_and_b32_e32 v4, 0x7fffff, v0
	s_waitcnt_vscnt null, 0x0
	global_store_dwordx2 v[2:3], v[0:1], off
	v_readfirstlane_b32 m0, v4
	s_sendmsg sendmsg(MSG_INTERRUPT)
.LBB6_792:
	s_or_b32 exec_lo, exec_lo, s5
	s_branch .LBB6_796
	.p2align	6
.LBB6_793:                              ;   in Loop: Header=BB6_796 Depth=1
	s_or_b32 exec_lo, exec_lo, s5
	v_readfirstlane_b32 s5, v0
	s_cmp_eq_u32 s5, 0
	s_cbranch_scc1 .LBB6_795
; %bb.794:                              ;   in Loop: Header=BB6_796 Depth=1
	s_sleep 1
	s_cbranch_execnz .LBB6_796
	s_branch .LBB6_798
	.p2align	6
.LBB6_795:
	s_branch .LBB6_798
.LBB6_796:                              ; =>This Inner Loop Header: Depth=1
	v_mov_b32_e32 v0, 1
	s_and_saveexec_b32 s5, s4
	s_cbranch_execz .LBB6_793
; %bb.797:                              ;   in Loop: Header=BB6_796 Depth=1
	global_load_dword v0, v[10:11], off offset:20 glc dlc
	s_waitcnt vmcnt(0)
	buffer_gl1_inv
	buffer_gl0_inv
	v_and_b32_e32 v0, 1, v0
	s_branch .LBB6_793
.LBB6_798:
	s_and_saveexec_b32 s5, s4
	s_cbranch_execz .LBB6_802
; %bb.799:
	v_mov_b32_e32 v6, 0
	s_clause 0x2
	global_load_dwordx2 v[2:3], v6, s[26:27] offset:40
	global_load_dwordx2 v[7:8], v6, s[26:27] offset:24 glc dlc
	global_load_dwordx2 v[4:5], v6, s[26:27]
	s_waitcnt vmcnt(2)
	v_add_co_u32 v9, vcc_lo, v2, 1
	v_add_co_ci_u32_e32 v10, vcc_lo, 0, v3, vcc_lo
	v_add_co_u32 v0, vcc_lo, v9, s6
	v_add_co_ci_u32_e32 v1, vcc_lo, s7, v10, vcc_lo
	v_cmp_eq_u64_e32 vcc_lo, 0, v[0:1]
	v_cndmask_b32_e32 v1, v1, v10, vcc_lo
	v_cndmask_b32_e32 v0, v0, v9, vcc_lo
	v_and_b32_e32 v3, v1, v3
	v_and_b32_e32 v2, v0, v2
	v_mul_lo_u32 v3, v3, 24
	v_mul_hi_u32 v9, v2, 24
	v_mul_lo_u32 v2, v2, 24
	v_add_nc_u32_e32 v3, v9, v3
	s_waitcnt vmcnt(0)
	v_add_co_u32 v4, vcc_lo, v4, v2
	v_mov_b32_e32 v2, v7
	v_add_co_ci_u32_e32 v5, vcc_lo, v5, v3, vcc_lo
	v_mov_b32_e32 v3, v8
	global_store_dwordx2 v[4:5], v[7:8], off
	s_waitcnt_vscnt null, 0x0
	global_atomic_cmpswap_x2 v[2:3], v6, v[0:3], s[26:27] offset:24 glc
	s_waitcnt vmcnt(0)
	v_cmp_ne_u64_e32 vcc_lo, v[2:3], v[7:8]
	s_and_b32 exec_lo, exec_lo, vcc_lo
	s_cbranch_execz .LBB6_802
; %bb.800:
	s_mov_b32 s4, 0
.LBB6_801:                              ; =>This Inner Loop Header: Depth=1
	s_sleep 1
	global_store_dwordx2 v[4:5], v[2:3], off
	s_waitcnt_vscnt null, 0x0
	global_atomic_cmpswap_x2 v[7:8], v6, v[0:3], s[26:27] offset:24 glc
	s_waitcnt vmcnt(0)
	v_cmp_eq_u64_e32 vcc_lo, v[7:8], v[2:3]
	v_mov_b32_e32 v2, v7
	v_mov_b32_e32 v3, v8
	s_or_b32 s4, vcc_lo, s4
	s_andn2_b32 exec_lo, exec_lo, s4
	s_cbranch_execnz .LBB6_801
.LBB6_802:
	s_or_b32 exec_lo, exec_lo, s5
	v_readfirstlane_b32 s4, v49
	v_mov_b32_e32 v6, 0
	v_mov_b32_e32 v7, 0
	v_cmp_eq_u32_e64 s4, s4, v49
	s_and_saveexec_b32 s5, s4
	s_cbranch_execz .LBB6_808
; %bb.803:
	v_mov_b32_e32 v0, 0
	s_mov_b32 s6, exec_lo
	global_load_dwordx2 v[3:4], v0, s[26:27] offset:24 glc dlc
	s_waitcnt vmcnt(0)
	buffer_gl1_inv
	buffer_gl0_inv
	s_clause 0x1
	global_load_dwordx2 v[1:2], v0, s[26:27] offset:40
	global_load_dwordx2 v[5:6], v0, s[26:27]
	s_waitcnt vmcnt(1)
	v_and_b32_e32 v2, v2, v4
	v_and_b32_e32 v1, v1, v3
	v_mul_lo_u32 v2, v2, 24
	v_mul_hi_u32 v7, v1, 24
	v_mul_lo_u32 v1, v1, 24
	v_add_nc_u32_e32 v2, v7, v2
	s_waitcnt vmcnt(0)
	v_add_co_u32 v1, vcc_lo, v5, v1
	v_add_co_ci_u32_e32 v2, vcc_lo, v6, v2, vcc_lo
	global_load_dwordx2 v[1:2], v[1:2], off glc dlc
	s_waitcnt vmcnt(0)
	global_atomic_cmpswap_x2 v[6:7], v0, v[1:4], s[26:27] offset:24 glc
	s_waitcnt vmcnt(0)
	buffer_gl1_inv
	buffer_gl0_inv
	v_cmpx_ne_u64_e64 v[6:7], v[3:4]
	s_cbranch_execz .LBB6_807
; %bb.804:
	s_mov_b32 s7, 0
	.p2align	6
.LBB6_805:                              ; =>This Inner Loop Header: Depth=1
	s_sleep 1
	s_clause 0x1
	global_load_dwordx2 v[1:2], v0, s[26:27] offset:40
	global_load_dwordx2 v[8:9], v0, s[26:27]
	v_mov_b32_e32 v3, v6
	v_mov_b32_e32 v4, v7
	s_waitcnt vmcnt(1)
	v_and_b32_e32 v1, v1, v3
	v_and_b32_e32 v2, v2, v4
	s_waitcnt vmcnt(0)
	v_mad_u64_u32 v[5:6], null, v1, 24, v[8:9]
	v_mov_b32_e32 v1, v6
	v_mad_u64_u32 v[1:2], null, v2, 24, v[1:2]
	v_mov_b32_e32 v6, v1
	global_load_dwordx2 v[1:2], v[5:6], off glc dlc
	s_waitcnt vmcnt(0)
	global_atomic_cmpswap_x2 v[6:7], v0, v[1:4], s[26:27] offset:24 glc
	s_waitcnt vmcnt(0)
	buffer_gl1_inv
	buffer_gl0_inv
	v_cmp_eq_u64_e32 vcc_lo, v[6:7], v[3:4]
	s_or_b32 s7, vcc_lo, s7
	s_andn2_b32 exec_lo, exec_lo, s7
	s_cbranch_execnz .LBB6_805
; %bb.806:
	s_or_b32 exec_lo, exec_lo, s7
.LBB6_807:
	s_or_b32 exec_lo, exec_lo, s6
.LBB6_808:
	s_or_b32 exec_lo, exec_lo, s5
	v_mov_b32_e32 v5, 0
	v_readfirstlane_b32 s6, v6
	v_readfirstlane_b32 s7, v7
	s_mov_b32 s5, exec_lo
	s_clause 0x1
	global_load_dwordx2 v[8:9], v5, s[26:27] offset:40
	global_load_dwordx4 v[0:3], v5, s[26:27]
	s_waitcnt vmcnt(1)
	v_readfirstlane_b32 s10, v8
	v_readfirstlane_b32 s11, v9
	s_and_b64 s[10:11], s[6:7], s[10:11]
	s_mul_i32 s16, s11, 24
	s_mul_hi_u32 s17, s10, 24
	s_mul_i32 s18, s10, 24
	s_add_i32 s17, s17, s16
	s_waitcnt vmcnt(0)
	v_add_co_u32 v8, vcc_lo, v0, s18
	v_add_co_ci_u32_e32 v9, vcc_lo, s17, v1, vcc_lo
	s_and_saveexec_b32 s16, s4
	s_cbranch_execz .LBB6_810
; %bb.809:
	v_mov_b32_e32 v4, s5
	v_mov_b32_e32 v6, 2
	;; [unrolled: 1-line block ×3, first 2 shown]
	global_store_dwordx4 v[8:9], v[4:7], off offset:8
.LBB6_810:
	s_or_b32 exec_lo, exec_lo, s16
	s_lshl_b64 s[10:11], s[10:11], 12
	s_mov_b32 s16, 0
	v_add_co_u32 v2, vcc_lo, v2, s10
	v_add_co_ci_u32_e32 v3, vcc_lo, s11, v3, vcc_lo
	s_mov_b32 s17, s16
	v_add_co_u32 v10, vcc_lo, v2, v48
	s_mov_b32 s18, s16
	s_mov_b32 s19, s16
	v_mov_b32_e32 v4, 33
	v_mov_b32_e32 v6, v5
	;; [unrolled: 1-line block ×3, first 2 shown]
	v_readfirstlane_b32 s10, v2
	v_readfirstlane_b32 s11, v3
	v_mov_b32_e32 v12, s16
	v_add_co_ci_u32_e32 v11, vcc_lo, 0, v3, vcc_lo
	v_mov_b32_e32 v13, s17
	v_mov_b32_e32 v14, s18
	;; [unrolled: 1-line block ×3, first 2 shown]
	global_store_dwordx4 v48, v[4:7], s[10:11]
	global_store_dwordx4 v48, v[12:15], s[10:11] offset:16
	global_store_dwordx4 v48, v[12:15], s[10:11] offset:32
	;; [unrolled: 1-line block ×3, first 2 shown]
	s_and_saveexec_b32 s5, s4
	s_cbranch_execz .LBB6_818
; %bb.811:
	v_mov_b32_e32 v6, 0
	v_mov_b32_e32 v12, s6
	;; [unrolled: 1-line block ×3, first 2 shown]
	s_clause 0x1
	global_load_dwordx2 v[14:15], v6, s[26:27] offset:32 glc dlc
	global_load_dwordx2 v[2:3], v6, s[26:27] offset:40
	s_waitcnt vmcnt(0)
	v_readfirstlane_b32 s10, v2
	v_readfirstlane_b32 s11, v3
	s_and_b64 s[10:11], s[10:11], s[6:7]
	s_mul_i32 s11, s11, 24
	s_mul_hi_u32 s16, s10, 24
	s_mul_i32 s10, s10, 24
	s_add_i32 s16, s16, s11
	v_add_co_u32 v4, vcc_lo, v0, s10
	v_add_co_ci_u32_e32 v5, vcc_lo, s16, v1, vcc_lo
	s_mov_b32 s10, exec_lo
	global_store_dwordx2 v[4:5], v[14:15], off
	s_waitcnt_vscnt null, 0x0
	global_atomic_cmpswap_x2 v[2:3], v6, v[12:15], s[26:27] offset:32 glc
	s_waitcnt vmcnt(0)
	v_cmpx_ne_u64_e64 v[2:3], v[14:15]
	s_cbranch_execz .LBB6_814
; %bb.812:
	s_mov_b32 s11, 0
.LBB6_813:                              ; =>This Inner Loop Header: Depth=1
	v_mov_b32_e32 v0, s6
	v_mov_b32_e32 v1, s7
	s_sleep 1
	global_store_dwordx2 v[4:5], v[2:3], off
	s_waitcnt_vscnt null, 0x0
	global_atomic_cmpswap_x2 v[0:1], v6, v[0:3], s[26:27] offset:32 glc
	s_waitcnt vmcnt(0)
	v_cmp_eq_u64_e32 vcc_lo, v[0:1], v[2:3]
	v_mov_b32_e32 v3, v1
	v_mov_b32_e32 v2, v0
	s_or_b32 s11, vcc_lo, s11
	s_andn2_b32 exec_lo, exec_lo, s11
	s_cbranch_execnz .LBB6_813
.LBB6_814:
	s_or_b32 exec_lo, exec_lo, s10
	v_mov_b32_e32 v3, 0
	s_mov_b32 s11, exec_lo
	s_mov_b32 s10, exec_lo
	v_mbcnt_lo_u32_b32 v2, s11, 0
	global_load_dwordx2 v[0:1], v3, s[26:27] offset:16
	v_cmpx_eq_u32_e32 0, v2
	s_cbranch_execz .LBB6_816
; %bb.815:
	s_bcnt1_i32_b32 s11, s11
	v_mov_b32_e32 v2, s11
	s_waitcnt vmcnt(0)
	global_atomic_add_x2 v[0:1], v[2:3], off offset:8
.LBB6_816:
	s_or_b32 exec_lo, exec_lo, s10
	s_waitcnt vmcnt(0)
	global_load_dwordx2 v[2:3], v[0:1], off offset:16
	s_waitcnt vmcnt(0)
	v_cmp_eq_u64_e32 vcc_lo, 0, v[2:3]
	s_cbranch_vccnz .LBB6_818
; %bb.817:
	global_load_dword v0, v[0:1], off offset:24
	v_mov_b32_e32 v1, 0
	s_waitcnt vmcnt(0)
	v_and_b32_e32 v4, 0x7fffff, v0
	s_waitcnt_vscnt null, 0x0
	global_store_dwordx2 v[2:3], v[0:1], off
	v_readfirstlane_b32 m0, v4
	s_sendmsg sendmsg(MSG_INTERRUPT)
.LBB6_818:
	s_or_b32 exec_lo, exec_lo, s5
	s_branch .LBB6_822
	.p2align	6
.LBB6_819:                              ;   in Loop: Header=BB6_822 Depth=1
	s_or_b32 exec_lo, exec_lo, s5
	v_readfirstlane_b32 s5, v0
	s_cmp_eq_u32 s5, 0
	s_cbranch_scc1 .LBB6_821
; %bb.820:                              ;   in Loop: Header=BB6_822 Depth=1
	s_sleep 1
	s_cbranch_execnz .LBB6_822
	s_branch .LBB6_824
	.p2align	6
.LBB6_821:
	s_branch .LBB6_824
.LBB6_822:                              ; =>This Inner Loop Header: Depth=1
	v_mov_b32_e32 v0, 1
	s_and_saveexec_b32 s5, s4
	s_cbranch_execz .LBB6_819
; %bb.823:                              ;   in Loop: Header=BB6_822 Depth=1
	global_load_dword v0, v[8:9], off offset:20 glc dlc
	s_waitcnt vmcnt(0)
	buffer_gl1_inv
	buffer_gl0_inv
	v_and_b32_e32 v0, 1, v0
	s_branch .LBB6_819
.LBB6_824:
	global_load_dwordx2 v[0:1], v[10:11], off
	s_and_saveexec_b32 s5, s4
	s_cbranch_execz .LBB6_828
; %bb.825:
	v_mov_b32_e32 v8, 0
	s_clause 0x2
	global_load_dwordx2 v[4:5], v8, s[26:27] offset:40
	global_load_dwordx2 v[9:10], v8, s[26:27] offset:24 glc dlc
	global_load_dwordx2 v[6:7], v8, s[26:27]
	s_waitcnt vmcnt(2)
	v_add_co_u32 v11, vcc_lo, v4, 1
	v_add_co_ci_u32_e32 v12, vcc_lo, 0, v5, vcc_lo
	v_add_co_u32 v2, vcc_lo, v11, s6
	v_add_co_ci_u32_e32 v3, vcc_lo, s7, v12, vcc_lo
	v_cmp_eq_u64_e32 vcc_lo, 0, v[2:3]
	v_cndmask_b32_e32 v3, v3, v12, vcc_lo
	v_cndmask_b32_e32 v2, v2, v11, vcc_lo
	v_and_b32_e32 v5, v3, v5
	v_and_b32_e32 v4, v2, v4
	v_mul_lo_u32 v5, v5, 24
	v_mul_hi_u32 v11, v4, 24
	v_mul_lo_u32 v4, v4, 24
	v_add_nc_u32_e32 v5, v11, v5
	s_waitcnt vmcnt(0)
	v_add_co_u32 v6, vcc_lo, v6, v4
	v_mov_b32_e32 v4, v9
	v_add_co_ci_u32_e32 v7, vcc_lo, v7, v5, vcc_lo
	v_mov_b32_e32 v5, v10
	global_store_dwordx2 v[6:7], v[9:10], off
	s_waitcnt_vscnt null, 0x0
	global_atomic_cmpswap_x2 v[4:5], v8, v[2:5], s[26:27] offset:24 glc
	s_waitcnt vmcnt(0)
	v_cmp_ne_u64_e32 vcc_lo, v[4:5], v[9:10]
	s_and_b32 exec_lo, exec_lo, vcc_lo
	s_cbranch_execz .LBB6_828
; %bb.826:
	s_mov_b32 s4, 0
.LBB6_827:                              ; =>This Inner Loop Header: Depth=1
	s_sleep 1
	global_store_dwordx2 v[6:7], v[4:5], off
	s_waitcnt_vscnt null, 0x0
	global_atomic_cmpswap_x2 v[9:10], v8, v[2:5], s[26:27] offset:24 glc
	s_waitcnt vmcnt(0)
	v_cmp_eq_u64_e32 vcc_lo, v[9:10], v[4:5]
	v_mov_b32_e32 v4, v9
	v_mov_b32_e32 v5, v10
	s_or_b32 s4, vcc_lo, s4
	s_andn2_b32 exec_lo, exec_lo, s4
	s_cbranch_execnz .LBB6_827
.LBB6_828:
	s_or_b32 exec_lo, exec_lo, s5
	s_getpc_b64 s[6:7]
	s_add_u32 s6, s6, .str.7@rel32@lo+4
	s_addc_u32 s7, s7, .str.7@rel32@hi+12
	s_cmp_lg_u64 s[6:7], 0
	s_cbranch_scc0 .LBB6_907
; %bb.829:
	s_waitcnt vmcnt(0)
	v_and_b32_e32 v31, 2, v0
	v_mov_b32_e32 v6, 0
	v_and_b32_e32 v2, -3, v0
	v_mov_b32_e32 v3, v1
	v_mov_b32_e32 v7, 2
	;; [unrolled: 1-line block ×3, first 2 shown]
	s_mov_b64 s[10:11], 4
	s_branch .LBB6_831
.LBB6_830:                              ;   in Loop: Header=BB6_831 Depth=1
	s_or_b32 exec_lo, exec_lo, s5
	s_sub_u32 s10, s10, s16
	s_subb_u32 s11, s11, s17
	s_add_u32 s6, s6, s16
	s_addc_u32 s7, s7, s17
	s_cmp_lg_u64 s[10:11], 0
	s_cbranch_scc0 .LBB6_906
.LBB6_831:                              ; =>This Loop Header: Depth=1
                                        ;     Child Loop BB6_840 Depth 2
                                        ;     Child Loop BB6_836 Depth 2
	;; [unrolled: 1-line block ×11, first 2 shown]
	v_cmp_lt_u64_e64 s4, s[10:11], 56
	v_cmp_gt_u64_e64 s5, s[10:11], 7
                                        ; implicit-def: $vgpr11_vgpr12
                                        ; implicit-def: $sgpr22
	s_and_b32 s4, s4, exec_lo
	s_cselect_b32 s17, s11, 0
	s_cselect_b32 s16, s10, 56
	s_and_b32 vcc_lo, exec_lo, s5
	s_mov_b32 s4, -1
	s_cbranch_vccz .LBB6_838
; %bb.832:                              ;   in Loop: Header=BB6_831 Depth=1
	s_andn2_b32 vcc_lo, exec_lo, s4
	s_mov_b64 s[4:5], s[6:7]
	s_cbranch_vccz .LBB6_842
.LBB6_833:                              ;   in Loop: Header=BB6_831 Depth=1
	s_cmp_gt_u32 s22, 7
	s_cbranch_scc1 .LBB6_843
.LBB6_834:                              ;   in Loop: Header=BB6_831 Depth=1
	v_mov_b32_e32 v13, 0
	v_mov_b32_e32 v14, 0
	s_cmp_eq_u32 s22, 0
	s_cbranch_scc1 .LBB6_837
; %bb.835:                              ;   in Loop: Header=BB6_831 Depth=1
	s_mov_b64 s[18:19], 0
	s_mov_b64 s[20:21], 0
.LBB6_836:                              ;   Parent Loop BB6_831 Depth=1
                                        ; =>  This Inner Loop Header: Depth=2
	s_add_u32 s24, s4, s20
	s_addc_u32 s25, s5, s21
	s_add_u32 s20, s20, 1
	global_load_ubyte v4, v6, s[24:25]
	s_addc_u32 s21, s21, 0
	s_waitcnt vmcnt(0)
	v_and_b32_e32 v5, 0xffff, v4
	v_lshlrev_b64 v[4:5], s18, v[5:6]
	s_add_u32 s18, s18, 8
	s_addc_u32 s19, s19, 0
	s_cmp_lg_u32 s22, s20
	v_or_b32_e32 v13, v4, v13
	v_or_b32_e32 v14, v5, v14
	s_cbranch_scc1 .LBB6_836
.LBB6_837:                              ;   in Loop: Header=BB6_831 Depth=1
	s_mov_b32 s23, 0
	s_cbranch_execz .LBB6_844
	s_branch .LBB6_845
.LBB6_838:                              ;   in Loop: Header=BB6_831 Depth=1
	v_mov_b32_e32 v11, 0
	v_mov_b32_e32 v12, 0
	s_cmp_eq_u64 s[10:11], 0
	s_mov_b64 s[4:5], 0
	s_cbranch_scc1 .LBB6_841
; %bb.839:                              ;   in Loop: Header=BB6_831 Depth=1
	v_mov_b32_e32 v11, 0
	v_mov_b32_e32 v12, 0
	s_lshl_b64 s[18:19], s[16:17], 3
	s_mov_b64 s[20:21], s[6:7]
.LBB6_840:                              ;   Parent Loop BB6_831 Depth=1
                                        ; =>  This Inner Loop Header: Depth=2
	global_load_ubyte v4, v6, s[20:21]
	s_waitcnt vmcnt(0)
	v_and_b32_e32 v5, 0xffff, v4
	v_lshlrev_b64 v[4:5], s4, v[5:6]
	s_add_u32 s4, s4, 8
	s_addc_u32 s5, s5, 0
	s_add_u32 s20, s20, 1
	s_addc_u32 s21, s21, 0
	s_cmp_lg_u32 s18, s4
	v_or_b32_e32 v11, v4, v11
	v_or_b32_e32 v12, v5, v12
	s_cbranch_scc1 .LBB6_840
.LBB6_841:                              ;   in Loop: Header=BB6_831 Depth=1
	s_mov_b32 s22, 0
	s_mov_b64 s[4:5], s[6:7]
	s_cbranch_execnz .LBB6_833
.LBB6_842:                              ;   in Loop: Header=BB6_831 Depth=1
	global_load_dwordx2 v[11:12], v6, s[6:7]
	s_add_i32 s22, s16, -8
	s_add_u32 s4, s6, 8
	s_addc_u32 s5, s7, 0
	s_cmp_gt_u32 s22, 7
	s_cbranch_scc0 .LBB6_834
.LBB6_843:                              ;   in Loop: Header=BB6_831 Depth=1
                                        ; implicit-def: $vgpr13_vgpr14
                                        ; implicit-def: $sgpr23
.LBB6_844:                              ;   in Loop: Header=BB6_831 Depth=1
	global_load_dwordx2 v[13:14], v6, s[4:5]
	s_add_i32 s23, s22, -8
	s_add_u32 s4, s4, 8
	s_addc_u32 s5, s5, 0
.LBB6_845:                              ;   in Loop: Header=BB6_831 Depth=1
	s_cmp_gt_u32 s23, 7
	s_cbranch_scc1 .LBB6_850
; %bb.846:                              ;   in Loop: Header=BB6_831 Depth=1
	v_mov_b32_e32 v15, 0
	v_mov_b32_e32 v16, 0
	s_cmp_eq_u32 s23, 0
	s_cbranch_scc1 .LBB6_849
; %bb.847:                              ;   in Loop: Header=BB6_831 Depth=1
	s_mov_b64 s[18:19], 0
	s_mov_b64 s[20:21], 0
.LBB6_848:                              ;   Parent Loop BB6_831 Depth=1
                                        ; =>  This Inner Loop Header: Depth=2
	s_add_u32 s24, s4, s20
	s_addc_u32 s25, s5, s21
	s_add_u32 s20, s20, 1
	global_load_ubyte v4, v6, s[24:25]
	s_addc_u32 s21, s21, 0
	s_waitcnt vmcnt(0)
	v_and_b32_e32 v5, 0xffff, v4
	v_lshlrev_b64 v[4:5], s18, v[5:6]
	s_add_u32 s18, s18, 8
	s_addc_u32 s19, s19, 0
	s_cmp_lg_u32 s23, s20
	v_or_b32_e32 v15, v4, v15
	v_or_b32_e32 v16, v5, v16
	s_cbranch_scc1 .LBB6_848
.LBB6_849:                              ;   in Loop: Header=BB6_831 Depth=1
	s_mov_b32 s22, 0
	s_cbranch_execz .LBB6_851
	s_branch .LBB6_852
.LBB6_850:                              ;   in Loop: Header=BB6_831 Depth=1
                                        ; implicit-def: $sgpr22
.LBB6_851:                              ;   in Loop: Header=BB6_831 Depth=1
	global_load_dwordx2 v[15:16], v6, s[4:5]
	s_add_i32 s22, s23, -8
	s_add_u32 s4, s4, 8
	s_addc_u32 s5, s5, 0
.LBB6_852:                              ;   in Loop: Header=BB6_831 Depth=1
	s_cmp_gt_u32 s22, 7
	s_cbranch_scc1 .LBB6_857
; %bb.853:                              ;   in Loop: Header=BB6_831 Depth=1
	v_mov_b32_e32 v17, 0
	v_mov_b32_e32 v18, 0
	s_cmp_eq_u32 s22, 0
	s_cbranch_scc1 .LBB6_856
; %bb.854:                              ;   in Loop: Header=BB6_831 Depth=1
	s_mov_b64 s[18:19], 0
	s_mov_b64 s[20:21], 0
.LBB6_855:                              ;   Parent Loop BB6_831 Depth=1
                                        ; =>  This Inner Loop Header: Depth=2
	s_add_u32 s24, s4, s20
	s_addc_u32 s25, s5, s21
	s_add_u32 s20, s20, 1
	global_load_ubyte v4, v6, s[24:25]
	s_addc_u32 s21, s21, 0
	s_waitcnt vmcnt(0)
	v_and_b32_e32 v5, 0xffff, v4
	v_lshlrev_b64 v[4:5], s18, v[5:6]
	s_add_u32 s18, s18, 8
	s_addc_u32 s19, s19, 0
	s_cmp_lg_u32 s22, s20
	v_or_b32_e32 v17, v4, v17
	v_or_b32_e32 v18, v5, v18
	s_cbranch_scc1 .LBB6_855
.LBB6_856:                              ;   in Loop: Header=BB6_831 Depth=1
	s_mov_b32 s23, 0
	s_cbranch_execz .LBB6_858
	s_branch .LBB6_859
.LBB6_857:                              ;   in Loop: Header=BB6_831 Depth=1
                                        ; implicit-def: $vgpr17_vgpr18
                                        ; implicit-def: $sgpr23
.LBB6_858:                              ;   in Loop: Header=BB6_831 Depth=1
	global_load_dwordx2 v[17:18], v6, s[4:5]
	s_add_i32 s23, s22, -8
	s_add_u32 s4, s4, 8
	s_addc_u32 s5, s5, 0
.LBB6_859:                              ;   in Loop: Header=BB6_831 Depth=1
	s_cmp_gt_u32 s23, 7
	s_cbranch_scc1 .LBB6_864
; %bb.860:                              ;   in Loop: Header=BB6_831 Depth=1
	v_mov_b32_e32 v19, 0
	v_mov_b32_e32 v20, 0
	s_cmp_eq_u32 s23, 0
	s_cbranch_scc1 .LBB6_863
; %bb.861:                              ;   in Loop: Header=BB6_831 Depth=1
	s_mov_b64 s[18:19], 0
	s_mov_b64 s[20:21], 0
.LBB6_862:                              ;   Parent Loop BB6_831 Depth=1
                                        ; =>  This Inner Loop Header: Depth=2
	s_add_u32 s24, s4, s20
	s_addc_u32 s25, s5, s21
	s_add_u32 s20, s20, 1
	global_load_ubyte v4, v6, s[24:25]
	s_addc_u32 s21, s21, 0
	s_waitcnt vmcnt(0)
	v_and_b32_e32 v5, 0xffff, v4
	v_lshlrev_b64 v[4:5], s18, v[5:6]
	s_add_u32 s18, s18, 8
	s_addc_u32 s19, s19, 0
	s_cmp_lg_u32 s23, s20
	v_or_b32_e32 v19, v4, v19
	v_or_b32_e32 v20, v5, v20
	s_cbranch_scc1 .LBB6_862
.LBB6_863:                              ;   in Loop: Header=BB6_831 Depth=1
	s_mov_b32 s22, 0
	s_cbranch_execz .LBB6_865
	s_branch .LBB6_866
.LBB6_864:                              ;   in Loop: Header=BB6_831 Depth=1
                                        ; implicit-def: $sgpr22
.LBB6_865:                              ;   in Loop: Header=BB6_831 Depth=1
	global_load_dwordx2 v[19:20], v6, s[4:5]
	s_add_i32 s22, s23, -8
	s_add_u32 s4, s4, 8
	s_addc_u32 s5, s5, 0
.LBB6_866:                              ;   in Loop: Header=BB6_831 Depth=1
	s_cmp_gt_u32 s22, 7
	s_cbranch_scc1 .LBB6_871
; %bb.867:                              ;   in Loop: Header=BB6_831 Depth=1
	v_mov_b32_e32 v21, 0
	v_mov_b32_e32 v22, 0
	s_cmp_eq_u32 s22, 0
	s_cbranch_scc1 .LBB6_870
; %bb.868:                              ;   in Loop: Header=BB6_831 Depth=1
	s_mov_b64 s[18:19], 0
	s_mov_b64 s[20:21], 0
.LBB6_869:                              ;   Parent Loop BB6_831 Depth=1
                                        ; =>  This Inner Loop Header: Depth=2
	s_add_u32 s24, s4, s20
	s_addc_u32 s25, s5, s21
	s_add_u32 s20, s20, 1
	global_load_ubyte v4, v6, s[24:25]
	s_addc_u32 s21, s21, 0
	s_waitcnt vmcnt(0)
	v_and_b32_e32 v5, 0xffff, v4
	v_lshlrev_b64 v[4:5], s18, v[5:6]
	s_add_u32 s18, s18, 8
	s_addc_u32 s19, s19, 0
	s_cmp_lg_u32 s22, s20
	v_or_b32_e32 v21, v4, v21
	v_or_b32_e32 v22, v5, v22
	s_cbranch_scc1 .LBB6_869
.LBB6_870:                              ;   in Loop: Header=BB6_831 Depth=1
	s_mov_b32 s23, 0
	s_cbranch_execz .LBB6_872
	s_branch .LBB6_873
.LBB6_871:                              ;   in Loop: Header=BB6_831 Depth=1
                                        ; implicit-def: $vgpr21_vgpr22
                                        ; implicit-def: $sgpr23
.LBB6_872:                              ;   in Loop: Header=BB6_831 Depth=1
	global_load_dwordx2 v[21:22], v6, s[4:5]
	s_add_i32 s23, s22, -8
	s_add_u32 s4, s4, 8
	s_addc_u32 s5, s5, 0
.LBB6_873:                              ;   in Loop: Header=BB6_831 Depth=1
	s_cmp_gt_u32 s23, 7
	s_cbranch_scc1 .LBB6_878
; %bb.874:                              ;   in Loop: Header=BB6_831 Depth=1
	v_mov_b32_e32 v23, 0
	v_mov_b32_e32 v24, 0
	s_cmp_eq_u32 s23, 0
	s_cbranch_scc1 .LBB6_877
; %bb.875:                              ;   in Loop: Header=BB6_831 Depth=1
	s_mov_b64 s[18:19], 0
	s_mov_b64 s[20:21], s[4:5]
.LBB6_876:                              ;   Parent Loop BB6_831 Depth=1
                                        ; =>  This Inner Loop Header: Depth=2
	global_load_ubyte v4, v6, s[20:21]
	s_add_i32 s23, s23, -1
	s_waitcnt vmcnt(0)
	v_and_b32_e32 v5, 0xffff, v4
	v_lshlrev_b64 v[4:5], s18, v[5:6]
	s_add_u32 s18, s18, 8
	s_addc_u32 s19, s19, 0
	s_add_u32 s20, s20, 1
	s_addc_u32 s21, s21, 0
	s_cmp_lg_u32 s23, 0
	v_or_b32_e32 v23, v4, v23
	v_or_b32_e32 v24, v5, v24
	s_cbranch_scc1 .LBB6_876
.LBB6_877:                              ;   in Loop: Header=BB6_831 Depth=1
	s_cbranch_execz .LBB6_879
	s_branch .LBB6_880
.LBB6_878:                              ;   in Loop: Header=BB6_831 Depth=1
.LBB6_879:                              ;   in Loop: Header=BB6_831 Depth=1
	global_load_dwordx2 v[23:24], v6, s[4:5]
.LBB6_880:                              ;   in Loop: Header=BB6_831 Depth=1
	v_readfirstlane_b32 s4, v49
	s_waitcnt vmcnt(0)
	v_mov_b32_e32 v4, 0
	v_mov_b32_e32 v5, 0
	v_cmp_eq_u32_e64 s4, s4, v49
	s_and_saveexec_b32 s5, s4
	s_cbranch_execz .LBB6_886
; %bb.881:                              ;   in Loop: Header=BB6_831 Depth=1
	global_load_dwordx2 v[27:28], v6, s[26:27] offset:24 glc dlc
	s_waitcnt vmcnt(0)
	buffer_gl1_inv
	buffer_gl0_inv
	s_clause 0x1
	global_load_dwordx2 v[4:5], v6, s[26:27] offset:40
	global_load_dwordx2 v[9:10], v6, s[26:27]
	s_mov_b32 s18, exec_lo
	s_waitcnt vmcnt(1)
	v_and_b32_e32 v5, v5, v28
	v_and_b32_e32 v4, v4, v27
	v_mul_lo_u32 v5, v5, 24
	v_mul_hi_u32 v25, v4, 24
	v_mul_lo_u32 v4, v4, 24
	v_add_nc_u32_e32 v5, v25, v5
	s_waitcnt vmcnt(0)
	v_add_co_u32 v4, vcc_lo, v9, v4
	v_add_co_ci_u32_e32 v5, vcc_lo, v10, v5, vcc_lo
	global_load_dwordx2 v[25:26], v[4:5], off glc dlc
	s_waitcnt vmcnt(0)
	global_atomic_cmpswap_x2 v[4:5], v6, v[25:28], s[26:27] offset:24 glc
	s_waitcnt vmcnt(0)
	buffer_gl1_inv
	buffer_gl0_inv
	v_cmpx_ne_u64_e64 v[4:5], v[27:28]
	s_cbranch_execz .LBB6_885
; %bb.882:                              ;   in Loop: Header=BB6_831 Depth=1
	s_mov_b32 s19, 0
	.p2align	6
.LBB6_883:                              ;   Parent Loop BB6_831 Depth=1
                                        ; =>  This Inner Loop Header: Depth=2
	s_sleep 1
	s_clause 0x1
	global_load_dwordx2 v[9:10], v6, s[26:27] offset:40
	global_load_dwordx2 v[25:26], v6, s[26:27]
	v_mov_b32_e32 v28, v5
	v_mov_b32_e32 v27, v4
	s_waitcnt vmcnt(1)
	v_and_b32_e32 v4, v9, v27
	v_and_b32_e32 v9, v10, v28
	s_waitcnt vmcnt(0)
	v_mad_u64_u32 v[4:5], null, v4, 24, v[25:26]
	v_mad_u64_u32 v[9:10], null, v9, 24, v[5:6]
	v_mov_b32_e32 v5, v9
	global_load_dwordx2 v[25:26], v[4:5], off glc dlc
	s_waitcnt vmcnt(0)
	global_atomic_cmpswap_x2 v[4:5], v6, v[25:28], s[26:27] offset:24 glc
	s_waitcnt vmcnt(0)
	buffer_gl1_inv
	buffer_gl0_inv
	v_cmp_eq_u64_e32 vcc_lo, v[4:5], v[27:28]
	s_or_b32 s19, vcc_lo, s19
	s_andn2_b32 exec_lo, exec_lo, s19
	s_cbranch_execnz .LBB6_883
; %bb.884:                              ;   in Loop: Header=BB6_831 Depth=1
	s_or_b32 exec_lo, exec_lo, s19
.LBB6_885:                              ;   in Loop: Header=BB6_831 Depth=1
	s_or_b32 exec_lo, exec_lo, s18
.LBB6_886:                              ;   in Loop: Header=BB6_831 Depth=1
	s_or_b32 exec_lo, exec_lo, s5
	s_clause 0x1
	global_load_dwordx2 v[9:10], v6, s[26:27] offset:40
	global_load_dwordx4 v[25:28], v6, s[26:27]
	v_readfirstlane_b32 s18, v4
	v_readfirstlane_b32 s19, v5
	s_mov_b32 s5, exec_lo
	s_waitcnt vmcnt(1)
	v_readfirstlane_b32 s20, v9
	v_readfirstlane_b32 s21, v10
	s_and_b64 s[20:21], s[18:19], s[20:21]
	s_mul_i32 s22, s21, 24
	s_mul_hi_u32 s23, s20, 24
	s_mul_i32 s24, s20, 24
	s_add_i32 s23, s23, s22
	s_waitcnt vmcnt(0)
	v_add_co_u32 v29, vcc_lo, v25, s24
	v_add_co_ci_u32_e32 v30, vcc_lo, s23, v26, vcc_lo
	s_and_saveexec_b32 s22, s4
	s_cbranch_execz .LBB6_888
; %bb.887:                              ;   in Loop: Header=BB6_831 Depth=1
	v_mov_b32_e32 v5, s5
	global_store_dwordx4 v[29:30], v[5:8], off offset:8
.LBB6_888:                              ;   in Loop: Header=BB6_831 Depth=1
	s_or_b32 exec_lo, exec_lo, s22
	s_lshl_b64 s[20:21], s[20:21], 12
	v_cmp_gt_u64_e64 vcc_lo, s[10:11], 56
	v_or_b32_e32 v5, v2, v31
	v_add_co_u32 v27, s5, v27, s20
	v_add_co_ci_u32_e64 v28, s5, s21, v28, s5
	s_lshl_b32 s5, s16, 2
	v_or_b32_e32 v4, 0, v3
	v_cndmask_b32_e32 v2, v5, v2, vcc_lo
	s_add_i32 s5, s5, 28
	v_readfirstlane_b32 s20, v27
	s_and_b32 s5, s5, 0x1e0
	v_cndmask_b32_e32 v10, v4, v3, vcc_lo
	v_readfirstlane_b32 s21, v28
	v_and_or_b32 v9, 0xffffff1f, v2, s5
	global_store_dwordx4 v48, v[9:12], s[20:21]
	global_store_dwordx4 v48, v[13:16], s[20:21] offset:16
	global_store_dwordx4 v48, v[17:20], s[20:21] offset:32
	;; [unrolled: 1-line block ×3, first 2 shown]
	s_and_saveexec_b32 s5, s4
	s_cbranch_execz .LBB6_896
; %bb.889:                              ;   in Loop: Header=BB6_831 Depth=1
	s_clause 0x1
	global_load_dwordx2 v[13:14], v6, s[26:27] offset:32 glc dlc
	global_load_dwordx2 v[2:3], v6, s[26:27] offset:40
	v_mov_b32_e32 v11, s18
	v_mov_b32_e32 v12, s19
	s_waitcnt vmcnt(0)
	v_readfirstlane_b32 s20, v2
	v_readfirstlane_b32 s21, v3
	s_and_b64 s[20:21], s[20:21], s[18:19]
	s_mul_i32 s21, s21, 24
	s_mul_hi_u32 s22, s20, 24
	s_mul_i32 s20, s20, 24
	s_add_i32 s22, s22, s21
	v_add_co_u32 v9, vcc_lo, v25, s20
	v_add_co_ci_u32_e32 v10, vcc_lo, s22, v26, vcc_lo
	s_mov_b32 s20, exec_lo
	global_store_dwordx2 v[9:10], v[13:14], off
	s_waitcnt_vscnt null, 0x0
	global_atomic_cmpswap_x2 v[4:5], v6, v[11:14], s[26:27] offset:32 glc
	s_waitcnt vmcnt(0)
	v_cmpx_ne_u64_e64 v[4:5], v[13:14]
	s_cbranch_execz .LBB6_892
; %bb.890:                              ;   in Loop: Header=BB6_831 Depth=1
	s_mov_b32 s21, 0
.LBB6_891:                              ;   Parent Loop BB6_831 Depth=1
                                        ; =>  This Inner Loop Header: Depth=2
	v_mov_b32_e32 v2, s18
	v_mov_b32_e32 v3, s19
	s_sleep 1
	global_store_dwordx2 v[9:10], v[4:5], off
	s_waitcnt_vscnt null, 0x0
	global_atomic_cmpswap_x2 v[2:3], v6, v[2:5], s[26:27] offset:32 glc
	s_waitcnt vmcnt(0)
	v_cmp_eq_u64_e32 vcc_lo, v[2:3], v[4:5]
	v_mov_b32_e32 v5, v3
	v_mov_b32_e32 v4, v2
	s_or_b32 s21, vcc_lo, s21
	s_andn2_b32 exec_lo, exec_lo, s21
	s_cbranch_execnz .LBB6_891
.LBB6_892:                              ;   in Loop: Header=BB6_831 Depth=1
	s_or_b32 exec_lo, exec_lo, s20
	global_load_dwordx2 v[2:3], v6, s[26:27] offset:16
	s_mov_b32 s21, exec_lo
	s_mov_b32 s20, exec_lo
	v_mbcnt_lo_u32_b32 v4, s21, 0
	v_cmpx_eq_u32_e32 0, v4
	s_cbranch_execz .LBB6_894
; %bb.893:                              ;   in Loop: Header=BB6_831 Depth=1
	s_bcnt1_i32_b32 s21, s21
	v_mov_b32_e32 v5, s21
	s_waitcnt vmcnt(0)
	global_atomic_add_x2 v[2:3], v[5:6], off offset:8
.LBB6_894:                              ;   in Loop: Header=BB6_831 Depth=1
	s_or_b32 exec_lo, exec_lo, s20
	s_waitcnt vmcnt(0)
	global_load_dwordx2 v[9:10], v[2:3], off offset:16
	s_waitcnt vmcnt(0)
	v_cmp_eq_u64_e32 vcc_lo, 0, v[9:10]
	s_cbranch_vccnz .LBB6_896
; %bb.895:                              ;   in Loop: Header=BB6_831 Depth=1
	global_load_dword v5, v[2:3], off offset:24
	s_waitcnt vmcnt(0)
	v_and_b32_e32 v2, 0x7fffff, v5
	s_waitcnt_vscnt null, 0x0
	global_store_dwordx2 v[9:10], v[5:6], off
	v_readfirstlane_b32 m0, v2
	s_sendmsg sendmsg(MSG_INTERRUPT)
.LBB6_896:                              ;   in Loop: Header=BB6_831 Depth=1
	s_or_b32 exec_lo, exec_lo, s5
	v_add_co_u32 v2, vcc_lo, v27, v48
	v_add_co_ci_u32_e32 v3, vcc_lo, 0, v28, vcc_lo
	s_branch .LBB6_900
	.p2align	6
.LBB6_897:                              ;   in Loop: Header=BB6_900 Depth=2
	s_or_b32 exec_lo, exec_lo, s5
	v_readfirstlane_b32 s5, v4
	s_cmp_eq_u32 s5, 0
	s_cbranch_scc1 .LBB6_899
; %bb.898:                              ;   in Loop: Header=BB6_900 Depth=2
	s_sleep 1
	s_cbranch_execnz .LBB6_900
	s_branch .LBB6_902
	.p2align	6
.LBB6_899:                              ;   in Loop: Header=BB6_831 Depth=1
	s_branch .LBB6_902
.LBB6_900:                              ;   Parent Loop BB6_831 Depth=1
                                        ; =>  This Inner Loop Header: Depth=2
	v_mov_b32_e32 v4, 1
	s_and_saveexec_b32 s5, s4
	s_cbranch_execz .LBB6_897
; %bb.901:                              ;   in Loop: Header=BB6_900 Depth=2
	global_load_dword v4, v[29:30], off offset:20 glc dlc
	s_waitcnt vmcnt(0)
	buffer_gl1_inv
	buffer_gl0_inv
	v_and_b32_e32 v4, 1, v4
	s_branch .LBB6_897
.LBB6_902:                              ;   in Loop: Header=BB6_831 Depth=1
	global_load_dwordx4 v[2:5], v[2:3], off
	s_and_saveexec_b32 s5, s4
	s_cbranch_execz .LBB6_830
; %bb.903:                              ;   in Loop: Header=BB6_831 Depth=1
	s_clause 0x2
	global_load_dwordx2 v[4:5], v6, s[26:27] offset:40
	global_load_dwordx2 v[13:14], v6, s[26:27] offset:24 glc dlc
	global_load_dwordx2 v[11:12], v6, s[26:27]
	s_waitcnt vmcnt(2)
	v_add_co_u32 v15, vcc_lo, v4, 1
	v_add_co_ci_u32_e32 v16, vcc_lo, 0, v5, vcc_lo
	v_add_co_u32 v9, vcc_lo, v15, s18
	v_add_co_ci_u32_e32 v10, vcc_lo, s19, v16, vcc_lo
	v_cmp_eq_u64_e32 vcc_lo, 0, v[9:10]
	v_cndmask_b32_e32 v10, v10, v16, vcc_lo
	v_cndmask_b32_e32 v9, v9, v15, vcc_lo
	v_and_b32_e32 v5, v10, v5
	v_and_b32_e32 v4, v9, v4
	v_mul_lo_u32 v5, v5, 24
	v_mul_hi_u32 v15, v4, 24
	v_mul_lo_u32 v4, v4, 24
	v_add_nc_u32_e32 v5, v15, v5
	s_waitcnt vmcnt(0)
	v_add_co_u32 v4, vcc_lo, v11, v4
	v_mov_b32_e32 v11, v13
	v_add_co_ci_u32_e32 v5, vcc_lo, v12, v5, vcc_lo
	v_mov_b32_e32 v12, v14
	global_store_dwordx2 v[4:5], v[13:14], off
	s_waitcnt_vscnt null, 0x0
	global_atomic_cmpswap_x2 v[11:12], v6, v[9:12], s[26:27] offset:24 glc
	s_waitcnt vmcnt(0)
	v_cmp_ne_u64_e32 vcc_lo, v[11:12], v[13:14]
	s_and_b32 exec_lo, exec_lo, vcc_lo
	s_cbranch_execz .LBB6_830
; %bb.904:                              ;   in Loop: Header=BB6_831 Depth=1
	s_mov_b32 s4, 0
.LBB6_905:                              ;   Parent Loop BB6_831 Depth=1
                                        ; =>  This Inner Loop Header: Depth=2
	s_sleep 1
	global_store_dwordx2 v[4:5], v[11:12], off
	s_waitcnt_vscnt null, 0x0
	global_atomic_cmpswap_x2 v[13:14], v6, v[9:12], s[26:27] offset:24 glc
	s_waitcnt vmcnt(0)
	v_cmp_eq_u64_e32 vcc_lo, v[13:14], v[11:12]
	v_mov_b32_e32 v11, v13
	v_mov_b32_e32 v12, v14
	s_or_b32 s4, vcc_lo, s4
	s_andn2_b32 exec_lo, exec_lo, s4
	s_cbranch_execnz .LBB6_905
	s_branch .LBB6_830
.LBB6_906:
	s_branch .LBB6_935
.LBB6_907:
                                        ; implicit-def: $vgpr2_vgpr3
	s_cbranch_execz .LBB6_935
; %bb.908:
	v_readfirstlane_b32 s4, v49
	v_mov_b32_e32 v8, 0
	v_mov_b32_e32 v9, 0
	v_cmp_eq_u32_e64 s4, s4, v49
	s_and_saveexec_b32 s5, s4
	s_cbranch_execz .LBB6_914
; %bb.909:
	s_waitcnt vmcnt(0)
	v_mov_b32_e32 v2, 0
	s_mov_b32 s6, exec_lo
	global_load_dwordx2 v[5:6], v2, s[26:27] offset:24 glc dlc
	s_waitcnt vmcnt(0)
	buffer_gl1_inv
	buffer_gl0_inv
	s_clause 0x1
	global_load_dwordx2 v[3:4], v2, s[26:27] offset:40
	global_load_dwordx2 v[7:8], v2, s[26:27]
	s_waitcnt vmcnt(1)
	v_and_b32_e32 v4, v4, v6
	v_and_b32_e32 v3, v3, v5
	v_mul_lo_u32 v4, v4, 24
	v_mul_hi_u32 v9, v3, 24
	v_mul_lo_u32 v3, v3, 24
	v_add_nc_u32_e32 v4, v9, v4
	s_waitcnt vmcnt(0)
	v_add_co_u32 v3, vcc_lo, v7, v3
	v_add_co_ci_u32_e32 v4, vcc_lo, v8, v4, vcc_lo
	global_load_dwordx2 v[3:4], v[3:4], off glc dlc
	s_waitcnt vmcnt(0)
	global_atomic_cmpswap_x2 v[8:9], v2, v[3:6], s[26:27] offset:24 glc
	s_waitcnt vmcnt(0)
	buffer_gl1_inv
	buffer_gl0_inv
	v_cmpx_ne_u64_e64 v[8:9], v[5:6]
	s_cbranch_execz .LBB6_913
; %bb.910:
	s_mov_b32 s7, 0
	.p2align	6
.LBB6_911:                              ; =>This Inner Loop Header: Depth=1
	s_sleep 1
	s_clause 0x1
	global_load_dwordx2 v[3:4], v2, s[26:27] offset:40
	global_load_dwordx2 v[10:11], v2, s[26:27]
	v_mov_b32_e32 v5, v8
	v_mov_b32_e32 v6, v9
	s_waitcnt vmcnt(1)
	v_and_b32_e32 v3, v3, v5
	v_and_b32_e32 v4, v4, v6
	s_waitcnt vmcnt(0)
	v_mad_u64_u32 v[7:8], null, v3, 24, v[10:11]
	v_mov_b32_e32 v3, v8
	v_mad_u64_u32 v[3:4], null, v4, 24, v[3:4]
	v_mov_b32_e32 v8, v3
	global_load_dwordx2 v[3:4], v[7:8], off glc dlc
	s_waitcnt vmcnt(0)
	global_atomic_cmpswap_x2 v[8:9], v2, v[3:6], s[26:27] offset:24 glc
	s_waitcnt vmcnt(0)
	buffer_gl1_inv
	buffer_gl0_inv
	v_cmp_eq_u64_e32 vcc_lo, v[8:9], v[5:6]
	s_or_b32 s7, vcc_lo, s7
	s_andn2_b32 exec_lo, exec_lo, s7
	s_cbranch_execnz .LBB6_911
; %bb.912:
	s_or_b32 exec_lo, exec_lo, s7
.LBB6_913:
	s_or_b32 exec_lo, exec_lo, s6
.LBB6_914:
	s_or_b32 exec_lo, exec_lo, s5
	s_waitcnt vmcnt(0)
	v_mov_b32_e32 v2, 0
	v_readfirstlane_b32 s6, v8
	v_readfirstlane_b32 s7, v9
	s_mov_b32 s5, exec_lo
	s_clause 0x1
	global_load_dwordx2 v[10:11], v2, s[26:27] offset:40
	global_load_dwordx4 v[4:7], v2, s[26:27]
	s_waitcnt vmcnt(1)
	v_readfirstlane_b32 s10, v10
	v_readfirstlane_b32 s11, v11
	s_and_b64 s[10:11], s[6:7], s[10:11]
	s_mul_i32 s16, s11, 24
	s_mul_hi_u32 s17, s10, 24
	s_mul_i32 s18, s10, 24
	s_add_i32 s17, s17, s16
	s_waitcnt vmcnt(0)
	v_add_co_u32 v8, vcc_lo, v4, s18
	v_add_co_ci_u32_e32 v9, vcc_lo, s17, v5, vcc_lo
	s_and_saveexec_b32 s16, s4
	s_cbranch_execz .LBB6_916
; %bb.915:
	v_mov_b32_e32 v10, s5
	v_mov_b32_e32 v11, v2
	;; [unrolled: 1-line block ×4, first 2 shown]
	global_store_dwordx4 v[8:9], v[10:13], off offset:8
.LBB6_916:
	s_or_b32 exec_lo, exec_lo, s16
	s_lshl_b64 s[10:11], s[10:11], 12
	s_mov_b32 s16, 0
	v_add_co_u32 v6, vcc_lo, v6, s10
	v_add_co_ci_u32_e32 v7, vcc_lo, s11, v7, vcc_lo
	s_mov_b32 s17, s16
	v_readfirstlane_b32 s10, v6
	v_add_co_u32 v6, vcc_lo, v6, v48
	s_mov_b32 s18, s16
	s_mov_b32 s19, s16
	v_and_or_b32 v0, 0xffffff1f, v0, 32
	v_mov_b32_e32 v3, v2
	v_readfirstlane_b32 s11, v7
	v_mov_b32_e32 v10, s16
	v_add_co_ci_u32_e32 v7, vcc_lo, 0, v7, vcc_lo
	v_mov_b32_e32 v11, s17
	v_mov_b32_e32 v12, s18
	;; [unrolled: 1-line block ×3, first 2 shown]
	global_store_dwordx4 v48, v[0:3], s[10:11]
	global_store_dwordx4 v48, v[10:13], s[10:11] offset:16
	global_store_dwordx4 v48, v[10:13], s[10:11] offset:32
	;; [unrolled: 1-line block ×3, first 2 shown]
	s_and_saveexec_b32 s5, s4
	s_cbranch_execz .LBB6_924
; %bb.917:
	v_mov_b32_e32 v10, 0
	v_mov_b32_e32 v11, s6
	;; [unrolled: 1-line block ×3, first 2 shown]
	s_clause 0x1
	global_load_dwordx2 v[13:14], v10, s[26:27] offset:32 glc dlc
	global_load_dwordx2 v[0:1], v10, s[26:27] offset:40
	s_waitcnt vmcnt(0)
	v_readfirstlane_b32 s10, v0
	v_readfirstlane_b32 s11, v1
	s_and_b64 s[10:11], s[10:11], s[6:7]
	s_mul_i32 s11, s11, 24
	s_mul_hi_u32 s16, s10, 24
	s_mul_i32 s10, s10, 24
	s_add_i32 s16, s16, s11
	v_add_co_u32 v4, vcc_lo, v4, s10
	v_add_co_ci_u32_e32 v5, vcc_lo, s16, v5, vcc_lo
	s_mov_b32 s10, exec_lo
	global_store_dwordx2 v[4:5], v[13:14], off
	s_waitcnt_vscnt null, 0x0
	global_atomic_cmpswap_x2 v[2:3], v10, v[11:14], s[26:27] offset:32 glc
	s_waitcnt vmcnt(0)
	v_cmpx_ne_u64_e64 v[2:3], v[13:14]
	s_cbranch_execz .LBB6_920
; %bb.918:
	s_mov_b32 s11, 0
.LBB6_919:                              ; =>This Inner Loop Header: Depth=1
	v_mov_b32_e32 v0, s6
	v_mov_b32_e32 v1, s7
	s_sleep 1
	global_store_dwordx2 v[4:5], v[2:3], off
	s_waitcnt_vscnt null, 0x0
	global_atomic_cmpswap_x2 v[0:1], v10, v[0:3], s[26:27] offset:32 glc
	s_waitcnt vmcnt(0)
	v_cmp_eq_u64_e32 vcc_lo, v[0:1], v[2:3]
	v_mov_b32_e32 v3, v1
	v_mov_b32_e32 v2, v0
	s_or_b32 s11, vcc_lo, s11
	s_andn2_b32 exec_lo, exec_lo, s11
	s_cbranch_execnz .LBB6_919
.LBB6_920:
	s_or_b32 exec_lo, exec_lo, s10
	v_mov_b32_e32 v3, 0
	s_mov_b32 s11, exec_lo
	s_mov_b32 s10, exec_lo
	v_mbcnt_lo_u32_b32 v2, s11, 0
	global_load_dwordx2 v[0:1], v3, s[26:27] offset:16
	v_cmpx_eq_u32_e32 0, v2
	s_cbranch_execz .LBB6_922
; %bb.921:
	s_bcnt1_i32_b32 s11, s11
	v_mov_b32_e32 v2, s11
	s_waitcnt vmcnt(0)
	global_atomic_add_x2 v[0:1], v[2:3], off offset:8
.LBB6_922:
	s_or_b32 exec_lo, exec_lo, s10
	s_waitcnt vmcnt(0)
	global_load_dwordx2 v[2:3], v[0:1], off offset:16
	s_waitcnt vmcnt(0)
	v_cmp_eq_u64_e32 vcc_lo, 0, v[2:3]
	s_cbranch_vccnz .LBB6_924
; %bb.923:
	global_load_dword v0, v[0:1], off offset:24
	v_mov_b32_e32 v1, 0
	s_waitcnt vmcnt(0)
	v_and_b32_e32 v4, 0x7fffff, v0
	s_waitcnt_vscnt null, 0x0
	global_store_dwordx2 v[2:3], v[0:1], off
	v_readfirstlane_b32 m0, v4
	s_sendmsg sendmsg(MSG_INTERRUPT)
.LBB6_924:
	s_or_b32 exec_lo, exec_lo, s5
	s_branch .LBB6_928
	.p2align	6
.LBB6_925:                              ;   in Loop: Header=BB6_928 Depth=1
	s_or_b32 exec_lo, exec_lo, s5
	v_readfirstlane_b32 s5, v0
	s_cmp_eq_u32 s5, 0
	s_cbranch_scc1 .LBB6_927
; %bb.926:                              ;   in Loop: Header=BB6_928 Depth=1
	s_sleep 1
	s_cbranch_execnz .LBB6_928
	s_branch .LBB6_930
	.p2align	6
.LBB6_927:
	s_branch .LBB6_930
.LBB6_928:                              ; =>This Inner Loop Header: Depth=1
	v_mov_b32_e32 v0, 1
	s_and_saveexec_b32 s5, s4
	s_cbranch_execz .LBB6_925
; %bb.929:                              ;   in Loop: Header=BB6_928 Depth=1
	global_load_dword v0, v[8:9], off offset:20 glc dlc
	s_waitcnt vmcnt(0)
	buffer_gl1_inv
	buffer_gl0_inv
	v_and_b32_e32 v0, 1, v0
	s_branch .LBB6_925
.LBB6_930:
	global_load_dwordx2 v[2:3], v[6:7], off
	s_and_saveexec_b32 s5, s4
	s_cbranch_execz .LBB6_934
; %bb.931:
	v_mov_b32_e32 v8, 0
	s_clause 0x2
	global_load_dwordx2 v[0:1], v8, s[26:27] offset:40
	global_load_dwordx2 v[9:10], v8, s[26:27] offset:24 glc dlc
	global_load_dwordx2 v[6:7], v8, s[26:27]
	s_waitcnt vmcnt(2)
	v_add_co_u32 v11, vcc_lo, v0, 1
	v_add_co_ci_u32_e32 v12, vcc_lo, 0, v1, vcc_lo
	v_add_co_u32 v4, vcc_lo, v11, s6
	v_add_co_ci_u32_e32 v5, vcc_lo, s7, v12, vcc_lo
	v_cmp_eq_u64_e32 vcc_lo, 0, v[4:5]
	v_cndmask_b32_e32 v5, v5, v12, vcc_lo
	v_cndmask_b32_e32 v4, v4, v11, vcc_lo
	v_and_b32_e32 v1, v5, v1
	v_and_b32_e32 v0, v4, v0
	v_mul_lo_u32 v1, v1, 24
	v_mul_hi_u32 v11, v0, 24
	v_mul_lo_u32 v0, v0, 24
	v_add_nc_u32_e32 v1, v11, v1
	s_waitcnt vmcnt(0)
	v_add_co_u32 v0, vcc_lo, v6, v0
	v_mov_b32_e32 v6, v9
	v_add_co_ci_u32_e32 v1, vcc_lo, v7, v1, vcc_lo
	v_mov_b32_e32 v7, v10
	global_store_dwordx2 v[0:1], v[9:10], off
	s_waitcnt_vscnt null, 0x0
	global_atomic_cmpswap_x2 v[6:7], v8, v[4:7], s[26:27] offset:24 glc
	s_waitcnt vmcnt(0)
	v_cmp_ne_u64_e32 vcc_lo, v[6:7], v[9:10]
	s_and_b32 exec_lo, exec_lo, vcc_lo
	s_cbranch_execz .LBB6_934
; %bb.932:
	s_mov_b32 s4, 0
.LBB6_933:                              ; =>This Inner Loop Header: Depth=1
	s_sleep 1
	global_store_dwordx2 v[0:1], v[6:7], off
	s_waitcnt_vscnt null, 0x0
	global_atomic_cmpswap_x2 v[9:10], v8, v[4:7], s[26:27] offset:24 glc
	s_waitcnt vmcnt(0)
	v_cmp_eq_u64_e32 vcc_lo, v[9:10], v[6:7]
	v_mov_b32_e32 v6, v9
	v_mov_b32_e32 v7, v10
	s_or_b32 s4, vcc_lo, s4
	s_andn2_b32 exec_lo, exec_lo, s4
	s_cbranch_execnz .LBB6_933
.LBB6_934:
	s_or_b32 exec_lo, exec_lo, s5
.LBB6_935:
	v_readfirstlane_b32 s4, v49
	s_waitcnt vmcnt(0)
	v_mov_b32_e32 v0, 0
	v_mov_b32_e32 v1, 0
	v_cmp_eq_u32_e64 s4, s4, v49
	s_and_saveexec_b32 s5, s4
	s_cbranch_execz .LBB6_941
; %bb.936:
	v_mov_b32_e32 v4, 0
	s_mov_b32 s6, exec_lo
	global_load_dwordx2 v[7:8], v4, s[26:27] offset:24 glc dlc
	s_waitcnt vmcnt(0)
	buffer_gl1_inv
	buffer_gl0_inv
	s_clause 0x1
	global_load_dwordx2 v[0:1], v4, s[26:27] offset:40
	global_load_dwordx2 v[5:6], v4, s[26:27]
	s_waitcnt vmcnt(1)
	v_and_b32_e32 v1, v1, v8
	v_and_b32_e32 v0, v0, v7
	v_mul_lo_u32 v1, v1, 24
	v_mul_hi_u32 v9, v0, 24
	v_mul_lo_u32 v0, v0, 24
	v_add_nc_u32_e32 v1, v9, v1
	s_waitcnt vmcnt(0)
	v_add_co_u32 v0, vcc_lo, v5, v0
	v_add_co_ci_u32_e32 v1, vcc_lo, v6, v1, vcc_lo
	global_load_dwordx2 v[5:6], v[0:1], off glc dlc
	s_waitcnt vmcnt(0)
	global_atomic_cmpswap_x2 v[0:1], v4, v[5:8], s[26:27] offset:24 glc
	s_waitcnt vmcnt(0)
	buffer_gl1_inv
	buffer_gl0_inv
	v_cmpx_ne_u64_e64 v[0:1], v[7:8]
	s_cbranch_execz .LBB6_940
; %bb.937:
	s_mov_b32 s7, 0
	.p2align	6
.LBB6_938:                              ; =>This Inner Loop Header: Depth=1
	s_sleep 1
	s_clause 0x1
	global_load_dwordx2 v[5:6], v4, s[26:27] offset:40
	global_load_dwordx2 v[9:10], v4, s[26:27]
	v_mov_b32_e32 v8, v1
	v_mov_b32_e32 v7, v0
	s_waitcnt vmcnt(1)
	v_and_b32_e32 v0, v5, v7
	v_and_b32_e32 v5, v6, v8
	s_waitcnt vmcnt(0)
	v_mad_u64_u32 v[0:1], null, v0, 24, v[9:10]
	v_mad_u64_u32 v[5:6], null, v5, 24, v[1:2]
	v_mov_b32_e32 v1, v5
	global_load_dwordx2 v[5:6], v[0:1], off glc dlc
	s_waitcnt vmcnt(0)
	global_atomic_cmpswap_x2 v[0:1], v4, v[5:8], s[26:27] offset:24 glc
	s_waitcnt vmcnt(0)
	buffer_gl1_inv
	buffer_gl0_inv
	v_cmp_eq_u64_e32 vcc_lo, v[0:1], v[7:8]
	s_or_b32 s7, vcc_lo, s7
	s_andn2_b32 exec_lo, exec_lo, s7
	s_cbranch_execnz .LBB6_938
; %bb.939:
	s_or_b32 exec_lo, exec_lo, s7
.LBB6_940:
	s_or_b32 exec_lo, exec_lo, s6
.LBB6_941:
	s_or_b32 exec_lo, exec_lo, s5
	v_mov_b32_e32 v5, 0
	v_readfirstlane_b32 s6, v0
	v_readfirstlane_b32 s7, v1
	s_mov_b32 s5, exec_lo
	s_clause 0x1
	global_load_dwordx2 v[10:11], v5, s[26:27] offset:40
	global_load_dwordx4 v[6:9], v5, s[26:27]
	s_waitcnt vmcnt(1)
	v_readfirstlane_b32 s10, v10
	v_readfirstlane_b32 s11, v11
	s_and_b64 s[10:11], s[6:7], s[10:11]
	s_mul_i32 s16, s11, 24
	s_mul_hi_u32 s17, s10, 24
	s_mul_i32 s18, s10, 24
	s_add_i32 s17, s17, s16
	s_waitcnt vmcnt(0)
	v_add_co_u32 v10, vcc_lo, v6, s18
	v_add_co_ci_u32_e32 v11, vcc_lo, s17, v7, vcc_lo
	s_and_saveexec_b32 s16, s4
	s_cbranch_execz .LBB6_943
; %bb.942:
	v_mov_b32_e32 v4, s5
	v_mov_b32_e32 v13, v5
	;; [unrolled: 1-line block ×5, first 2 shown]
	global_store_dwordx4 v[10:11], v[12:15], off offset:8
.LBB6_943:
	s_or_b32 exec_lo, exec_lo, s16
	s_lshl_b64 s[10:11], s[10:11], 12
	s_mov_b32 s16, 0
	v_add_co_u32 v0, vcc_lo, v8, s10
	v_add_co_ci_u32_e32 v1, vcc_lo, s11, v9, vcc_lo
	s_mov_b32 s17, s16
	s_mov_b32 s18, s16
	;; [unrolled: 1-line block ×3, first 2 shown]
	v_and_or_b32 v2, 0xffffff1d, v2, 34
	v_mov_b32_e32 v4, 0x324
	v_readfirstlane_b32 s10, v0
	v_readfirstlane_b32 s11, v1
	v_mov_b32_e32 v12, s16
	v_mov_b32_e32 v13, s17
	;; [unrolled: 1-line block ×4, first 2 shown]
	global_store_dwordx4 v48, v[2:5], s[10:11]
	global_store_dwordx4 v48, v[12:15], s[10:11] offset:16
	global_store_dwordx4 v48, v[12:15], s[10:11] offset:32
	;; [unrolled: 1-line block ×3, first 2 shown]
	s_and_saveexec_b32 s5, s4
	s_cbranch_execz .LBB6_951
; %bb.944:
	v_mov_b32_e32 v8, 0
	v_mov_b32_e32 v12, s6
	;; [unrolled: 1-line block ×3, first 2 shown]
	s_clause 0x1
	global_load_dwordx2 v[14:15], v8, s[26:27] offset:32 glc dlc
	global_load_dwordx2 v[0:1], v8, s[26:27] offset:40
	s_waitcnt vmcnt(0)
	v_readfirstlane_b32 s10, v0
	v_readfirstlane_b32 s11, v1
	s_and_b64 s[10:11], s[10:11], s[6:7]
	s_mul_i32 s11, s11, 24
	s_mul_hi_u32 s16, s10, 24
	s_mul_i32 s10, s10, 24
	s_add_i32 s16, s16, s11
	v_add_co_u32 v4, vcc_lo, v6, s10
	v_add_co_ci_u32_e32 v5, vcc_lo, s16, v7, vcc_lo
	s_mov_b32 s10, exec_lo
	global_store_dwordx2 v[4:5], v[14:15], off
	s_waitcnt_vscnt null, 0x0
	global_atomic_cmpswap_x2 v[2:3], v8, v[12:15], s[26:27] offset:32 glc
	s_waitcnt vmcnt(0)
	v_cmpx_ne_u64_e64 v[2:3], v[14:15]
	s_cbranch_execz .LBB6_947
; %bb.945:
	s_mov_b32 s11, 0
.LBB6_946:                              ; =>This Inner Loop Header: Depth=1
	v_mov_b32_e32 v0, s6
	v_mov_b32_e32 v1, s7
	s_sleep 1
	global_store_dwordx2 v[4:5], v[2:3], off
	s_waitcnt_vscnt null, 0x0
	global_atomic_cmpswap_x2 v[0:1], v8, v[0:3], s[26:27] offset:32 glc
	s_waitcnt vmcnt(0)
	v_cmp_eq_u64_e32 vcc_lo, v[0:1], v[2:3]
	v_mov_b32_e32 v3, v1
	v_mov_b32_e32 v2, v0
	s_or_b32 s11, vcc_lo, s11
	s_andn2_b32 exec_lo, exec_lo, s11
	s_cbranch_execnz .LBB6_946
.LBB6_947:
	s_or_b32 exec_lo, exec_lo, s10
	v_mov_b32_e32 v3, 0
	s_mov_b32 s11, exec_lo
	s_mov_b32 s10, exec_lo
	v_mbcnt_lo_u32_b32 v2, s11, 0
	global_load_dwordx2 v[0:1], v3, s[26:27] offset:16
	v_cmpx_eq_u32_e32 0, v2
	s_cbranch_execz .LBB6_949
; %bb.948:
	s_bcnt1_i32_b32 s11, s11
	v_mov_b32_e32 v2, s11
	s_waitcnt vmcnt(0)
	global_atomic_add_x2 v[0:1], v[2:3], off offset:8
.LBB6_949:
	s_or_b32 exec_lo, exec_lo, s10
	s_waitcnt vmcnt(0)
	global_load_dwordx2 v[2:3], v[0:1], off offset:16
	s_waitcnt vmcnt(0)
	v_cmp_eq_u64_e32 vcc_lo, 0, v[2:3]
	s_cbranch_vccnz .LBB6_951
; %bb.950:
	global_load_dword v0, v[0:1], off offset:24
	v_mov_b32_e32 v1, 0
	s_waitcnt vmcnt(0)
	v_and_b32_e32 v4, 0x7fffff, v0
	s_waitcnt_vscnt null, 0x0
	global_store_dwordx2 v[2:3], v[0:1], off
	v_readfirstlane_b32 m0, v4
	s_sendmsg sendmsg(MSG_INTERRUPT)
.LBB6_951:
	s_or_b32 exec_lo, exec_lo, s5
	s_branch .LBB6_955
	.p2align	6
.LBB6_952:                              ;   in Loop: Header=BB6_955 Depth=1
	s_or_b32 exec_lo, exec_lo, s5
	v_readfirstlane_b32 s5, v0
	s_cmp_eq_u32 s5, 0
	s_cbranch_scc1 .LBB6_954
; %bb.953:                              ;   in Loop: Header=BB6_955 Depth=1
	s_sleep 1
	s_cbranch_execnz .LBB6_955
	s_branch .LBB6_957
	.p2align	6
.LBB6_954:
	s_branch .LBB6_957
.LBB6_955:                              ; =>This Inner Loop Header: Depth=1
	v_mov_b32_e32 v0, 1
	s_and_saveexec_b32 s5, s4
	s_cbranch_execz .LBB6_952
; %bb.956:                              ;   in Loop: Header=BB6_955 Depth=1
	global_load_dword v0, v[10:11], off offset:20 glc dlc
	s_waitcnt vmcnt(0)
	buffer_gl1_inv
	buffer_gl0_inv
	v_and_b32_e32 v0, 1, v0
	s_branch .LBB6_952
.LBB6_957:
	s_and_saveexec_b32 s5, s4
	s_cbranch_execz .LBB6_961
; %bb.958:
	v_mov_b32_e32 v6, 0
	s_clause 0x2
	global_load_dwordx2 v[2:3], v6, s[26:27] offset:40
	global_load_dwordx2 v[7:8], v6, s[26:27] offset:24 glc dlc
	global_load_dwordx2 v[4:5], v6, s[26:27]
	s_waitcnt vmcnt(2)
	v_add_co_u32 v9, vcc_lo, v2, 1
	v_add_co_ci_u32_e32 v10, vcc_lo, 0, v3, vcc_lo
	v_add_co_u32 v0, vcc_lo, v9, s6
	v_add_co_ci_u32_e32 v1, vcc_lo, s7, v10, vcc_lo
	v_cmp_eq_u64_e32 vcc_lo, 0, v[0:1]
	v_cndmask_b32_e32 v1, v1, v10, vcc_lo
	v_cndmask_b32_e32 v0, v0, v9, vcc_lo
	v_and_b32_e32 v3, v1, v3
	v_and_b32_e32 v2, v0, v2
	v_mul_lo_u32 v3, v3, 24
	v_mul_hi_u32 v9, v2, 24
	v_mul_lo_u32 v2, v2, 24
	v_add_nc_u32_e32 v3, v9, v3
	s_waitcnt vmcnt(0)
	v_add_co_u32 v4, vcc_lo, v4, v2
	v_mov_b32_e32 v2, v7
	v_add_co_ci_u32_e32 v5, vcc_lo, v5, v3, vcc_lo
	v_mov_b32_e32 v3, v8
	global_store_dwordx2 v[4:5], v[7:8], off
	s_waitcnt_vscnt null, 0x0
	global_atomic_cmpswap_x2 v[2:3], v6, v[0:3], s[26:27] offset:24 glc
	s_waitcnt vmcnt(0)
	v_cmp_ne_u64_e32 vcc_lo, v[2:3], v[7:8]
	s_and_b32 exec_lo, exec_lo, vcc_lo
	s_cbranch_execz .LBB6_961
; %bb.959:
	s_mov_b32 s4, 0
.LBB6_960:                              ; =>This Inner Loop Header: Depth=1
	s_sleep 1
	global_store_dwordx2 v[4:5], v[2:3], off
	s_waitcnt_vscnt null, 0x0
	global_atomic_cmpswap_x2 v[7:8], v6, v[0:3], s[26:27] offset:24 glc
	s_waitcnt vmcnt(0)
	v_cmp_eq_u64_e32 vcc_lo, v[7:8], v[2:3]
	v_mov_b32_e32 v2, v7
	v_mov_b32_e32 v3, v8
	s_or_b32 s4, vcc_lo, s4
	s_andn2_b32 exec_lo, exec_lo, s4
	s_cbranch_execnz .LBB6_960
.LBB6_961:
	s_or_b32 exec_lo, exec_lo, s5
	v_readfirstlane_b32 s4, v49
	v_mov_b32_e32 v6, 0
	v_mov_b32_e32 v7, 0
	v_cmp_eq_u32_e64 s4, s4, v49
	s_and_saveexec_b32 s5, s4
	s_cbranch_execz .LBB6_967
; %bb.962:
	v_mov_b32_e32 v0, 0
	s_mov_b32 s6, exec_lo
	global_load_dwordx2 v[3:4], v0, s[26:27] offset:24 glc dlc
	s_waitcnt vmcnt(0)
	buffer_gl1_inv
	buffer_gl0_inv
	s_clause 0x1
	global_load_dwordx2 v[1:2], v0, s[26:27] offset:40
	global_load_dwordx2 v[5:6], v0, s[26:27]
	s_waitcnt vmcnt(1)
	v_and_b32_e32 v2, v2, v4
	v_and_b32_e32 v1, v1, v3
	v_mul_lo_u32 v2, v2, 24
	v_mul_hi_u32 v7, v1, 24
	v_mul_lo_u32 v1, v1, 24
	v_add_nc_u32_e32 v2, v7, v2
	s_waitcnt vmcnt(0)
	v_add_co_u32 v1, vcc_lo, v5, v1
	v_add_co_ci_u32_e32 v2, vcc_lo, v6, v2, vcc_lo
	global_load_dwordx2 v[1:2], v[1:2], off glc dlc
	s_waitcnt vmcnt(0)
	global_atomic_cmpswap_x2 v[6:7], v0, v[1:4], s[26:27] offset:24 glc
	s_waitcnt vmcnt(0)
	buffer_gl1_inv
	buffer_gl0_inv
	v_cmpx_ne_u64_e64 v[6:7], v[3:4]
	s_cbranch_execz .LBB6_966
; %bb.963:
	s_mov_b32 s7, 0
	.p2align	6
.LBB6_964:                              ; =>This Inner Loop Header: Depth=1
	s_sleep 1
	s_clause 0x1
	global_load_dwordx2 v[1:2], v0, s[26:27] offset:40
	global_load_dwordx2 v[8:9], v0, s[26:27]
	v_mov_b32_e32 v3, v6
	v_mov_b32_e32 v4, v7
	s_waitcnt vmcnt(1)
	v_and_b32_e32 v1, v1, v3
	v_and_b32_e32 v2, v2, v4
	s_waitcnt vmcnt(0)
	v_mad_u64_u32 v[5:6], null, v1, 24, v[8:9]
	v_mov_b32_e32 v1, v6
	v_mad_u64_u32 v[1:2], null, v2, 24, v[1:2]
	v_mov_b32_e32 v6, v1
	global_load_dwordx2 v[1:2], v[5:6], off glc dlc
	s_waitcnt vmcnt(0)
	global_atomic_cmpswap_x2 v[6:7], v0, v[1:4], s[26:27] offset:24 glc
	s_waitcnt vmcnt(0)
	buffer_gl1_inv
	buffer_gl0_inv
	v_cmp_eq_u64_e32 vcc_lo, v[6:7], v[3:4]
	s_or_b32 s7, vcc_lo, s7
	s_andn2_b32 exec_lo, exec_lo, s7
	s_cbranch_execnz .LBB6_964
; %bb.965:
	s_or_b32 exec_lo, exec_lo, s7
.LBB6_966:
	s_or_b32 exec_lo, exec_lo, s6
.LBB6_967:
	s_or_b32 exec_lo, exec_lo, s5
	v_mov_b32_e32 v5, 0
	v_readfirstlane_b32 s6, v6
	v_readfirstlane_b32 s7, v7
	s_mov_b32 s5, exec_lo
	s_clause 0x1
	global_load_dwordx2 v[8:9], v5, s[26:27] offset:40
	global_load_dwordx4 v[0:3], v5, s[26:27]
	s_waitcnt vmcnt(1)
	v_readfirstlane_b32 s10, v8
	v_readfirstlane_b32 s11, v9
	s_and_b64 s[10:11], s[6:7], s[10:11]
	s_mul_i32 s16, s11, 24
	s_mul_hi_u32 s17, s10, 24
	s_mul_i32 s18, s10, 24
	s_add_i32 s17, s17, s16
	s_waitcnt vmcnt(0)
	v_add_co_u32 v8, vcc_lo, v0, s18
	v_add_co_ci_u32_e32 v9, vcc_lo, s17, v1, vcc_lo
	s_and_saveexec_b32 s16, s4
	s_cbranch_execz .LBB6_969
; %bb.968:
	v_mov_b32_e32 v4, s5
	v_mov_b32_e32 v6, 2
	;; [unrolled: 1-line block ×3, first 2 shown]
	global_store_dwordx4 v[8:9], v[4:7], off offset:8
.LBB6_969:
	s_or_b32 exec_lo, exec_lo, s16
	s_lshl_b64 s[10:11], s[10:11], 12
	s_mov_b32 s16, 0
	v_add_co_u32 v2, vcc_lo, v2, s10
	v_add_co_ci_u32_e32 v3, vcc_lo, s11, v3, vcc_lo
	s_mov_b32 s17, s16
	v_add_co_u32 v10, vcc_lo, v2, v48
	s_mov_b32 s18, s16
	s_mov_b32 s19, s16
	v_mov_b32_e32 v4, 33
	v_mov_b32_e32 v6, v5
	;; [unrolled: 1-line block ×3, first 2 shown]
	v_readfirstlane_b32 s10, v2
	v_readfirstlane_b32 s11, v3
	v_mov_b32_e32 v12, s16
	v_add_co_ci_u32_e32 v11, vcc_lo, 0, v3, vcc_lo
	v_mov_b32_e32 v13, s17
	v_mov_b32_e32 v14, s18
	v_mov_b32_e32 v15, s19
	global_store_dwordx4 v48, v[4:7], s[10:11]
	global_store_dwordx4 v48, v[12:15], s[10:11] offset:16
	global_store_dwordx4 v48, v[12:15], s[10:11] offset:32
	;; [unrolled: 1-line block ×3, first 2 shown]
	s_and_saveexec_b32 s5, s4
	s_cbranch_execz .LBB6_977
; %bb.970:
	v_mov_b32_e32 v6, 0
	v_mov_b32_e32 v12, s6
	;; [unrolled: 1-line block ×3, first 2 shown]
	s_clause 0x1
	global_load_dwordx2 v[14:15], v6, s[26:27] offset:32 glc dlc
	global_load_dwordx2 v[2:3], v6, s[26:27] offset:40
	s_waitcnt vmcnt(0)
	v_readfirstlane_b32 s10, v2
	v_readfirstlane_b32 s11, v3
	s_and_b64 s[10:11], s[10:11], s[6:7]
	s_mul_i32 s11, s11, 24
	s_mul_hi_u32 s16, s10, 24
	s_mul_i32 s10, s10, 24
	s_add_i32 s16, s16, s11
	v_add_co_u32 v4, vcc_lo, v0, s10
	v_add_co_ci_u32_e32 v5, vcc_lo, s16, v1, vcc_lo
	s_mov_b32 s10, exec_lo
	global_store_dwordx2 v[4:5], v[14:15], off
	s_waitcnt_vscnt null, 0x0
	global_atomic_cmpswap_x2 v[2:3], v6, v[12:15], s[26:27] offset:32 glc
	s_waitcnt vmcnt(0)
	v_cmpx_ne_u64_e64 v[2:3], v[14:15]
	s_cbranch_execz .LBB6_973
; %bb.971:
	s_mov_b32 s11, 0
.LBB6_972:                              ; =>This Inner Loop Header: Depth=1
	v_mov_b32_e32 v0, s6
	v_mov_b32_e32 v1, s7
	s_sleep 1
	global_store_dwordx2 v[4:5], v[2:3], off
	s_waitcnt_vscnt null, 0x0
	global_atomic_cmpswap_x2 v[0:1], v6, v[0:3], s[26:27] offset:32 glc
	s_waitcnt vmcnt(0)
	v_cmp_eq_u64_e32 vcc_lo, v[0:1], v[2:3]
	v_mov_b32_e32 v3, v1
	v_mov_b32_e32 v2, v0
	s_or_b32 s11, vcc_lo, s11
	s_andn2_b32 exec_lo, exec_lo, s11
	s_cbranch_execnz .LBB6_972
.LBB6_973:
	s_or_b32 exec_lo, exec_lo, s10
	v_mov_b32_e32 v3, 0
	s_mov_b32 s11, exec_lo
	s_mov_b32 s10, exec_lo
	v_mbcnt_lo_u32_b32 v2, s11, 0
	global_load_dwordx2 v[0:1], v3, s[26:27] offset:16
	v_cmpx_eq_u32_e32 0, v2
	s_cbranch_execz .LBB6_975
; %bb.974:
	s_bcnt1_i32_b32 s11, s11
	v_mov_b32_e32 v2, s11
	s_waitcnt vmcnt(0)
	global_atomic_add_x2 v[0:1], v[2:3], off offset:8
.LBB6_975:
	s_or_b32 exec_lo, exec_lo, s10
	s_waitcnt vmcnt(0)
	global_load_dwordx2 v[2:3], v[0:1], off offset:16
	s_waitcnt vmcnt(0)
	v_cmp_eq_u64_e32 vcc_lo, 0, v[2:3]
	s_cbranch_vccnz .LBB6_977
; %bb.976:
	global_load_dword v0, v[0:1], off offset:24
	v_mov_b32_e32 v1, 0
	s_waitcnt vmcnt(0)
	v_and_b32_e32 v4, 0x7fffff, v0
	s_waitcnt_vscnt null, 0x0
	global_store_dwordx2 v[2:3], v[0:1], off
	v_readfirstlane_b32 m0, v4
	s_sendmsg sendmsg(MSG_INTERRUPT)
.LBB6_977:
	s_or_b32 exec_lo, exec_lo, s5
	s_branch .LBB6_981
	.p2align	6
.LBB6_978:                              ;   in Loop: Header=BB6_981 Depth=1
	s_or_b32 exec_lo, exec_lo, s5
	v_readfirstlane_b32 s5, v0
	s_cmp_eq_u32 s5, 0
	s_cbranch_scc1 .LBB6_980
; %bb.979:                              ;   in Loop: Header=BB6_981 Depth=1
	s_sleep 1
	s_cbranch_execnz .LBB6_981
	s_branch .LBB6_983
	.p2align	6
.LBB6_980:
	s_branch .LBB6_983
.LBB6_981:                              ; =>This Inner Loop Header: Depth=1
	v_mov_b32_e32 v0, 1
	s_and_saveexec_b32 s5, s4
	s_cbranch_execz .LBB6_978
; %bb.982:                              ;   in Loop: Header=BB6_981 Depth=1
	global_load_dword v0, v[8:9], off offset:20 glc dlc
	s_waitcnt vmcnt(0)
	buffer_gl1_inv
	buffer_gl0_inv
	v_and_b32_e32 v0, 1, v0
	s_branch .LBB6_978
.LBB6_983:
	global_load_dwordx2 v[0:1], v[10:11], off
	s_and_saveexec_b32 s5, s4
	s_cbranch_execz .LBB6_987
; %bb.984:
	v_mov_b32_e32 v8, 0
	s_clause 0x2
	global_load_dwordx2 v[4:5], v8, s[26:27] offset:40
	global_load_dwordx2 v[9:10], v8, s[26:27] offset:24 glc dlc
	global_load_dwordx2 v[6:7], v8, s[26:27]
	s_waitcnt vmcnt(2)
	v_add_co_u32 v11, vcc_lo, v4, 1
	v_add_co_ci_u32_e32 v12, vcc_lo, 0, v5, vcc_lo
	v_add_co_u32 v2, vcc_lo, v11, s6
	v_add_co_ci_u32_e32 v3, vcc_lo, s7, v12, vcc_lo
	v_cmp_eq_u64_e32 vcc_lo, 0, v[2:3]
	v_cndmask_b32_e32 v3, v3, v12, vcc_lo
	v_cndmask_b32_e32 v2, v2, v11, vcc_lo
	v_and_b32_e32 v5, v3, v5
	v_and_b32_e32 v4, v2, v4
	v_mul_lo_u32 v5, v5, 24
	v_mul_hi_u32 v11, v4, 24
	v_mul_lo_u32 v4, v4, 24
	v_add_nc_u32_e32 v5, v11, v5
	s_waitcnt vmcnt(0)
	v_add_co_u32 v6, vcc_lo, v6, v4
	v_mov_b32_e32 v4, v9
	v_add_co_ci_u32_e32 v7, vcc_lo, v7, v5, vcc_lo
	v_mov_b32_e32 v5, v10
	global_store_dwordx2 v[6:7], v[9:10], off
	s_waitcnt_vscnt null, 0x0
	global_atomic_cmpswap_x2 v[4:5], v8, v[2:5], s[26:27] offset:24 glc
	s_waitcnt vmcnt(0)
	v_cmp_ne_u64_e32 vcc_lo, v[4:5], v[9:10]
	s_and_b32 exec_lo, exec_lo, vcc_lo
	s_cbranch_execz .LBB6_987
; %bb.985:
	s_mov_b32 s4, 0
.LBB6_986:                              ; =>This Inner Loop Header: Depth=1
	s_sleep 1
	global_store_dwordx2 v[6:7], v[4:5], off
	s_waitcnt_vscnt null, 0x0
	global_atomic_cmpswap_x2 v[9:10], v8, v[2:5], s[26:27] offset:24 glc
	s_waitcnt vmcnt(0)
	v_cmp_eq_u64_e32 vcc_lo, v[9:10], v[4:5]
	v_mov_b32_e32 v4, v9
	v_mov_b32_e32 v5, v10
	s_or_b32 s4, vcc_lo, s4
	s_andn2_b32 exec_lo, exec_lo, s4
	s_cbranch_execnz .LBB6_986
.LBB6_987:
	s_or_b32 exec_lo, exec_lo, s5
	s_and_b32 vcc_lo, exec_lo, s34
	s_cbranch_vccz .LBB6_1066
; %bb.988:
	s_waitcnt vmcnt(0)
	v_and_b32_e32 v31, 2, v0
	v_mov_b32_e32 v6, 0
	v_and_b32_e32 v2, -3, v0
	v_mov_b32_e32 v3, v1
	v_mov_b32_e32 v7, 2
	;; [unrolled: 1-line block ×3, first 2 shown]
	s_mov_b64 s[10:11], 3
	s_getpc_b64 s[6:7]
	s_add_u32 s6, s6, .str.6@rel32@lo+4
	s_addc_u32 s7, s7, .str.6@rel32@hi+12
	s_branch .LBB6_990
.LBB6_989:                              ;   in Loop: Header=BB6_990 Depth=1
	s_or_b32 exec_lo, exec_lo, s5
	s_sub_u32 s10, s10, s16
	s_subb_u32 s11, s11, s17
	s_add_u32 s6, s6, s16
	s_addc_u32 s7, s7, s17
	s_cmp_lg_u64 s[10:11], 0
	s_cbranch_scc0 .LBB6_1065
.LBB6_990:                              ; =>This Loop Header: Depth=1
                                        ;     Child Loop BB6_999 Depth 2
                                        ;     Child Loop BB6_995 Depth 2
	;; [unrolled: 1-line block ×11, first 2 shown]
	v_cmp_lt_u64_e64 s4, s[10:11], 56
	v_cmp_gt_u64_e64 s5, s[10:11], 7
                                        ; implicit-def: $vgpr11_vgpr12
                                        ; implicit-def: $sgpr22
	s_and_b32 s4, s4, exec_lo
	s_cselect_b32 s17, s11, 0
	s_cselect_b32 s16, s10, 56
	s_and_b32 vcc_lo, exec_lo, s5
	s_mov_b32 s4, -1
	s_cbranch_vccz .LBB6_997
; %bb.991:                              ;   in Loop: Header=BB6_990 Depth=1
	s_andn2_b32 vcc_lo, exec_lo, s4
	s_mov_b64 s[4:5], s[6:7]
	s_cbranch_vccz .LBB6_1001
.LBB6_992:                              ;   in Loop: Header=BB6_990 Depth=1
	s_cmp_gt_u32 s22, 7
	s_cbranch_scc1 .LBB6_1002
.LBB6_993:                              ;   in Loop: Header=BB6_990 Depth=1
	v_mov_b32_e32 v13, 0
	v_mov_b32_e32 v14, 0
	s_cmp_eq_u32 s22, 0
	s_cbranch_scc1 .LBB6_996
; %bb.994:                              ;   in Loop: Header=BB6_990 Depth=1
	s_mov_b64 s[18:19], 0
	s_mov_b64 s[20:21], 0
.LBB6_995:                              ;   Parent Loop BB6_990 Depth=1
                                        ; =>  This Inner Loop Header: Depth=2
	s_add_u32 s24, s4, s20
	s_addc_u32 s25, s5, s21
	s_add_u32 s20, s20, 1
	global_load_ubyte v4, v6, s[24:25]
	s_addc_u32 s21, s21, 0
	s_waitcnt vmcnt(0)
	v_and_b32_e32 v5, 0xffff, v4
	v_lshlrev_b64 v[4:5], s18, v[5:6]
	s_add_u32 s18, s18, 8
	s_addc_u32 s19, s19, 0
	s_cmp_lg_u32 s22, s20
	v_or_b32_e32 v13, v4, v13
	v_or_b32_e32 v14, v5, v14
	s_cbranch_scc1 .LBB6_995
.LBB6_996:                              ;   in Loop: Header=BB6_990 Depth=1
	s_mov_b32 s23, 0
	s_cbranch_execz .LBB6_1003
	s_branch .LBB6_1004
.LBB6_997:                              ;   in Loop: Header=BB6_990 Depth=1
	v_mov_b32_e32 v11, 0
	v_mov_b32_e32 v12, 0
	s_cmp_eq_u64 s[10:11], 0
	s_mov_b64 s[4:5], 0
	s_cbranch_scc1 .LBB6_1000
; %bb.998:                              ;   in Loop: Header=BB6_990 Depth=1
	v_mov_b32_e32 v11, 0
	v_mov_b32_e32 v12, 0
	s_lshl_b64 s[18:19], s[16:17], 3
	s_mov_b64 s[20:21], s[6:7]
.LBB6_999:                              ;   Parent Loop BB6_990 Depth=1
                                        ; =>  This Inner Loop Header: Depth=2
	global_load_ubyte v4, v6, s[20:21]
	s_waitcnt vmcnt(0)
	v_and_b32_e32 v5, 0xffff, v4
	v_lshlrev_b64 v[4:5], s4, v[5:6]
	s_add_u32 s4, s4, 8
	s_addc_u32 s5, s5, 0
	s_add_u32 s20, s20, 1
	s_addc_u32 s21, s21, 0
	s_cmp_lg_u32 s18, s4
	v_or_b32_e32 v11, v4, v11
	v_or_b32_e32 v12, v5, v12
	s_cbranch_scc1 .LBB6_999
.LBB6_1000:                             ;   in Loop: Header=BB6_990 Depth=1
	s_mov_b32 s22, 0
	s_mov_b64 s[4:5], s[6:7]
	s_cbranch_execnz .LBB6_992
.LBB6_1001:                             ;   in Loop: Header=BB6_990 Depth=1
	global_load_dwordx2 v[11:12], v6, s[6:7]
	s_add_i32 s22, s16, -8
	s_add_u32 s4, s6, 8
	s_addc_u32 s5, s7, 0
	s_cmp_gt_u32 s22, 7
	s_cbranch_scc0 .LBB6_993
.LBB6_1002:                             ;   in Loop: Header=BB6_990 Depth=1
                                        ; implicit-def: $vgpr13_vgpr14
                                        ; implicit-def: $sgpr23
.LBB6_1003:                             ;   in Loop: Header=BB6_990 Depth=1
	global_load_dwordx2 v[13:14], v6, s[4:5]
	s_add_i32 s23, s22, -8
	s_add_u32 s4, s4, 8
	s_addc_u32 s5, s5, 0
.LBB6_1004:                             ;   in Loop: Header=BB6_990 Depth=1
	s_cmp_gt_u32 s23, 7
	s_cbranch_scc1 .LBB6_1009
; %bb.1005:                             ;   in Loop: Header=BB6_990 Depth=1
	v_mov_b32_e32 v15, 0
	v_mov_b32_e32 v16, 0
	s_cmp_eq_u32 s23, 0
	s_cbranch_scc1 .LBB6_1008
; %bb.1006:                             ;   in Loop: Header=BB6_990 Depth=1
	s_mov_b64 s[18:19], 0
	s_mov_b64 s[20:21], 0
.LBB6_1007:                             ;   Parent Loop BB6_990 Depth=1
                                        ; =>  This Inner Loop Header: Depth=2
	s_add_u32 s24, s4, s20
	s_addc_u32 s25, s5, s21
	s_add_u32 s20, s20, 1
	global_load_ubyte v4, v6, s[24:25]
	s_addc_u32 s21, s21, 0
	s_waitcnt vmcnt(0)
	v_and_b32_e32 v5, 0xffff, v4
	v_lshlrev_b64 v[4:5], s18, v[5:6]
	s_add_u32 s18, s18, 8
	s_addc_u32 s19, s19, 0
	s_cmp_lg_u32 s23, s20
	v_or_b32_e32 v15, v4, v15
	v_or_b32_e32 v16, v5, v16
	s_cbranch_scc1 .LBB6_1007
.LBB6_1008:                             ;   in Loop: Header=BB6_990 Depth=1
	s_mov_b32 s22, 0
	s_cbranch_execz .LBB6_1010
	s_branch .LBB6_1011
.LBB6_1009:                             ;   in Loop: Header=BB6_990 Depth=1
                                        ; implicit-def: $sgpr22
.LBB6_1010:                             ;   in Loop: Header=BB6_990 Depth=1
	global_load_dwordx2 v[15:16], v6, s[4:5]
	s_add_i32 s22, s23, -8
	s_add_u32 s4, s4, 8
	s_addc_u32 s5, s5, 0
.LBB6_1011:                             ;   in Loop: Header=BB6_990 Depth=1
	s_cmp_gt_u32 s22, 7
	s_cbranch_scc1 .LBB6_1016
; %bb.1012:                             ;   in Loop: Header=BB6_990 Depth=1
	v_mov_b32_e32 v17, 0
	v_mov_b32_e32 v18, 0
	s_cmp_eq_u32 s22, 0
	s_cbranch_scc1 .LBB6_1015
; %bb.1013:                             ;   in Loop: Header=BB6_990 Depth=1
	s_mov_b64 s[18:19], 0
	s_mov_b64 s[20:21], 0
.LBB6_1014:                             ;   Parent Loop BB6_990 Depth=1
                                        ; =>  This Inner Loop Header: Depth=2
	s_add_u32 s24, s4, s20
	s_addc_u32 s25, s5, s21
	s_add_u32 s20, s20, 1
	global_load_ubyte v4, v6, s[24:25]
	s_addc_u32 s21, s21, 0
	s_waitcnt vmcnt(0)
	v_and_b32_e32 v5, 0xffff, v4
	v_lshlrev_b64 v[4:5], s18, v[5:6]
	s_add_u32 s18, s18, 8
	s_addc_u32 s19, s19, 0
	s_cmp_lg_u32 s22, s20
	v_or_b32_e32 v17, v4, v17
	v_or_b32_e32 v18, v5, v18
	s_cbranch_scc1 .LBB6_1014
.LBB6_1015:                             ;   in Loop: Header=BB6_990 Depth=1
	s_mov_b32 s23, 0
	s_cbranch_execz .LBB6_1017
	s_branch .LBB6_1018
.LBB6_1016:                             ;   in Loop: Header=BB6_990 Depth=1
                                        ; implicit-def: $vgpr17_vgpr18
                                        ; implicit-def: $sgpr23
.LBB6_1017:                             ;   in Loop: Header=BB6_990 Depth=1
	global_load_dwordx2 v[17:18], v6, s[4:5]
	s_add_i32 s23, s22, -8
	s_add_u32 s4, s4, 8
	s_addc_u32 s5, s5, 0
.LBB6_1018:                             ;   in Loop: Header=BB6_990 Depth=1
	s_cmp_gt_u32 s23, 7
	s_cbranch_scc1 .LBB6_1023
; %bb.1019:                             ;   in Loop: Header=BB6_990 Depth=1
	v_mov_b32_e32 v19, 0
	v_mov_b32_e32 v20, 0
	s_cmp_eq_u32 s23, 0
	s_cbranch_scc1 .LBB6_1022
; %bb.1020:                             ;   in Loop: Header=BB6_990 Depth=1
	s_mov_b64 s[18:19], 0
	s_mov_b64 s[20:21], 0
.LBB6_1021:                             ;   Parent Loop BB6_990 Depth=1
                                        ; =>  This Inner Loop Header: Depth=2
	s_add_u32 s24, s4, s20
	s_addc_u32 s25, s5, s21
	s_add_u32 s20, s20, 1
	global_load_ubyte v4, v6, s[24:25]
	s_addc_u32 s21, s21, 0
	s_waitcnt vmcnt(0)
	v_and_b32_e32 v5, 0xffff, v4
	v_lshlrev_b64 v[4:5], s18, v[5:6]
	s_add_u32 s18, s18, 8
	s_addc_u32 s19, s19, 0
	s_cmp_lg_u32 s23, s20
	v_or_b32_e32 v19, v4, v19
	v_or_b32_e32 v20, v5, v20
	s_cbranch_scc1 .LBB6_1021
.LBB6_1022:                             ;   in Loop: Header=BB6_990 Depth=1
	s_mov_b32 s22, 0
	s_cbranch_execz .LBB6_1024
	s_branch .LBB6_1025
.LBB6_1023:                             ;   in Loop: Header=BB6_990 Depth=1
                                        ; implicit-def: $sgpr22
.LBB6_1024:                             ;   in Loop: Header=BB6_990 Depth=1
	global_load_dwordx2 v[19:20], v6, s[4:5]
	s_add_i32 s22, s23, -8
	s_add_u32 s4, s4, 8
	s_addc_u32 s5, s5, 0
.LBB6_1025:                             ;   in Loop: Header=BB6_990 Depth=1
	s_cmp_gt_u32 s22, 7
	s_cbranch_scc1 .LBB6_1030
; %bb.1026:                             ;   in Loop: Header=BB6_990 Depth=1
	v_mov_b32_e32 v21, 0
	v_mov_b32_e32 v22, 0
	s_cmp_eq_u32 s22, 0
	s_cbranch_scc1 .LBB6_1029
; %bb.1027:                             ;   in Loop: Header=BB6_990 Depth=1
	s_mov_b64 s[18:19], 0
	s_mov_b64 s[20:21], 0
.LBB6_1028:                             ;   Parent Loop BB6_990 Depth=1
                                        ; =>  This Inner Loop Header: Depth=2
	s_add_u32 s24, s4, s20
	s_addc_u32 s25, s5, s21
	s_add_u32 s20, s20, 1
	global_load_ubyte v4, v6, s[24:25]
	s_addc_u32 s21, s21, 0
	s_waitcnt vmcnt(0)
	v_and_b32_e32 v5, 0xffff, v4
	v_lshlrev_b64 v[4:5], s18, v[5:6]
	s_add_u32 s18, s18, 8
	s_addc_u32 s19, s19, 0
	s_cmp_lg_u32 s22, s20
	v_or_b32_e32 v21, v4, v21
	v_or_b32_e32 v22, v5, v22
	s_cbranch_scc1 .LBB6_1028
.LBB6_1029:                             ;   in Loop: Header=BB6_990 Depth=1
	s_mov_b32 s23, 0
	s_cbranch_execz .LBB6_1031
	s_branch .LBB6_1032
.LBB6_1030:                             ;   in Loop: Header=BB6_990 Depth=1
                                        ; implicit-def: $vgpr21_vgpr22
                                        ; implicit-def: $sgpr23
.LBB6_1031:                             ;   in Loop: Header=BB6_990 Depth=1
	global_load_dwordx2 v[21:22], v6, s[4:5]
	s_add_i32 s23, s22, -8
	s_add_u32 s4, s4, 8
	s_addc_u32 s5, s5, 0
.LBB6_1032:                             ;   in Loop: Header=BB6_990 Depth=1
	s_cmp_gt_u32 s23, 7
	s_cbranch_scc1 .LBB6_1037
; %bb.1033:                             ;   in Loop: Header=BB6_990 Depth=1
	v_mov_b32_e32 v23, 0
	v_mov_b32_e32 v24, 0
	s_cmp_eq_u32 s23, 0
	s_cbranch_scc1 .LBB6_1036
; %bb.1034:                             ;   in Loop: Header=BB6_990 Depth=1
	s_mov_b64 s[18:19], 0
	s_mov_b64 s[20:21], s[4:5]
.LBB6_1035:                             ;   Parent Loop BB6_990 Depth=1
                                        ; =>  This Inner Loop Header: Depth=2
	global_load_ubyte v4, v6, s[20:21]
	s_add_i32 s23, s23, -1
	s_waitcnt vmcnt(0)
	v_and_b32_e32 v5, 0xffff, v4
	v_lshlrev_b64 v[4:5], s18, v[5:6]
	s_add_u32 s18, s18, 8
	s_addc_u32 s19, s19, 0
	s_add_u32 s20, s20, 1
	s_addc_u32 s21, s21, 0
	s_cmp_lg_u32 s23, 0
	v_or_b32_e32 v23, v4, v23
	v_or_b32_e32 v24, v5, v24
	s_cbranch_scc1 .LBB6_1035
.LBB6_1036:                             ;   in Loop: Header=BB6_990 Depth=1
	s_cbranch_execz .LBB6_1038
	s_branch .LBB6_1039
.LBB6_1037:                             ;   in Loop: Header=BB6_990 Depth=1
.LBB6_1038:                             ;   in Loop: Header=BB6_990 Depth=1
	global_load_dwordx2 v[23:24], v6, s[4:5]
.LBB6_1039:                             ;   in Loop: Header=BB6_990 Depth=1
	v_readfirstlane_b32 s4, v49
	s_waitcnt vmcnt(0)
	v_mov_b32_e32 v4, 0
	v_mov_b32_e32 v5, 0
	v_cmp_eq_u32_e64 s4, s4, v49
	s_and_saveexec_b32 s5, s4
	s_cbranch_execz .LBB6_1045
; %bb.1040:                             ;   in Loop: Header=BB6_990 Depth=1
	global_load_dwordx2 v[27:28], v6, s[26:27] offset:24 glc dlc
	s_waitcnt vmcnt(0)
	buffer_gl1_inv
	buffer_gl0_inv
	s_clause 0x1
	global_load_dwordx2 v[4:5], v6, s[26:27] offset:40
	global_load_dwordx2 v[9:10], v6, s[26:27]
	s_mov_b32 s18, exec_lo
	s_waitcnt vmcnt(1)
	v_and_b32_e32 v5, v5, v28
	v_and_b32_e32 v4, v4, v27
	v_mul_lo_u32 v5, v5, 24
	v_mul_hi_u32 v25, v4, 24
	v_mul_lo_u32 v4, v4, 24
	v_add_nc_u32_e32 v5, v25, v5
	s_waitcnt vmcnt(0)
	v_add_co_u32 v4, vcc_lo, v9, v4
	v_add_co_ci_u32_e32 v5, vcc_lo, v10, v5, vcc_lo
	global_load_dwordx2 v[25:26], v[4:5], off glc dlc
	s_waitcnt vmcnt(0)
	global_atomic_cmpswap_x2 v[4:5], v6, v[25:28], s[26:27] offset:24 glc
	s_waitcnt vmcnt(0)
	buffer_gl1_inv
	buffer_gl0_inv
	v_cmpx_ne_u64_e64 v[4:5], v[27:28]
	s_cbranch_execz .LBB6_1044
; %bb.1041:                             ;   in Loop: Header=BB6_990 Depth=1
	s_mov_b32 s19, 0
	.p2align	6
.LBB6_1042:                             ;   Parent Loop BB6_990 Depth=1
                                        ; =>  This Inner Loop Header: Depth=2
	s_sleep 1
	s_clause 0x1
	global_load_dwordx2 v[9:10], v6, s[26:27] offset:40
	global_load_dwordx2 v[25:26], v6, s[26:27]
	v_mov_b32_e32 v28, v5
	v_mov_b32_e32 v27, v4
	s_waitcnt vmcnt(1)
	v_and_b32_e32 v4, v9, v27
	v_and_b32_e32 v9, v10, v28
	s_waitcnt vmcnt(0)
	v_mad_u64_u32 v[4:5], null, v4, 24, v[25:26]
	v_mad_u64_u32 v[9:10], null, v9, 24, v[5:6]
	v_mov_b32_e32 v5, v9
	global_load_dwordx2 v[25:26], v[4:5], off glc dlc
	s_waitcnt vmcnt(0)
	global_atomic_cmpswap_x2 v[4:5], v6, v[25:28], s[26:27] offset:24 glc
	s_waitcnt vmcnt(0)
	buffer_gl1_inv
	buffer_gl0_inv
	v_cmp_eq_u64_e32 vcc_lo, v[4:5], v[27:28]
	s_or_b32 s19, vcc_lo, s19
	s_andn2_b32 exec_lo, exec_lo, s19
	s_cbranch_execnz .LBB6_1042
; %bb.1043:                             ;   in Loop: Header=BB6_990 Depth=1
	s_or_b32 exec_lo, exec_lo, s19
.LBB6_1044:                             ;   in Loop: Header=BB6_990 Depth=1
	s_or_b32 exec_lo, exec_lo, s18
.LBB6_1045:                             ;   in Loop: Header=BB6_990 Depth=1
	s_or_b32 exec_lo, exec_lo, s5
	s_clause 0x1
	global_load_dwordx2 v[9:10], v6, s[26:27] offset:40
	global_load_dwordx4 v[25:28], v6, s[26:27]
	v_readfirstlane_b32 s18, v4
	v_readfirstlane_b32 s19, v5
	s_mov_b32 s5, exec_lo
	s_waitcnt vmcnt(1)
	v_readfirstlane_b32 s20, v9
	v_readfirstlane_b32 s21, v10
	s_and_b64 s[20:21], s[18:19], s[20:21]
	s_mul_i32 s22, s21, 24
	s_mul_hi_u32 s23, s20, 24
	s_mul_i32 s24, s20, 24
	s_add_i32 s23, s23, s22
	s_waitcnt vmcnt(0)
	v_add_co_u32 v29, vcc_lo, v25, s24
	v_add_co_ci_u32_e32 v30, vcc_lo, s23, v26, vcc_lo
	s_and_saveexec_b32 s22, s4
	s_cbranch_execz .LBB6_1047
; %bb.1046:                             ;   in Loop: Header=BB6_990 Depth=1
	v_mov_b32_e32 v5, s5
	global_store_dwordx4 v[29:30], v[5:8], off offset:8
.LBB6_1047:                             ;   in Loop: Header=BB6_990 Depth=1
	s_or_b32 exec_lo, exec_lo, s22
	s_lshl_b64 s[20:21], s[20:21], 12
	v_cmp_gt_u64_e64 vcc_lo, s[10:11], 56
	v_or_b32_e32 v5, v2, v31
	v_add_co_u32 v27, s5, v27, s20
	v_add_co_ci_u32_e64 v28, s5, s21, v28, s5
	s_lshl_b32 s5, s16, 2
	v_or_b32_e32 v4, 0, v3
	v_cndmask_b32_e32 v2, v5, v2, vcc_lo
	s_add_i32 s5, s5, 28
	v_readfirstlane_b32 s20, v27
	s_and_b32 s5, s5, 0x1e0
	v_cndmask_b32_e32 v10, v4, v3, vcc_lo
	v_readfirstlane_b32 s21, v28
	v_and_or_b32 v9, 0xffffff1f, v2, s5
	global_store_dwordx4 v48, v[9:12], s[20:21]
	global_store_dwordx4 v48, v[13:16], s[20:21] offset:16
	global_store_dwordx4 v48, v[17:20], s[20:21] offset:32
	global_store_dwordx4 v48, v[21:24], s[20:21] offset:48
	s_and_saveexec_b32 s5, s4
	s_cbranch_execz .LBB6_1055
; %bb.1048:                             ;   in Loop: Header=BB6_990 Depth=1
	s_clause 0x1
	global_load_dwordx2 v[13:14], v6, s[26:27] offset:32 glc dlc
	global_load_dwordx2 v[2:3], v6, s[26:27] offset:40
	v_mov_b32_e32 v11, s18
	v_mov_b32_e32 v12, s19
	s_waitcnt vmcnt(0)
	v_readfirstlane_b32 s20, v2
	v_readfirstlane_b32 s21, v3
	s_and_b64 s[20:21], s[20:21], s[18:19]
	s_mul_i32 s21, s21, 24
	s_mul_hi_u32 s22, s20, 24
	s_mul_i32 s20, s20, 24
	s_add_i32 s22, s22, s21
	v_add_co_u32 v9, vcc_lo, v25, s20
	v_add_co_ci_u32_e32 v10, vcc_lo, s22, v26, vcc_lo
	s_mov_b32 s20, exec_lo
	global_store_dwordx2 v[9:10], v[13:14], off
	s_waitcnt_vscnt null, 0x0
	global_atomic_cmpswap_x2 v[4:5], v6, v[11:14], s[26:27] offset:32 glc
	s_waitcnt vmcnt(0)
	v_cmpx_ne_u64_e64 v[4:5], v[13:14]
	s_cbranch_execz .LBB6_1051
; %bb.1049:                             ;   in Loop: Header=BB6_990 Depth=1
	s_mov_b32 s21, 0
.LBB6_1050:                             ;   Parent Loop BB6_990 Depth=1
                                        ; =>  This Inner Loop Header: Depth=2
	v_mov_b32_e32 v2, s18
	v_mov_b32_e32 v3, s19
	s_sleep 1
	global_store_dwordx2 v[9:10], v[4:5], off
	s_waitcnt_vscnt null, 0x0
	global_atomic_cmpswap_x2 v[2:3], v6, v[2:5], s[26:27] offset:32 glc
	s_waitcnt vmcnt(0)
	v_cmp_eq_u64_e32 vcc_lo, v[2:3], v[4:5]
	v_mov_b32_e32 v5, v3
	v_mov_b32_e32 v4, v2
	s_or_b32 s21, vcc_lo, s21
	s_andn2_b32 exec_lo, exec_lo, s21
	s_cbranch_execnz .LBB6_1050
.LBB6_1051:                             ;   in Loop: Header=BB6_990 Depth=1
	s_or_b32 exec_lo, exec_lo, s20
	global_load_dwordx2 v[2:3], v6, s[26:27] offset:16
	s_mov_b32 s21, exec_lo
	s_mov_b32 s20, exec_lo
	v_mbcnt_lo_u32_b32 v4, s21, 0
	v_cmpx_eq_u32_e32 0, v4
	s_cbranch_execz .LBB6_1053
; %bb.1052:                             ;   in Loop: Header=BB6_990 Depth=1
	s_bcnt1_i32_b32 s21, s21
	v_mov_b32_e32 v5, s21
	s_waitcnt vmcnt(0)
	global_atomic_add_x2 v[2:3], v[5:6], off offset:8
.LBB6_1053:                             ;   in Loop: Header=BB6_990 Depth=1
	s_or_b32 exec_lo, exec_lo, s20
	s_waitcnt vmcnt(0)
	global_load_dwordx2 v[9:10], v[2:3], off offset:16
	s_waitcnt vmcnt(0)
	v_cmp_eq_u64_e32 vcc_lo, 0, v[9:10]
	s_cbranch_vccnz .LBB6_1055
; %bb.1054:                             ;   in Loop: Header=BB6_990 Depth=1
	global_load_dword v5, v[2:3], off offset:24
	s_waitcnt vmcnt(0)
	v_and_b32_e32 v2, 0x7fffff, v5
	s_waitcnt_vscnt null, 0x0
	global_store_dwordx2 v[9:10], v[5:6], off
	v_readfirstlane_b32 m0, v2
	s_sendmsg sendmsg(MSG_INTERRUPT)
.LBB6_1055:                             ;   in Loop: Header=BB6_990 Depth=1
	s_or_b32 exec_lo, exec_lo, s5
	v_add_co_u32 v2, vcc_lo, v27, v48
	v_add_co_ci_u32_e32 v3, vcc_lo, 0, v28, vcc_lo
	s_branch .LBB6_1059
	.p2align	6
.LBB6_1056:                             ;   in Loop: Header=BB6_1059 Depth=2
	s_or_b32 exec_lo, exec_lo, s5
	v_readfirstlane_b32 s5, v4
	s_cmp_eq_u32 s5, 0
	s_cbranch_scc1 .LBB6_1058
; %bb.1057:                             ;   in Loop: Header=BB6_1059 Depth=2
	s_sleep 1
	s_cbranch_execnz .LBB6_1059
	s_branch .LBB6_1061
	.p2align	6
.LBB6_1058:                             ;   in Loop: Header=BB6_990 Depth=1
	s_branch .LBB6_1061
.LBB6_1059:                             ;   Parent Loop BB6_990 Depth=1
                                        ; =>  This Inner Loop Header: Depth=2
	v_mov_b32_e32 v4, 1
	s_and_saveexec_b32 s5, s4
	s_cbranch_execz .LBB6_1056
; %bb.1060:                             ;   in Loop: Header=BB6_1059 Depth=2
	global_load_dword v4, v[29:30], off offset:20 glc dlc
	s_waitcnt vmcnt(0)
	buffer_gl1_inv
	buffer_gl0_inv
	v_and_b32_e32 v4, 1, v4
	s_branch .LBB6_1056
.LBB6_1061:                             ;   in Loop: Header=BB6_990 Depth=1
	global_load_dwordx4 v[2:5], v[2:3], off
	s_and_saveexec_b32 s5, s4
	s_cbranch_execz .LBB6_989
; %bb.1062:                             ;   in Loop: Header=BB6_990 Depth=1
	s_clause 0x2
	global_load_dwordx2 v[4:5], v6, s[26:27] offset:40
	global_load_dwordx2 v[13:14], v6, s[26:27] offset:24 glc dlc
	global_load_dwordx2 v[11:12], v6, s[26:27]
	s_waitcnt vmcnt(2)
	v_add_co_u32 v15, vcc_lo, v4, 1
	v_add_co_ci_u32_e32 v16, vcc_lo, 0, v5, vcc_lo
	v_add_co_u32 v9, vcc_lo, v15, s18
	v_add_co_ci_u32_e32 v10, vcc_lo, s19, v16, vcc_lo
	v_cmp_eq_u64_e32 vcc_lo, 0, v[9:10]
	v_cndmask_b32_e32 v10, v10, v16, vcc_lo
	v_cndmask_b32_e32 v9, v9, v15, vcc_lo
	v_and_b32_e32 v5, v10, v5
	v_and_b32_e32 v4, v9, v4
	v_mul_lo_u32 v5, v5, 24
	v_mul_hi_u32 v15, v4, 24
	v_mul_lo_u32 v4, v4, 24
	v_add_nc_u32_e32 v5, v15, v5
	s_waitcnt vmcnt(0)
	v_add_co_u32 v4, vcc_lo, v11, v4
	v_mov_b32_e32 v11, v13
	v_add_co_ci_u32_e32 v5, vcc_lo, v12, v5, vcc_lo
	v_mov_b32_e32 v12, v14
	global_store_dwordx2 v[4:5], v[13:14], off
	s_waitcnt_vscnt null, 0x0
	global_atomic_cmpswap_x2 v[11:12], v6, v[9:12], s[26:27] offset:24 glc
	s_waitcnt vmcnt(0)
	v_cmp_ne_u64_e32 vcc_lo, v[11:12], v[13:14]
	s_and_b32 exec_lo, exec_lo, vcc_lo
	s_cbranch_execz .LBB6_989
; %bb.1063:                             ;   in Loop: Header=BB6_990 Depth=1
	s_mov_b32 s4, 0
.LBB6_1064:                             ;   Parent Loop BB6_990 Depth=1
                                        ; =>  This Inner Loop Header: Depth=2
	s_sleep 1
	global_store_dwordx2 v[4:5], v[11:12], off
	s_waitcnt_vscnt null, 0x0
	global_atomic_cmpswap_x2 v[13:14], v6, v[9:12], s[26:27] offset:24 glc
	s_waitcnt vmcnt(0)
	v_cmp_eq_u64_e32 vcc_lo, v[13:14], v[11:12]
	v_mov_b32_e32 v11, v13
	v_mov_b32_e32 v12, v14
	s_or_b32 s4, vcc_lo, s4
	s_andn2_b32 exec_lo, exec_lo, s4
	s_cbranch_execnz .LBB6_1064
	s_branch .LBB6_989
.LBB6_1065:
	s_branch .LBB6_1094
.LBB6_1066:
                                        ; implicit-def: $vgpr2_vgpr3
	s_cbranch_execz .LBB6_1094
; %bb.1067:
	v_readfirstlane_b32 s4, v49
	v_mov_b32_e32 v8, 0
	v_mov_b32_e32 v9, 0
	v_cmp_eq_u32_e64 s4, s4, v49
	s_and_saveexec_b32 s5, s4
	s_cbranch_execz .LBB6_1073
; %bb.1068:
	s_waitcnt vmcnt(0)
	v_mov_b32_e32 v2, 0
	s_mov_b32 s6, exec_lo
	global_load_dwordx2 v[5:6], v2, s[26:27] offset:24 glc dlc
	s_waitcnt vmcnt(0)
	buffer_gl1_inv
	buffer_gl0_inv
	s_clause 0x1
	global_load_dwordx2 v[3:4], v2, s[26:27] offset:40
	global_load_dwordx2 v[7:8], v2, s[26:27]
	s_waitcnt vmcnt(1)
	v_and_b32_e32 v4, v4, v6
	v_and_b32_e32 v3, v3, v5
	v_mul_lo_u32 v4, v4, 24
	v_mul_hi_u32 v9, v3, 24
	v_mul_lo_u32 v3, v3, 24
	v_add_nc_u32_e32 v4, v9, v4
	s_waitcnt vmcnt(0)
	v_add_co_u32 v3, vcc_lo, v7, v3
	v_add_co_ci_u32_e32 v4, vcc_lo, v8, v4, vcc_lo
	global_load_dwordx2 v[3:4], v[3:4], off glc dlc
	s_waitcnt vmcnt(0)
	global_atomic_cmpswap_x2 v[8:9], v2, v[3:6], s[26:27] offset:24 glc
	s_waitcnt vmcnt(0)
	buffer_gl1_inv
	buffer_gl0_inv
	v_cmpx_ne_u64_e64 v[8:9], v[5:6]
	s_cbranch_execz .LBB6_1072
; %bb.1069:
	s_mov_b32 s7, 0
	.p2align	6
.LBB6_1070:                             ; =>This Inner Loop Header: Depth=1
	s_sleep 1
	s_clause 0x1
	global_load_dwordx2 v[3:4], v2, s[26:27] offset:40
	global_load_dwordx2 v[10:11], v2, s[26:27]
	v_mov_b32_e32 v5, v8
	v_mov_b32_e32 v6, v9
	s_waitcnt vmcnt(1)
	v_and_b32_e32 v3, v3, v5
	v_and_b32_e32 v4, v4, v6
	s_waitcnt vmcnt(0)
	v_mad_u64_u32 v[7:8], null, v3, 24, v[10:11]
	v_mov_b32_e32 v3, v8
	v_mad_u64_u32 v[3:4], null, v4, 24, v[3:4]
	v_mov_b32_e32 v8, v3
	global_load_dwordx2 v[3:4], v[7:8], off glc dlc
	s_waitcnt vmcnt(0)
	global_atomic_cmpswap_x2 v[8:9], v2, v[3:6], s[26:27] offset:24 glc
	s_waitcnt vmcnt(0)
	buffer_gl1_inv
	buffer_gl0_inv
	v_cmp_eq_u64_e32 vcc_lo, v[8:9], v[5:6]
	s_or_b32 s7, vcc_lo, s7
	s_andn2_b32 exec_lo, exec_lo, s7
	s_cbranch_execnz .LBB6_1070
; %bb.1071:
	s_or_b32 exec_lo, exec_lo, s7
.LBB6_1072:
	s_or_b32 exec_lo, exec_lo, s6
.LBB6_1073:
	s_or_b32 exec_lo, exec_lo, s5
	s_waitcnt vmcnt(0)
	v_mov_b32_e32 v2, 0
	v_readfirstlane_b32 s6, v8
	v_readfirstlane_b32 s7, v9
	s_mov_b32 s5, exec_lo
	s_clause 0x1
	global_load_dwordx2 v[10:11], v2, s[26:27] offset:40
	global_load_dwordx4 v[4:7], v2, s[26:27]
	s_waitcnt vmcnt(1)
	v_readfirstlane_b32 s10, v10
	v_readfirstlane_b32 s11, v11
	s_and_b64 s[10:11], s[6:7], s[10:11]
	s_mul_i32 s16, s11, 24
	s_mul_hi_u32 s17, s10, 24
	s_mul_i32 s18, s10, 24
	s_add_i32 s17, s17, s16
	s_waitcnt vmcnt(0)
	v_add_co_u32 v8, vcc_lo, v4, s18
	v_add_co_ci_u32_e32 v9, vcc_lo, s17, v5, vcc_lo
	s_and_saveexec_b32 s16, s4
	s_cbranch_execz .LBB6_1075
; %bb.1074:
	v_mov_b32_e32 v10, s5
	v_mov_b32_e32 v11, v2
	;; [unrolled: 1-line block ×4, first 2 shown]
	global_store_dwordx4 v[8:9], v[10:13], off offset:8
.LBB6_1075:
	s_or_b32 exec_lo, exec_lo, s16
	s_lshl_b64 s[10:11], s[10:11], 12
	s_mov_b32 s16, 0
	v_add_co_u32 v6, vcc_lo, v6, s10
	v_add_co_ci_u32_e32 v7, vcc_lo, s11, v7, vcc_lo
	s_mov_b32 s17, s16
	v_readfirstlane_b32 s10, v6
	v_add_co_u32 v6, vcc_lo, v6, v48
	s_mov_b32 s18, s16
	s_mov_b32 s19, s16
	v_and_or_b32 v0, 0xffffff1f, v0, 32
	v_mov_b32_e32 v3, v2
	v_readfirstlane_b32 s11, v7
	v_mov_b32_e32 v10, s16
	v_add_co_ci_u32_e32 v7, vcc_lo, 0, v7, vcc_lo
	v_mov_b32_e32 v11, s17
	v_mov_b32_e32 v12, s18
	;; [unrolled: 1-line block ×3, first 2 shown]
	global_store_dwordx4 v48, v[0:3], s[10:11]
	global_store_dwordx4 v48, v[10:13], s[10:11] offset:16
	global_store_dwordx4 v48, v[10:13], s[10:11] offset:32
	global_store_dwordx4 v48, v[10:13], s[10:11] offset:48
	s_and_saveexec_b32 s5, s4
	s_cbranch_execz .LBB6_1083
; %bb.1076:
	v_mov_b32_e32 v10, 0
	v_mov_b32_e32 v11, s6
	v_mov_b32_e32 v12, s7
	s_clause 0x1
	global_load_dwordx2 v[13:14], v10, s[26:27] offset:32 glc dlc
	global_load_dwordx2 v[0:1], v10, s[26:27] offset:40
	s_waitcnt vmcnt(0)
	v_readfirstlane_b32 s10, v0
	v_readfirstlane_b32 s11, v1
	s_and_b64 s[10:11], s[10:11], s[6:7]
	s_mul_i32 s11, s11, 24
	s_mul_hi_u32 s16, s10, 24
	s_mul_i32 s10, s10, 24
	s_add_i32 s16, s16, s11
	v_add_co_u32 v4, vcc_lo, v4, s10
	v_add_co_ci_u32_e32 v5, vcc_lo, s16, v5, vcc_lo
	s_mov_b32 s10, exec_lo
	global_store_dwordx2 v[4:5], v[13:14], off
	s_waitcnt_vscnt null, 0x0
	global_atomic_cmpswap_x2 v[2:3], v10, v[11:14], s[26:27] offset:32 glc
	s_waitcnt vmcnt(0)
	v_cmpx_ne_u64_e64 v[2:3], v[13:14]
	s_cbranch_execz .LBB6_1079
; %bb.1077:
	s_mov_b32 s11, 0
.LBB6_1078:                             ; =>This Inner Loop Header: Depth=1
	v_mov_b32_e32 v0, s6
	v_mov_b32_e32 v1, s7
	s_sleep 1
	global_store_dwordx2 v[4:5], v[2:3], off
	s_waitcnt_vscnt null, 0x0
	global_atomic_cmpswap_x2 v[0:1], v10, v[0:3], s[26:27] offset:32 glc
	s_waitcnt vmcnt(0)
	v_cmp_eq_u64_e32 vcc_lo, v[0:1], v[2:3]
	v_mov_b32_e32 v3, v1
	v_mov_b32_e32 v2, v0
	s_or_b32 s11, vcc_lo, s11
	s_andn2_b32 exec_lo, exec_lo, s11
	s_cbranch_execnz .LBB6_1078
.LBB6_1079:
	s_or_b32 exec_lo, exec_lo, s10
	v_mov_b32_e32 v3, 0
	s_mov_b32 s11, exec_lo
	s_mov_b32 s10, exec_lo
	v_mbcnt_lo_u32_b32 v2, s11, 0
	global_load_dwordx2 v[0:1], v3, s[26:27] offset:16
	v_cmpx_eq_u32_e32 0, v2
	s_cbranch_execz .LBB6_1081
; %bb.1080:
	s_bcnt1_i32_b32 s11, s11
	v_mov_b32_e32 v2, s11
	s_waitcnt vmcnt(0)
	global_atomic_add_x2 v[0:1], v[2:3], off offset:8
.LBB6_1081:
	s_or_b32 exec_lo, exec_lo, s10
	s_waitcnt vmcnt(0)
	global_load_dwordx2 v[2:3], v[0:1], off offset:16
	s_waitcnt vmcnt(0)
	v_cmp_eq_u64_e32 vcc_lo, 0, v[2:3]
	s_cbranch_vccnz .LBB6_1083
; %bb.1082:
	global_load_dword v0, v[0:1], off offset:24
	v_mov_b32_e32 v1, 0
	s_waitcnt vmcnt(0)
	v_and_b32_e32 v4, 0x7fffff, v0
	s_waitcnt_vscnt null, 0x0
	global_store_dwordx2 v[2:3], v[0:1], off
	v_readfirstlane_b32 m0, v4
	s_sendmsg sendmsg(MSG_INTERRUPT)
.LBB6_1083:
	s_or_b32 exec_lo, exec_lo, s5
	s_branch .LBB6_1087
	.p2align	6
.LBB6_1084:                             ;   in Loop: Header=BB6_1087 Depth=1
	s_or_b32 exec_lo, exec_lo, s5
	v_readfirstlane_b32 s5, v0
	s_cmp_eq_u32 s5, 0
	s_cbranch_scc1 .LBB6_1086
; %bb.1085:                             ;   in Loop: Header=BB6_1087 Depth=1
	s_sleep 1
	s_cbranch_execnz .LBB6_1087
	s_branch .LBB6_1089
	.p2align	6
.LBB6_1086:
	s_branch .LBB6_1089
.LBB6_1087:                             ; =>This Inner Loop Header: Depth=1
	v_mov_b32_e32 v0, 1
	s_and_saveexec_b32 s5, s4
	s_cbranch_execz .LBB6_1084
; %bb.1088:                             ;   in Loop: Header=BB6_1087 Depth=1
	global_load_dword v0, v[8:9], off offset:20 glc dlc
	s_waitcnt vmcnt(0)
	buffer_gl1_inv
	buffer_gl0_inv
	v_and_b32_e32 v0, 1, v0
	s_branch .LBB6_1084
.LBB6_1089:
	global_load_dwordx2 v[2:3], v[6:7], off
	s_and_saveexec_b32 s5, s4
	s_cbranch_execz .LBB6_1093
; %bb.1090:
	v_mov_b32_e32 v8, 0
	s_clause 0x2
	global_load_dwordx2 v[0:1], v8, s[26:27] offset:40
	global_load_dwordx2 v[9:10], v8, s[26:27] offset:24 glc dlc
	global_load_dwordx2 v[6:7], v8, s[26:27]
	s_waitcnt vmcnt(2)
	v_add_co_u32 v11, vcc_lo, v0, 1
	v_add_co_ci_u32_e32 v12, vcc_lo, 0, v1, vcc_lo
	v_add_co_u32 v4, vcc_lo, v11, s6
	v_add_co_ci_u32_e32 v5, vcc_lo, s7, v12, vcc_lo
	v_cmp_eq_u64_e32 vcc_lo, 0, v[4:5]
	v_cndmask_b32_e32 v5, v5, v12, vcc_lo
	v_cndmask_b32_e32 v4, v4, v11, vcc_lo
	v_and_b32_e32 v1, v5, v1
	v_and_b32_e32 v0, v4, v0
	v_mul_lo_u32 v1, v1, 24
	v_mul_hi_u32 v11, v0, 24
	v_mul_lo_u32 v0, v0, 24
	v_add_nc_u32_e32 v1, v11, v1
	s_waitcnt vmcnt(0)
	v_add_co_u32 v0, vcc_lo, v6, v0
	v_mov_b32_e32 v6, v9
	v_add_co_ci_u32_e32 v1, vcc_lo, v7, v1, vcc_lo
	v_mov_b32_e32 v7, v10
	global_store_dwordx2 v[0:1], v[9:10], off
	s_waitcnt_vscnt null, 0x0
	global_atomic_cmpswap_x2 v[6:7], v8, v[4:7], s[26:27] offset:24 glc
	s_waitcnt vmcnt(0)
	v_cmp_ne_u64_e32 vcc_lo, v[6:7], v[9:10]
	s_and_b32 exec_lo, exec_lo, vcc_lo
	s_cbranch_execz .LBB6_1093
; %bb.1091:
	s_mov_b32 s4, 0
.LBB6_1092:                             ; =>This Inner Loop Header: Depth=1
	s_sleep 1
	global_store_dwordx2 v[0:1], v[6:7], off
	s_waitcnt_vscnt null, 0x0
	global_atomic_cmpswap_x2 v[9:10], v8, v[4:7], s[26:27] offset:24 glc
	s_waitcnt vmcnt(0)
	v_cmp_eq_u64_e32 vcc_lo, v[9:10], v[6:7]
	v_mov_b32_e32 v6, v9
	v_mov_b32_e32 v7, v10
	s_or_b32 s4, vcc_lo, s4
	s_andn2_b32 exec_lo, exec_lo, s4
	s_cbranch_execnz .LBB6_1092
.LBB6_1093:
	s_or_b32 exec_lo, exec_lo, s5
.LBB6_1094:
	v_readfirstlane_b32 s4, v49
	s_waitcnt vmcnt(0)
	v_mov_b32_e32 v0, 0
	v_mov_b32_e32 v1, 0
	v_cmp_eq_u32_e64 s4, s4, v49
	s_and_saveexec_b32 s5, s4
	s_cbranch_execz .LBB6_1100
; %bb.1095:
	v_mov_b32_e32 v4, 0
	s_mov_b32 s6, exec_lo
	global_load_dwordx2 v[7:8], v4, s[26:27] offset:24 glc dlc
	s_waitcnt vmcnt(0)
	buffer_gl1_inv
	buffer_gl0_inv
	s_clause 0x1
	global_load_dwordx2 v[0:1], v4, s[26:27] offset:40
	global_load_dwordx2 v[5:6], v4, s[26:27]
	s_waitcnt vmcnt(1)
	v_and_b32_e32 v1, v1, v8
	v_and_b32_e32 v0, v0, v7
	v_mul_lo_u32 v1, v1, 24
	v_mul_hi_u32 v9, v0, 24
	v_mul_lo_u32 v0, v0, 24
	v_add_nc_u32_e32 v1, v9, v1
	s_waitcnt vmcnt(0)
	v_add_co_u32 v0, vcc_lo, v5, v0
	v_add_co_ci_u32_e32 v1, vcc_lo, v6, v1, vcc_lo
	global_load_dwordx2 v[5:6], v[0:1], off glc dlc
	s_waitcnt vmcnt(0)
	global_atomic_cmpswap_x2 v[0:1], v4, v[5:8], s[26:27] offset:24 glc
	s_waitcnt vmcnt(0)
	buffer_gl1_inv
	buffer_gl0_inv
	v_cmpx_ne_u64_e64 v[0:1], v[7:8]
	s_cbranch_execz .LBB6_1099
; %bb.1096:
	s_mov_b32 s7, 0
	.p2align	6
.LBB6_1097:                             ; =>This Inner Loop Header: Depth=1
	s_sleep 1
	s_clause 0x1
	global_load_dwordx2 v[5:6], v4, s[26:27] offset:40
	global_load_dwordx2 v[9:10], v4, s[26:27]
	v_mov_b32_e32 v8, v1
	v_mov_b32_e32 v7, v0
	s_waitcnt vmcnt(1)
	v_and_b32_e32 v0, v5, v7
	v_and_b32_e32 v5, v6, v8
	s_waitcnt vmcnt(0)
	v_mad_u64_u32 v[0:1], null, v0, 24, v[9:10]
	v_mad_u64_u32 v[5:6], null, v5, 24, v[1:2]
	v_mov_b32_e32 v1, v5
	global_load_dwordx2 v[5:6], v[0:1], off glc dlc
	s_waitcnt vmcnt(0)
	global_atomic_cmpswap_x2 v[0:1], v4, v[5:8], s[26:27] offset:24 glc
	s_waitcnt vmcnt(0)
	buffer_gl1_inv
	buffer_gl0_inv
	v_cmp_eq_u64_e32 vcc_lo, v[0:1], v[7:8]
	s_or_b32 s7, vcc_lo, s7
	s_andn2_b32 exec_lo, exec_lo, s7
	s_cbranch_execnz .LBB6_1097
; %bb.1098:
	s_or_b32 exec_lo, exec_lo, s7
.LBB6_1099:
	s_or_b32 exec_lo, exec_lo, s6
.LBB6_1100:
	s_or_b32 exec_lo, exec_lo, s5
	v_mov_b32_e32 v5, 0
	v_readfirstlane_b32 s6, v0
	v_readfirstlane_b32 s7, v1
	s_mov_b32 s5, exec_lo
	s_clause 0x1
	global_load_dwordx2 v[10:11], v5, s[26:27] offset:40
	global_load_dwordx4 v[6:9], v5, s[26:27]
	s_waitcnt vmcnt(1)
	v_readfirstlane_b32 s10, v10
	v_readfirstlane_b32 s11, v11
	s_and_b64 s[10:11], s[6:7], s[10:11]
	s_mul_i32 s16, s11, 24
	s_mul_hi_u32 s17, s10, 24
	s_mul_i32 s18, s10, 24
	s_add_i32 s17, s17, s16
	s_waitcnt vmcnt(0)
	v_add_co_u32 v10, vcc_lo, v6, s18
	v_add_co_ci_u32_e32 v11, vcc_lo, s17, v7, vcc_lo
	s_and_saveexec_b32 s16, s4
	s_cbranch_execz .LBB6_1102
; %bb.1101:
	v_mov_b32_e32 v4, s5
	v_mov_b32_e32 v13, v5
	;; [unrolled: 1-line block ×5, first 2 shown]
	global_store_dwordx4 v[10:11], v[12:15], off offset:8
.LBB6_1102:
	s_or_b32 exec_lo, exec_lo, s16
	s_lshl_b64 s[10:11], s[10:11], 12
	s_mov_b32 s16, 0
	v_add_co_u32 v0, vcc_lo, v8, s10
	v_add_co_ci_u32_e32 v1, vcc_lo, s11, v9, vcc_lo
	s_mov_b32 s17, s16
	s_mov_b32 s18, s16
	;; [unrolled: 1-line block ×3, first 2 shown]
	v_and_or_b32 v2, 0xffffff1d, v2, 34
	v_mov_b32_e32 v4, 58
	v_readfirstlane_b32 s10, v0
	v_readfirstlane_b32 s11, v1
	v_mov_b32_e32 v12, s16
	v_mov_b32_e32 v13, s17
	v_mov_b32_e32 v14, s18
	v_mov_b32_e32 v15, s19
	global_store_dwordx4 v48, v[2:5], s[10:11]
	global_store_dwordx4 v48, v[12:15], s[10:11] offset:16
	global_store_dwordx4 v48, v[12:15], s[10:11] offset:32
	;; [unrolled: 1-line block ×3, first 2 shown]
	s_and_saveexec_b32 s5, s4
	s_cbranch_execz .LBB6_1110
; %bb.1103:
	v_mov_b32_e32 v8, 0
	v_mov_b32_e32 v12, s6
	;; [unrolled: 1-line block ×3, first 2 shown]
	s_clause 0x1
	global_load_dwordx2 v[14:15], v8, s[26:27] offset:32 glc dlc
	global_load_dwordx2 v[0:1], v8, s[26:27] offset:40
	s_waitcnt vmcnt(0)
	v_readfirstlane_b32 s10, v0
	v_readfirstlane_b32 s11, v1
	s_and_b64 s[10:11], s[10:11], s[6:7]
	s_mul_i32 s11, s11, 24
	s_mul_hi_u32 s16, s10, 24
	s_mul_i32 s10, s10, 24
	s_add_i32 s16, s16, s11
	v_add_co_u32 v4, vcc_lo, v6, s10
	v_add_co_ci_u32_e32 v5, vcc_lo, s16, v7, vcc_lo
	s_mov_b32 s10, exec_lo
	global_store_dwordx2 v[4:5], v[14:15], off
	s_waitcnt_vscnt null, 0x0
	global_atomic_cmpswap_x2 v[2:3], v8, v[12:15], s[26:27] offset:32 glc
	s_waitcnt vmcnt(0)
	v_cmpx_ne_u64_e64 v[2:3], v[14:15]
	s_cbranch_execz .LBB6_1106
; %bb.1104:
	s_mov_b32 s11, 0
.LBB6_1105:                             ; =>This Inner Loop Header: Depth=1
	v_mov_b32_e32 v0, s6
	v_mov_b32_e32 v1, s7
	s_sleep 1
	global_store_dwordx2 v[4:5], v[2:3], off
	s_waitcnt_vscnt null, 0x0
	global_atomic_cmpswap_x2 v[0:1], v8, v[0:3], s[26:27] offset:32 glc
	s_waitcnt vmcnt(0)
	v_cmp_eq_u64_e32 vcc_lo, v[0:1], v[2:3]
	v_mov_b32_e32 v3, v1
	v_mov_b32_e32 v2, v0
	s_or_b32 s11, vcc_lo, s11
	s_andn2_b32 exec_lo, exec_lo, s11
	s_cbranch_execnz .LBB6_1105
.LBB6_1106:
	s_or_b32 exec_lo, exec_lo, s10
	v_mov_b32_e32 v3, 0
	s_mov_b32 s11, exec_lo
	s_mov_b32 s10, exec_lo
	v_mbcnt_lo_u32_b32 v2, s11, 0
	global_load_dwordx2 v[0:1], v3, s[26:27] offset:16
	v_cmpx_eq_u32_e32 0, v2
	s_cbranch_execz .LBB6_1108
; %bb.1107:
	s_bcnt1_i32_b32 s11, s11
	v_mov_b32_e32 v2, s11
	s_waitcnt vmcnt(0)
	global_atomic_add_x2 v[0:1], v[2:3], off offset:8
.LBB6_1108:
	s_or_b32 exec_lo, exec_lo, s10
	s_waitcnt vmcnt(0)
	global_load_dwordx2 v[2:3], v[0:1], off offset:16
	s_waitcnt vmcnt(0)
	v_cmp_eq_u64_e32 vcc_lo, 0, v[2:3]
	s_cbranch_vccnz .LBB6_1110
; %bb.1109:
	global_load_dword v0, v[0:1], off offset:24
	v_mov_b32_e32 v1, 0
	s_waitcnt vmcnt(0)
	v_and_b32_e32 v4, 0x7fffff, v0
	s_waitcnt_vscnt null, 0x0
	global_store_dwordx2 v[2:3], v[0:1], off
	v_readfirstlane_b32 m0, v4
	s_sendmsg sendmsg(MSG_INTERRUPT)
.LBB6_1110:
	s_or_b32 exec_lo, exec_lo, s5
	s_branch .LBB6_1114
	.p2align	6
.LBB6_1111:                             ;   in Loop: Header=BB6_1114 Depth=1
	s_or_b32 exec_lo, exec_lo, s5
	v_readfirstlane_b32 s5, v0
	s_cmp_eq_u32 s5, 0
	s_cbranch_scc1 .LBB6_1113
; %bb.1112:                             ;   in Loop: Header=BB6_1114 Depth=1
	s_sleep 1
	s_cbranch_execnz .LBB6_1114
	s_branch .LBB6_1116
	.p2align	6
.LBB6_1113:
	s_branch .LBB6_1116
.LBB6_1114:                             ; =>This Inner Loop Header: Depth=1
	v_mov_b32_e32 v0, 1
	s_and_saveexec_b32 s5, s4
	s_cbranch_execz .LBB6_1111
; %bb.1115:                             ;   in Loop: Header=BB6_1114 Depth=1
	global_load_dword v0, v[10:11], off offset:20 glc dlc
	s_waitcnt vmcnt(0)
	buffer_gl1_inv
	buffer_gl0_inv
	v_and_b32_e32 v0, 1, v0
	s_branch .LBB6_1111
.LBB6_1116:
	s_and_saveexec_b32 s5, s4
	s_cbranch_execz .LBB6_1120
; %bb.1117:
	v_mov_b32_e32 v6, 0
	s_clause 0x2
	global_load_dwordx2 v[2:3], v6, s[26:27] offset:40
	global_load_dwordx2 v[7:8], v6, s[26:27] offset:24 glc dlc
	global_load_dwordx2 v[4:5], v6, s[26:27]
	s_waitcnt vmcnt(2)
	v_add_co_u32 v9, vcc_lo, v2, 1
	v_add_co_ci_u32_e32 v10, vcc_lo, 0, v3, vcc_lo
	v_add_co_u32 v0, vcc_lo, v9, s6
	v_add_co_ci_u32_e32 v1, vcc_lo, s7, v10, vcc_lo
	v_cmp_eq_u64_e32 vcc_lo, 0, v[0:1]
	v_cndmask_b32_e32 v1, v1, v10, vcc_lo
	v_cndmask_b32_e32 v0, v0, v9, vcc_lo
	v_and_b32_e32 v3, v1, v3
	v_and_b32_e32 v2, v0, v2
	v_mul_lo_u32 v3, v3, 24
	v_mul_hi_u32 v9, v2, 24
	v_mul_lo_u32 v2, v2, 24
	v_add_nc_u32_e32 v3, v9, v3
	s_waitcnt vmcnt(0)
	v_add_co_u32 v4, vcc_lo, v4, v2
	v_mov_b32_e32 v2, v7
	v_add_co_ci_u32_e32 v5, vcc_lo, v5, v3, vcc_lo
	v_mov_b32_e32 v3, v8
	global_store_dwordx2 v[4:5], v[7:8], off
	s_waitcnt_vscnt null, 0x0
	global_atomic_cmpswap_x2 v[2:3], v6, v[0:3], s[26:27] offset:24 glc
	s_waitcnt vmcnt(0)
	v_cmp_ne_u64_e32 vcc_lo, v[2:3], v[7:8]
	s_and_b32 exec_lo, exec_lo, vcc_lo
	s_cbranch_execz .LBB6_1120
; %bb.1118:
	s_mov_b32 s4, 0
.LBB6_1119:                             ; =>This Inner Loop Header: Depth=1
	s_sleep 1
	global_store_dwordx2 v[4:5], v[2:3], off
	s_waitcnt_vscnt null, 0x0
	global_atomic_cmpswap_x2 v[7:8], v6, v[0:3], s[26:27] offset:24 glc
	s_waitcnt vmcnt(0)
	v_cmp_eq_u64_e32 vcc_lo, v[7:8], v[2:3]
	v_mov_b32_e32 v2, v7
	v_mov_b32_e32 v3, v8
	s_or_b32 s4, vcc_lo, s4
	s_andn2_b32 exec_lo, exec_lo, s4
	s_cbranch_execnz .LBB6_1119
.LBB6_1120:
	s_or_b32 exec_lo, exec_lo, s5
	v_readfirstlane_b32 s4, v49
	v_mov_b32_e32 v6, 0
	v_mov_b32_e32 v7, 0
	v_cmp_eq_u32_e64 s4, s4, v49
	s_and_saveexec_b32 s5, s4
	s_cbranch_execz .LBB6_1126
; %bb.1121:
	v_mov_b32_e32 v0, 0
	s_mov_b32 s6, exec_lo
	global_load_dwordx2 v[3:4], v0, s[26:27] offset:24 glc dlc
	s_waitcnt vmcnt(0)
	buffer_gl1_inv
	buffer_gl0_inv
	s_clause 0x1
	global_load_dwordx2 v[1:2], v0, s[26:27] offset:40
	global_load_dwordx2 v[5:6], v0, s[26:27]
	s_waitcnt vmcnt(1)
	v_and_b32_e32 v2, v2, v4
	v_and_b32_e32 v1, v1, v3
	v_mul_lo_u32 v2, v2, 24
	v_mul_hi_u32 v7, v1, 24
	v_mul_lo_u32 v1, v1, 24
	v_add_nc_u32_e32 v2, v7, v2
	s_waitcnt vmcnt(0)
	v_add_co_u32 v1, vcc_lo, v5, v1
	v_add_co_ci_u32_e32 v2, vcc_lo, v6, v2, vcc_lo
	global_load_dwordx2 v[1:2], v[1:2], off glc dlc
	s_waitcnt vmcnt(0)
	global_atomic_cmpswap_x2 v[6:7], v0, v[1:4], s[26:27] offset:24 glc
	s_waitcnt vmcnt(0)
	buffer_gl1_inv
	buffer_gl0_inv
	v_cmpx_ne_u64_e64 v[6:7], v[3:4]
	s_cbranch_execz .LBB6_1125
; %bb.1122:
	s_mov_b32 s7, 0
	.p2align	6
.LBB6_1123:                             ; =>This Inner Loop Header: Depth=1
	s_sleep 1
	s_clause 0x1
	global_load_dwordx2 v[1:2], v0, s[26:27] offset:40
	global_load_dwordx2 v[8:9], v0, s[26:27]
	v_mov_b32_e32 v3, v6
	v_mov_b32_e32 v4, v7
	s_waitcnt vmcnt(1)
	v_and_b32_e32 v1, v1, v3
	v_and_b32_e32 v2, v2, v4
	s_waitcnt vmcnt(0)
	v_mad_u64_u32 v[5:6], null, v1, 24, v[8:9]
	v_mov_b32_e32 v1, v6
	v_mad_u64_u32 v[1:2], null, v2, 24, v[1:2]
	v_mov_b32_e32 v6, v1
	global_load_dwordx2 v[1:2], v[5:6], off glc dlc
	s_waitcnt vmcnt(0)
	global_atomic_cmpswap_x2 v[6:7], v0, v[1:4], s[26:27] offset:24 glc
	s_waitcnt vmcnt(0)
	buffer_gl1_inv
	buffer_gl0_inv
	v_cmp_eq_u64_e32 vcc_lo, v[6:7], v[3:4]
	s_or_b32 s7, vcc_lo, s7
	s_andn2_b32 exec_lo, exec_lo, s7
	s_cbranch_execnz .LBB6_1123
; %bb.1124:
	s_or_b32 exec_lo, exec_lo, s7
.LBB6_1125:
	s_or_b32 exec_lo, exec_lo, s6
.LBB6_1126:
	s_or_b32 exec_lo, exec_lo, s5
	v_mov_b32_e32 v5, 0
	v_readfirstlane_b32 s6, v6
	v_readfirstlane_b32 s7, v7
	s_mov_b32 s5, exec_lo
	s_clause 0x1
	global_load_dwordx2 v[8:9], v5, s[26:27] offset:40
	global_load_dwordx4 v[0:3], v5, s[26:27]
	s_waitcnt vmcnt(1)
	v_readfirstlane_b32 s10, v8
	v_readfirstlane_b32 s11, v9
	s_and_b64 s[10:11], s[6:7], s[10:11]
	s_mul_i32 s16, s11, 24
	s_mul_hi_u32 s17, s10, 24
	s_mul_i32 s18, s10, 24
	s_add_i32 s17, s17, s16
	s_waitcnt vmcnt(0)
	v_add_co_u32 v8, vcc_lo, v0, s18
	v_add_co_ci_u32_e32 v9, vcc_lo, s17, v1, vcc_lo
	s_and_saveexec_b32 s16, s4
	s_cbranch_execz .LBB6_1128
; %bb.1127:
	v_mov_b32_e32 v4, s5
	v_mov_b32_e32 v6, 2
	;; [unrolled: 1-line block ×3, first 2 shown]
	global_store_dwordx4 v[8:9], v[4:7], off offset:8
.LBB6_1128:
	s_or_b32 exec_lo, exec_lo, s16
	s_lshl_b64 s[10:11], s[10:11], 12
	s_mov_b32 s16, 0
	v_add_co_u32 v2, vcc_lo, v2, s10
	v_add_co_ci_u32_e32 v3, vcc_lo, s11, v3, vcc_lo
	s_mov_b32 s17, s16
	v_add_co_u32 v10, vcc_lo, v2, v48
	s_mov_b32 s18, s16
	s_mov_b32 s19, s16
	v_mov_b32_e32 v4, 33
	v_mov_b32_e32 v6, v5
	v_mov_b32_e32 v7, v5
	v_readfirstlane_b32 s10, v2
	v_readfirstlane_b32 s11, v3
	v_mov_b32_e32 v12, s16
	v_add_co_ci_u32_e32 v11, vcc_lo, 0, v3, vcc_lo
	v_mov_b32_e32 v13, s17
	v_mov_b32_e32 v14, s18
	;; [unrolled: 1-line block ×3, first 2 shown]
	global_store_dwordx4 v48, v[4:7], s[10:11]
	global_store_dwordx4 v48, v[12:15], s[10:11] offset:16
	global_store_dwordx4 v48, v[12:15], s[10:11] offset:32
	;; [unrolled: 1-line block ×3, first 2 shown]
	s_and_saveexec_b32 s5, s4
	s_cbranch_execz .LBB6_1136
; %bb.1129:
	v_mov_b32_e32 v6, 0
	v_mov_b32_e32 v12, s6
	;; [unrolled: 1-line block ×3, first 2 shown]
	s_clause 0x1
	global_load_dwordx2 v[14:15], v6, s[26:27] offset:32 glc dlc
	global_load_dwordx2 v[2:3], v6, s[26:27] offset:40
	s_waitcnt vmcnt(0)
	v_readfirstlane_b32 s10, v2
	v_readfirstlane_b32 s11, v3
	s_and_b64 s[10:11], s[10:11], s[6:7]
	s_mul_i32 s11, s11, 24
	s_mul_hi_u32 s16, s10, 24
	s_mul_i32 s10, s10, 24
	s_add_i32 s16, s16, s11
	v_add_co_u32 v4, vcc_lo, v0, s10
	v_add_co_ci_u32_e32 v5, vcc_lo, s16, v1, vcc_lo
	s_mov_b32 s10, exec_lo
	global_store_dwordx2 v[4:5], v[14:15], off
	s_waitcnt_vscnt null, 0x0
	global_atomic_cmpswap_x2 v[2:3], v6, v[12:15], s[26:27] offset:32 glc
	s_waitcnt vmcnt(0)
	v_cmpx_ne_u64_e64 v[2:3], v[14:15]
	s_cbranch_execz .LBB6_1132
; %bb.1130:
	s_mov_b32 s11, 0
.LBB6_1131:                             ; =>This Inner Loop Header: Depth=1
	v_mov_b32_e32 v0, s6
	v_mov_b32_e32 v1, s7
	s_sleep 1
	global_store_dwordx2 v[4:5], v[2:3], off
	s_waitcnt_vscnt null, 0x0
	global_atomic_cmpswap_x2 v[0:1], v6, v[0:3], s[26:27] offset:32 glc
	s_waitcnt vmcnt(0)
	v_cmp_eq_u64_e32 vcc_lo, v[0:1], v[2:3]
	v_mov_b32_e32 v3, v1
	v_mov_b32_e32 v2, v0
	s_or_b32 s11, vcc_lo, s11
	s_andn2_b32 exec_lo, exec_lo, s11
	s_cbranch_execnz .LBB6_1131
.LBB6_1132:
	s_or_b32 exec_lo, exec_lo, s10
	v_mov_b32_e32 v3, 0
	s_mov_b32 s11, exec_lo
	s_mov_b32 s10, exec_lo
	v_mbcnt_lo_u32_b32 v2, s11, 0
	global_load_dwordx2 v[0:1], v3, s[26:27] offset:16
	v_cmpx_eq_u32_e32 0, v2
	s_cbranch_execz .LBB6_1134
; %bb.1133:
	s_bcnt1_i32_b32 s11, s11
	v_mov_b32_e32 v2, s11
	s_waitcnt vmcnt(0)
	global_atomic_add_x2 v[0:1], v[2:3], off offset:8
.LBB6_1134:
	s_or_b32 exec_lo, exec_lo, s10
	s_waitcnt vmcnt(0)
	global_load_dwordx2 v[2:3], v[0:1], off offset:16
	s_waitcnt vmcnt(0)
	v_cmp_eq_u64_e32 vcc_lo, 0, v[2:3]
	s_cbranch_vccnz .LBB6_1136
; %bb.1135:
	global_load_dword v0, v[0:1], off offset:24
	v_mov_b32_e32 v1, 0
	s_waitcnt vmcnt(0)
	v_and_b32_e32 v4, 0x7fffff, v0
	s_waitcnt_vscnt null, 0x0
	global_store_dwordx2 v[2:3], v[0:1], off
	v_readfirstlane_b32 m0, v4
	s_sendmsg sendmsg(MSG_INTERRUPT)
.LBB6_1136:
	s_or_b32 exec_lo, exec_lo, s5
	s_branch .LBB6_1140
	.p2align	6
.LBB6_1137:                             ;   in Loop: Header=BB6_1140 Depth=1
	s_or_b32 exec_lo, exec_lo, s5
	v_readfirstlane_b32 s5, v0
	s_cmp_eq_u32 s5, 0
	s_cbranch_scc1 .LBB6_1139
; %bb.1138:                             ;   in Loop: Header=BB6_1140 Depth=1
	s_sleep 1
	s_cbranch_execnz .LBB6_1140
	s_branch .LBB6_1142
	.p2align	6
.LBB6_1139:
	s_branch .LBB6_1142
.LBB6_1140:                             ; =>This Inner Loop Header: Depth=1
	v_mov_b32_e32 v0, 1
	s_and_saveexec_b32 s5, s4
	s_cbranch_execz .LBB6_1137
; %bb.1141:                             ;   in Loop: Header=BB6_1140 Depth=1
	global_load_dword v0, v[8:9], off offset:20 glc dlc
	s_waitcnt vmcnt(0)
	buffer_gl1_inv
	buffer_gl0_inv
	v_and_b32_e32 v0, 1, v0
	s_branch .LBB6_1137
.LBB6_1142:
	global_load_dwordx2 v[0:1], v[10:11], off
	s_and_saveexec_b32 s5, s4
	s_cbranch_execz .LBB6_1146
; %bb.1143:
	v_mov_b32_e32 v8, 0
	s_clause 0x2
	global_load_dwordx2 v[4:5], v8, s[26:27] offset:40
	global_load_dwordx2 v[9:10], v8, s[26:27] offset:24 glc dlc
	global_load_dwordx2 v[6:7], v8, s[26:27]
	s_waitcnt vmcnt(2)
	v_add_co_u32 v11, vcc_lo, v4, 1
	v_add_co_ci_u32_e32 v12, vcc_lo, 0, v5, vcc_lo
	v_add_co_u32 v2, vcc_lo, v11, s6
	v_add_co_ci_u32_e32 v3, vcc_lo, s7, v12, vcc_lo
	v_cmp_eq_u64_e32 vcc_lo, 0, v[2:3]
	v_cndmask_b32_e32 v3, v3, v12, vcc_lo
	v_cndmask_b32_e32 v2, v2, v11, vcc_lo
	v_and_b32_e32 v5, v3, v5
	v_and_b32_e32 v4, v2, v4
	v_mul_lo_u32 v5, v5, 24
	v_mul_hi_u32 v11, v4, 24
	v_mul_lo_u32 v4, v4, 24
	v_add_nc_u32_e32 v5, v11, v5
	s_waitcnt vmcnt(0)
	v_add_co_u32 v6, vcc_lo, v6, v4
	v_mov_b32_e32 v4, v9
	v_add_co_ci_u32_e32 v7, vcc_lo, v7, v5, vcc_lo
	v_mov_b32_e32 v5, v10
	global_store_dwordx2 v[6:7], v[9:10], off
	s_waitcnt_vscnt null, 0x0
	global_atomic_cmpswap_x2 v[4:5], v8, v[2:5], s[26:27] offset:24 glc
	s_waitcnt vmcnt(0)
	v_cmp_ne_u64_e32 vcc_lo, v[4:5], v[9:10]
	s_and_b32 exec_lo, exec_lo, vcc_lo
	s_cbranch_execz .LBB6_1146
; %bb.1144:
	s_mov_b32 s4, 0
.LBB6_1145:                             ; =>This Inner Loop Header: Depth=1
	s_sleep 1
	global_store_dwordx2 v[6:7], v[4:5], off
	s_waitcnt_vscnt null, 0x0
	global_atomic_cmpswap_x2 v[9:10], v8, v[2:5], s[26:27] offset:24 glc
	s_waitcnt vmcnt(0)
	v_cmp_eq_u64_e32 vcc_lo, v[9:10], v[4:5]
	v_mov_b32_e32 v4, v9
	v_mov_b32_e32 v5, v10
	s_or_b32 s4, vcc_lo, s4
	s_andn2_b32 exec_lo, exec_lo, s4
	s_cbranch_execnz .LBB6_1145
.LBB6_1146:
	s_or_b32 exec_lo, exec_lo, s5
	s_and_b32 vcc_lo, exec_lo, s34
	s_cbranch_vccz .LBB6_1225
; %bb.1147:
	s_waitcnt vmcnt(0)
	v_and_b32_e32 v31, 2, v0
	v_mov_b32_e32 v6, 0
	v_and_b32_e32 v2, -3, v0
	v_mov_b32_e32 v3, v1
	v_mov_b32_e32 v7, 2
	;; [unrolled: 1-line block ×3, first 2 shown]
	s_mov_b64 s[10:11], 3
	s_getpc_b64 s[6:7]
	s_add_u32 s6, s6, .str.6@rel32@lo+4
	s_addc_u32 s7, s7, .str.6@rel32@hi+12
	s_branch .LBB6_1149
.LBB6_1148:                             ;   in Loop: Header=BB6_1149 Depth=1
	s_or_b32 exec_lo, exec_lo, s5
	s_sub_u32 s10, s10, s16
	s_subb_u32 s11, s11, s17
	s_add_u32 s6, s6, s16
	s_addc_u32 s7, s7, s17
	s_cmp_lg_u64 s[10:11], 0
	s_cbranch_scc0 .LBB6_1224
.LBB6_1149:                             ; =>This Loop Header: Depth=1
                                        ;     Child Loop BB6_1158 Depth 2
                                        ;     Child Loop BB6_1154 Depth 2
	;; [unrolled: 1-line block ×11, first 2 shown]
	v_cmp_lt_u64_e64 s4, s[10:11], 56
	v_cmp_gt_u64_e64 s5, s[10:11], 7
                                        ; implicit-def: $vgpr11_vgpr12
                                        ; implicit-def: $sgpr22
	s_and_b32 s4, s4, exec_lo
	s_cselect_b32 s17, s11, 0
	s_cselect_b32 s16, s10, 56
	s_and_b32 vcc_lo, exec_lo, s5
	s_mov_b32 s4, -1
	s_cbranch_vccz .LBB6_1156
; %bb.1150:                             ;   in Loop: Header=BB6_1149 Depth=1
	s_andn2_b32 vcc_lo, exec_lo, s4
	s_mov_b64 s[4:5], s[6:7]
	s_cbranch_vccz .LBB6_1160
.LBB6_1151:                             ;   in Loop: Header=BB6_1149 Depth=1
	s_cmp_gt_u32 s22, 7
	s_cbranch_scc1 .LBB6_1161
.LBB6_1152:                             ;   in Loop: Header=BB6_1149 Depth=1
	v_mov_b32_e32 v13, 0
	v_mov_b32_e32 v14, 0
	s_cmp_eq_u32 s22, 0
	s_cbranch_scc1 .LBB6_1155
; %bb.1153:                             ;   in Loop: Header=BB6_1149 Depth=1
	s_mov_b64 s[18:19], 0
	s_mov_b64 s[20:21], 0
.LBB6_1154:                             ;   Parent Loop BB6_1149 Depth=1
                                        ; =>  This Inner Loop Header: Depth=2
	s_add_u32 s24, s4, s20
	s_addc_u32 s25, s5, s21
	s_add_u32 s20, s20, 1
	global_load_ubyte v4, v6, s[24:25]
	s_addc_u32 s21, s21, 0
	s_waitcnt vmcnt(0)
	v_and_b32_e32 v5, 0xffff, v4
	v_lshlrev_b64 v[4:5], s18, v[5:6]
	s_add_u32 s18, s18, 8
	s_addc_u32 s19, s19, 0
	s_cmp_lg_u32 s22, s20
	v_or_b32_e32 v13, v4, v13
	v_or_b32_e32 v14, v5, v14
	s_cbranch_scc1 .LBB6_1154
.LBB6_1155:                             ;   in Loop: Header=BB6_1149 Depth=1
	s_mov_b32 s23, 0
	s_cbranch_execz .LBB6_1162
	s_branch .LBB6_1163
.LBB6_1156:                             ;   in Loop: Header=BB6_1149 Depth=1
	v_mov_b32_e32 v11, 0
	v_mov_b32_e32 v12, 0
	s_cmp_eq_u64 s[10:11], 0
	s_mov_b64 s[4:5], 0
	s_cbranch_scc1 .LBB6_1159
; %bb.1157:                             ;   in Loop: Header=BB6_1149 Depth=1
	v_mov_b32_e32 v11, 0
	v_mov_b32_e32 v12, 0
	s_lshl_b64 s[18:19], s[16:17], 3
	s_mov_b64 s[20:21], s[6:7]
.LBB6_1158:                             ;   Parent Loop BB6_1149 Depth=1
                                        ; =>  This Inner Loop Header: Depth=2
	global_load_ubyte v4, v6, s[20:21]
	s_waitcnt vmcnt(0)
	v_and_b32_e32 v5, 0xffff, v4
	v_lshlrev_b64 v[4:5], s4, v[5:6]
	s_add_u32 s4, s4, 8
	s_addc_u32 s5, s5, 0
	s_add_u32 s20, s20, 1
	s_addc_u32 s21, s21, 0
	s_cmp_lg_u32 s18, s4
	v_or_b32_e32 v11, v4, v11
	v_or_b32_e32 v12, v5, v12
	s_cbranch_scc1 .LBB6_1158
.LBB6_1159:                             ;   in Loop: Header=BB6_1149 Depth=1
	s_mov_b32 s22, 0
	s_mov_b64 s[4:5], s[6:7]
	s_cbranch_execnz .LBB6_1151
.LBB6_1160:                             ;   in Loop: Header=BB6_1149 Depth=1
	global_load_dwordx2 v[11:12], v6, s[6:7]
	s_add_i32 s22, s16, -8
	s_add_u32 s4, s6, 8
	s_addc_u32 s5, s7, 0
	s_cmp_gt_u32 s22, 7
	s_cbranch_scc0 .LBB6_1152
.LBB6_1161:                             ;   in Loop: Header=BB6_1149 Depth=1
                                        ; implicit-def: $vgpr13_vgpr14
                                        ; implicit-def: $sgpr23
.LBB6_1162:                             ;   in Loop: Header=BB6_1149 Depth=1
	global_load_dwordx2 v[13:14], v6, s[4:5]
	s_add_i32 s23, s22, -8
	s_add_u32 s4, s4, 8
	s_addc_u32 s5, s5, 0
.LBB6_1163:                             ;   in Loop: Header=BB6_1149 Depth=1
	s_cmp_gt_u32 s23, 7
	s_cbranch_scc1 .LBB6_1168
; %bb.1164:                             ;   in Loop: Header=BB6_1149 Depth=1
	v_mov_b32_e32 v15, 0
	v_mov_b32_e32 v16, 0
	s_cmp_eq_u32 s23, 0
	s_cbranch_scc1 .LBB6_1167
; %bb.1165:                             ;   in Loop: Header=BB6_1149 Depth=1
	s_mov_b64 s[18:19], 0
	s_mov_b64 s[20:21], 0
.LBB6_1166:                             ;   Parent Loop BB6_1149 Depth=1
                                        ; =>  This Inner Loop Header: Depth=2
	s_add_u32 s24, s4, s20
	s_addc_u32 s25, s5, s21
	s_add_u32 s20, s20, 1
	global_load_ubyte v4, v6, s[24:25]
	s_addc_u32 s21, s21, 0
	s_waitcnt vmcnt(0)
	v_and_b32_e32 v5, 0xffff, v4
	v_lshlrev_b64 v[4:5], s18, v[5:6]
	s_add_u32 s18, s18, 8
	s_addc_u32 s19, s19, 0
	s_cmp_lg_u32 s23, s20
	v_or_b32_e32 v15, v4, v15
	v_or_b32_e32 v16, v5, v16
	s_cbranch_scc1 .LBB6_1166
.LBB6_1167:                             ;   in Loop: Header=BB6_1149 Depth=1
	s_mov_b32 s22, 0
	s_cbranch_execz .LBB6_1169
	s_branch .LBB6_1170
.LBB6_1168:                             ;   in Loop: Header=BB6_1149 Depth=1
                                        ; implicit-def: $sgpr22
.LBB6_1169:                             ;   in Loop: Header=BB6_1149 Depth=1
	global_load_dwordx2 v[15:16], v6, s[4:5]
	s_add_i32 s22, s23, -8
	s_add_u32 s4, s4, 8
	s_addc_u32 s5, s5, 0
.LBB6_1170:                             ;   in Loop: Header=BB6_1149 Depth=1
	s_cmp_gt_u32 s22, 7
	s_cbranch_scc1 .LBB6_1175
; %bb.1171:                             ;   in Loop: Header=BB6_1149 Depth=1
	v_mov_b32_e32 v17, 0
	v_mov_b32_e32 v18, 0
	s_cmp_eq_u32 s22, 0
	s_cbranch_scc1 .LBB6_1174
; %bb.1172:                             ;   in Loop: Header=BB6_1149 Depth=1
	s_mov_b64 s[18:19], 0
	s_mov_b64 s[20:21], 0
.LBB6_1173:                             ;   Parent Loop BB6_1149 Depth=1
                                        ; =>  This Inner Loop Header: Depth=2
	s_add_u32 s24, s4, s20
	s_addc_u32 s25, s5, s21
	s_add_u32 s20, s20, 1
	global_load_ubyte v4, v6, s[24:25]
	s_addc_u32 s21, s21, 0
	s_waitcnt vmcnt(0)
	v_and_b32_e32 v5, 0xffff, v4
	v_lshlrev_b64 v[4:5], s18, v[5:6]
	s_add_u32 s18, s18, 8
	s_addc_u32 s19, s19, 0
	s_cmp_lg_u32 s22, s20
	v_or_b32_e32 v17, v4, v17
	v_or_b32_e32 v18, v5, v18
	s_cbranch_scc1 .LBB6_1173
.LBB6_1174:                             ;   in Loop: Header=BB6_1149 Depth=1
	s_mov_b32 s23, 0
	s_cbranch_execz .LBB6_1176
	s_branch .LBB6_1177
.LBB6_1175:                             ;   in Loop: Header=BB6_1149 Depth=1
                                        ; implicit-def: $vgpr17_vgpr18
                                        ; implicit-def: $sgpr23
.LBB6_1176:                             ;   in Loop: Header=BB6_1149 Depth=1
	global_load_dwordx2 v[17:18], v6, s[4:5]
	s_add_i32 s23, s22, -8
	s_add_u32 s4, s4, 8
	s_addc_u32 s5, s5, 0
.LBB6_1177:                             ;   in Loop: Header=BB6_1149 Depth=1
	s_cmp_gt_u32 s23, 7
	s_cbranch_scc1 .LBB6_1182
; %bb.1178:                             ;   in Loop: Header=BB6_1149 Depth=1
	v_mov_b32_e32 v19, 0
	v_mov_b32_e32 v20, 0
	s_cmp_eq_u32 s23, 0
	s_cbranch_scc1 .LBB6_1181
; %bb.1179:                             ;   in Loop: Header=BB6_1149 Depth=1
	s_mov_b64 s[18:19], 0
	s_mov_b64 s[20:21], 0
.LBB6_1180:                             ;   Parent Loop BB6_1149 Depth=1
                                        ; =>  This Inner Loop Header: Depth=2
	s_add_u32 s24, s4, s20
	s_addc_u32 s25, s5, s21
	s_add_u32 s20, s20, 1
	global_load_ubyte v4, v6, s[24:25]
	s_addc_u32 s21, s21, 0
	s_waitcnt vmcnt(0)
	v_and_b32_e32 v5, 0xffff, v4
	v_lshlrev_b64 v[4:5], s18, v[5:6]
	s_add_u32 s18, s18, 8
	s_addc_u32 s19, s19, 0
	s_cmp_lg_u32 s23, s20
	v_or_b32_e32 v19, v4, v19
	v_or_b32_e32 v20, v5, v20
	s_cbranch_scc1 .LBB6_1180
.LBB6_1181:                             ;   in Loop: Header=BB6_1149 Depth=1
	s_mov_b32 s22, 0
	s_cbranch_execz .LBB6_1183
	s_branch .LBB6_1184
.LBB6_1182:                             ;   in Loop: Header=BB6_1149 Depth=1
                                        ; implicit-def: $sgpr22
.LBB6_1183:                             ;   in Loop: Header=BB6_1149 Depth=1
	global_load_dwordx2 v[19:20], v6, s[4:5]
	s_add_i32 s22, s23, -8
	s_add_u32 s4, s4, 8
	s_addc_u32 s5, s5, 0
.LBB6_1184:                             ;   in Loop: Header=BB6_1149 Depth=1
	s_cmp_gt_u32 s22, 7
	s_cbranch_scc1 .LBB6_1189
; %bb.1185:                             ;   in Loop: Header=BB6_1149 Depth=1
	v_mov_b32_e32 v21, 0
	v_mov_b32_e32 v22, 0
	s_cmp_eq_u32 s22, 0
	s_cbranch_scc1 .LBB6_1188
; %bb.1186:                             ;   in Loop: Header=BB6_1149 Depth=1
	s_mov_b64 s[18:19], 0
	s_mov_b64 s[20:21], 0
.LBB6_1187:                             ;   Parent Loop BB6_1149 Depth=1
                                        ; =>  This Inner Loop Header: Depth=2
	s_add_u32 s24, s4, s20
	s_addc_u32 s25, s5, s21
	s_add_u32 s20, s20, 1
	global_load_ubyte v4, v6, s[24:25]
	s_addc_u32 s21, s21, 0
	s_waitcnt vmcnt(0)
	v_and_b32_e32 v5, 0xffff, v4
	v_lshlrev_b64 v[4:5], s18, v[5:6]
	s_add_u32 s18, s18, 8
	s_addc_u32 s19, s19, 0
	s_cmp_lg_u32 s22, s20
	v_or_b32_e32 v21, v4, v21
	v_or_b32_e32 v22, v5, v22
	s_cbranch_scc1 .LBB6_1187
.LBB6_1188:                             ;   in Loop: Header=BB6_1149 Depth=1
	s_mov_b32 s23, 0
	s_cbranch_execz .LBB6_1190
	s_branch .LBB6_1191
.LBB6_1189:                             ;   in Loop: Header=BB6_1149 Depth=1
                                        ; implicit-def: $vgpr21_vgpr22
                                        ; implicit-def: $sgpr23
.LBB6_1190:                             ;   in Loop: Header=BB6_1149 Depth=1
	global_load_dwordx2 v[21:22], v6, s[4:5]
	s_add_i32 s23, s22, -8
	s_add_u32 s4, s4, 8
	s_addc_u32 s5, s5, 0
.LBB6_1191:                             ;   in Loop: Header=BB6_1149 Depth=1
	s_cmp_gt_u32 s23, 7
	s_cbranch_scc1 .LBB6_1196
; %bb.1192:                             ;   in Loop: Header=BB6_1149 Depth=1
	v_mov_b32_e32 v23, 0
	v_mov_b32_e32 v24, 0
	s_cmp_eq_u32 s23, 0
	s_cbranch_scc1 .LBB6_1195
; %bb.1193:                             ;   in Loop: Header=BB6_1149 Depth=1
	s_mov_b64 s[18:19], 0
	s_mov_b64 s[20:21], s[4:5]
.LBB6_1194:                             ;   Parent Loop BB6_1149 Depth=1
                                        ; =>  This Inner Loop Header: Depth=2
	global_load_ubyte v4, v6, s[20:21]
	s_add_i32 s23, s23, -1
	s_waitcnt vmcnt(0)
	v_and_b32_e32 v5, 0xffff, v4
	v_lshlrev_b64 v[4:5], s18, v[5:6]
	s_add_u32 s18, s18, 8
	s_addc_u32 s19, s19, 0
	s_add_u32 s20, s20, 1
	s_addc_u32 s21, s21, 0
	s_cmp_lg_u32 s23, 0
	v_or_b32_e32 v23, v4, v23
	v_or_b32_e32 v24, v5, v24
	s_cbranch_scc1 .LBB6_1194
.LBB6_1195:                             ;   in Loop: Header=BB6_1149 Depth=1
	s_cbranch_execz .LBB6_1197
	s_branch .LBB6_1198
.LBB6_1196:                             ;   in Loop: Header=BB6_1149 Depth=1
.LBB6_1197:                             ;   in Loop: Header=BB6_1149 Depth=1
	global_load_dwordx2 v[23:24], v6, s[4:5]
.LBB6_1198:                             ;   in Loop: Header=BB6_1149 Depth=1
	v_readfirstlane_b32 s4, v49
	s_waitcnt vmcnt(0)
	v_mov_b32_e32 v4, 0
	v_mov_b32_e32 v5, 0
	v_cmp_eq_u32_e64 s4, s4, v49
	s_and_saveexec_b32 s5, s4
	s_cbranch_execz .LBB6_1204
; %bb.1199:                             ;   in Loop: Header=BB6_1149 Depth=1
	global_load_dwordx2 v[27:28], v6, s[26:27] offset:24 glc dlc
	s_waitcnt vmcnt(0)
	buffer_gl1_inv
	buffer_gl0_inv
	s_clause 0x1
	global_load_dwordx2 v[4:5], v6, s[26:27] offset:40
	global_load_dwordx2 v[9:10], v6, s[26:27]
	s_mov_b32 s18, exec_lo
	s_waitcnt vmcnt(1)
	v_and_b32_e32 v5, v5, v28
	v_and_b32_e32 v4, v4, v27
	v_mul_lo_u32 v5, v5, 24
	v_mul_hi_u32 v25, v4, 24
	v_mul_lo_u32 v4, v4, 24
	v_add_nc_u32_e32 v5, v25, v5
	s_waitcnt vmcnt(0)
	v_add_co_u32 v4, vcc_lo, v9, v4
	v_add_co_ci_u32_e32 v5, vcc_lo, v10, v5, vcc_lo
	global_load_dwordx2 v[25:26], v[4:5], off glc dlc
	s_waitcnt vmcnt(0)
	global_atomic_cmpswap_x2 v[4:5], v6, v[25:28], s[26:27] offset:24 glc
	s_waitcnt vmcnt(0)
	buffer_gl1_inv
	buffer_gl0_inv
	v_cmpx_ne_u64_e64 v[4:5], v[27:28]
	s_cbranch_execz .LBB6_1203
; %bb.1200:                             ;   in Loop: Header=BB6_1149 Depth=1
	s_mov_b32 s19, 0
	.p2align	6
.LBB6_1201:                             ;   Parent Loop BB6_1149 Depth=1
                                        ; =>  This Inner Loop Header: Depth=2
	s_sleep 1
	s_clause 0x1
	global_load_dwordx2 v[9:10], v6, s[26:27] offset:40
	global_load_dwordx2 v[25:26], v6, s[26:27]
	v_mov_b32_e32 v28, v5
	v_mov_b32_e32 v27, v4
	s_waitcnt vmcnt(1)
	v_and_b32_e32 v4, v9, v27
	v_and_b32_e32 v9, v10, v28
	s_waitcnt vmcnt(0)
	v_mad_u64_u32 v[4:5], null, v4, 24, v[25:26]
	v_mad_u64_u32 v[9:10], null, v9, 24, v[5:6]
	v_mov_b32_e32 v5, v9
	global_load_dwordx2 v[25:26], v[4:5], off glc dlc
	s_waitcnt vmcnt(0)
	global_atomic_cmpswap_x2 v[4:5], v6, v[25:28], s[26:27] offset:24 glc
	s_waitcnt vmcnt(0)
	buffer_gl1_inv
	buffer_gl0_inv
	v_cmp_eq_u64_e32 vcc_lo, v[4:5], v[27:28]
	s_or_b32 s19, vcc_lo, s19
	s_andn2_b32 exec_lo, exec_lo, s19
	s_cbranch_execnz .LBB6_1201
; %bb.1202:                             ;   in Loop: Header=BB6_1149 Depth=1
	s_or_b32 exec_lo, exec_lo, s19
.LBB6_1203:                             ;   in Loop: Header=BB6_1149 Depth=1
	s_or_b32 exec_lo, exec_lo, s18
.LBB6_1204:                             ;   in Loop: Header=BB6_1149 Depth=1
	s_or_b32 exec_lo, exec_lo, s5
	s_clause 0x1
	global_load_dwordx2 v[9:10], v6, s[26:27] offset:40
	global_load_dwordx4 v[25:28], v6, s[26:27]
	v_readfirstlane_b32 s18, v4
	v_readfirstlane_b32 s19, v5
	s_mov_b32 s5, exec_lo
	s_waitcnt vmcnt(1)
	v_readfirstlane_b32 s20, v9
	v_readfirstlane_b32 s21, v10
	s_and_b64 s[20:21], s[18:19], s[20:21]
	s_mul_i32 s22, s21, 24
	s_mul_hi_u32 s23, s20, 24
	s_mul_i32 s24, s20, 24
	s_add_i32 s23, s23, s22
	s_waitcnt vmcnt(0)
	v_add_co_u32 v29, vcc_lo, v25, s24
	v_add_co_ci_u32_e32 v30, vcc_lo, s23, v26, vcc_lo
	s_and_saveexec_b32 s22, s4
	s_cbranch_execz .LBB6_1206
; %bb.1205:                             ;   in Loop: Header=BB6_1149 Depth=1
	v_mov_b32_e32 v5, s5
	global_store_dwordx4 v[29:30], v[5:8], off offset:8
.LBB6_1206:                             ;   in Loop: Header=BB6_1149 Depth=1
	s_or_b32 exec_lo, exec_lo, s22
	s_lshl_b64 s[20:21], s[20:21], 12
	v_cmp_gt_u64_e64 vcc_lo, s[10:11], 56
	v_or_b32_e32 v5, v2, v31
	v_add_co_u32 v27, s5, v27, s20
	v_add_co_ci_u32_e64 v28, s5, s21, v28, s5
	s_lshl_b32 s5, s16, 2
	v_or_b32_e32 v4, 0, v3
	v_cndmask_b32_e32 v2, v5, v2, vcc_lo
	s_add_i32 s5, s5, 28
	v_readfirstlane_b32 s20, v27
	s_and_b32 s5, s5, 0x1e0
	v_cndmask_b32_e32 v10, v4, v3, vcc_lo
	v_readfirstlane_b32 s21, v28
	v_and_or_b32 v9, 0xffffff1f, v2, s5
	global_store_dwordx4 v48, v[9:12], s[20:21]
	global_store_dwordx4 v48, v[13:16], s[20:21] offset:16
	global_store_dwordx4 v48, v[17:20], s[20:21] offset:32
	;; [unrolled: 1-line block ×3, first 2 shown]
	s_and_saveexec_b32 s5, s4
	s_cbranch_execz .LBB6_1214
; %bb.1207:                             ;   in Loop: Header=BB6_1149 Depth=1
	s_clause 0x1
	global_load_dwordx2 v[13:14], v6, s[26:27] offset:32 glc dlc
	global_load_dwordx2 v[2:3], v6, s[26:27] offset:40
	v_mov_b32_e32 v11, s18
	v_mov_b32_e32 v12, s19
	s_waitcnt vmcnt(0)
	v_readfirstlane_b32 s20, v2
	v_readfirstlane_b32 s21, v3
	s_and_b64 s[20:21], s[20:21], s[18:19]
	s_mul_i32 s21, s21, 24
	s_mul_hi_u32 s22, s20, 24
	s_mul_i32 s20, s20, 24
	s_add_i32 s22, s22, s21
	v_add_co_u32 v9, vcc_lo, v25, s20
	v_add_co_ci_u32_e32 v10, vcc_lo, s22, v26, vcc_lo
	s_mov_b32 s20, exec_lo
	global_store_dwordx2 v[9:10], v[13:14], off
	s_waitcnt_vscnt null, 0x0
	global_atomic_cmpswap_x2 v[4:5], v6, v[11:14], s[26:27] offset:32 glc
	s_waitcnt vmcnt(0)
	v_cmpx_ne_u64_e64 v[4:5], v[13:14]
	s_cbranch_execz .LBB6_1210
; %bb.1208:                             ;   in Loop: Header=BB6_1149 Depth=1
	s_mov_b32 s21, 0
.LBB6_1209:                             ;   Parent Loop BB6_1149 Depth=1
                                        ; =>  This Inner Loop Header: Depth=2
	v_mov_b32_e32 v2, s18
	v_mov_b32_e32 v3, s19
	s_sleep 1
	global_store_dwordx2 v[9:10], v[4:5], off
	s_waitcnt_vscnt null, 0x0
	global_atomic_cmpswap_x2 v[2:3], v6, v[2:5], s[26:27] offset:32 glc
	s_waitcnt vmcnt(0)
	v_cmp_eq_u64_e32 vcc_lo, v[2:3], v[4:5]
	v_mov_b32_e32 v5, v3
	v_mov_b32_e32 v4, v2
	s_or_b32 s21, vcc_lo, s21
	s_andn2_b32 exec_lo, exec_lo, s21
	s_cbranch_execnz .LBB6_1209
.LBB6_1210:                             ;   in Loop: Header=BB6_1149 Depth=1
	s_or_b32 exec_lo, exec_lo, s20
	global_load_dwordx2 v[2:3], v6, s[26:27] offset:16
	s_mov_b32 s21, exec_lo
	s_mov_b32 s20, exec_lo
	v_mbcnt_lo_u32_b32 v4, s21, 0
	v_cmpx_eq_u32_e32 0, v4
	s_cbranch_execz .LBB6_1212
; %bb.1211:                             ;   in Loop: Header=BB6_1149 Depth=1
	s_bcnt1_i32_b32 s21, s21
	v_mov_b32_e32 v5, s21
	s_waitcnt vmcnt(0)
	global_atomic_add_x2 v[2:3], v[5:6], off offset:8
.LBB6_1212:                             ;   in Loop: Header=BB6_1149 Depth=1
	s_or_b32 exec_lo, exec_lo, s20
	s_waitcnt vmcnt(0)
	global_load_dwordx2 v[9:10], v[2:3], off offset:16
	s_waitcnt vmcnt(0)
	v_cmp_eq_u64_e32 vcc_lo, 0, v[9:10]
	s_cbranch_vccnz .LBB6_1214
; %bb.1213:                             ;   in Loop: Header=BB6_1149 Depth=1
	global_load_dword v5, v[2:3], off offset:24
	s_waitcnt vmcnt(0)
	v_and_b32_e32 v2, 0x7fffff, v5
	s_waitcnt_vscnt null, 0x0
	global_store_dwordx2 v[9:10], v[5:6], off
	v_readfirstlane_b32 m0, v2
	s_sendmsg sendmsg(MSG_INTERRUPT)
.LBB6_1214:                             ;   in Loop: Header=BB6_1149 Depth=1
	s_or_b32 exec_lo, exec_lo, s5
	v_add_co_u32 v2, vcc_lo, v27, v48
	v_add_co_ci_u32_e32 v3, vcc_lo, 0, v28, vcc_lo
	s_branch .LBB6_1218
	.p2align	6
.LBB6_1215:                             ;   in Loop: Header=BB6_1218 Depth=2
	s_or_b32 exec_lo, exec_lo, s5
	v_readfirstlane_b32 s5, v4
	s_cmp_eq_u32 s5, 0
	s_cbranch_scc1 .LBB6_1217
; %bb.1216:                             ;   in Loop: Header=BB6_1218 Depth=2
	s_sleep 1
	s_cbranch_execnz .LBB6_1218
	s_branch .LBB6_1220
	.p2align	6
.LBB6_1217:                             ;   in Loop: Header=BB6_1149 Depth=1
	s_branch .LBB6_1220
.LBB6_1218:                             ;   Parent Loop BB6_1149 Depth=1
                                        ; =>  This Inner Loop Header: Depth=2
	v_mov_b32_e32 v4, 1
	s_and_saveexec_b32 s5, s4
	s_cbranch_execz .LBB6_1215
; %bb.1219:                             ;   in Loop: Header=BB6_1218 Depth=2
	global_load_dword v4, v[29:30], off offset:20 glc dlc
	s_waitcnt vmcnt(0)
	buffer_gl1_inv
	buffer_gl0_inv
	v_and_b32_e32 v4, 1, v4
	s_branch .LBB6_1215
.LBB6_1220:                             ;   in Loop: Header=BB6_1149 Depth=1
	global_load_dwordx4 v[2:5], v[2:3], off
	s_and_saveexec_b32 s5, s4
	s_cbranch_execz .LBB6_1148
; %bb.1221:                             ;   in Loop: Header=BB6_1149 Depth=1
	s_clause 0x2
	global_load_dwordx2 v[4:5], v6, s[26:27] offset:40
	global_load_dwordx2 v[13:14], v6, s[26:27] offset:24 glc dlc
	global_load_dwordx2 v[11:12], v6, s[26:27]
	s_waitcnt vmcnt(2)
	v_add_co_u32 v15, vcc_lo, v4, 1
	v_add_co_ci_u32_e32 v16, vcc_lo, 0, v5, vcc_lo
	v_add_co_u32 v9, vcc_lo, v15, s18
	v_add_co_ci_u32_e32 v10, vcc_lo, s19, v16, vcc_lo
	v_cmp_eq_u64_e32 vcc_lo, 0, v[9:10]
	v_cndmask_b32_e32 v10, v10, v16, vcc_lo
	v_cndmask_b32_e32 v9, v9, v15, vcc_lo
	v_and_b32_e32 v5, v10, v5
	v_and_b32_e32 v4, v9, v4
	v_mul_lo_u32 v5, v5, 24
	v_mul_hi_u32 v15, v4, 24
	v_mul_lo_u32 v4, v4, 24
	v_add_nc_u32_e32 v5, v15, v5
	s_waitcnt vmcnt(0)
	v_add_co_u32 v4, vcc_lo, v11, v4
	v_mov_b32_e32 v11, v13
	v_add_co_ci_u32_e32 v5, vcc_lo, v12, v5, vcc_lo
	v_mov_b32_e32 v12, v14
	global_store_dwordx2 v[4:5], v[13:14], off
	s_waitcnt_vscnt null, 0x0
	global_atomic_cmpswap_x2 v[11:12], v6, v[9:12], s[26:27] offset:24 glc
	s_waitcnt vmcnt(0)
	v_cmp_ne_u64_e32 vcc_lo, v[11:12], v[13:14]
	s_and_b32 exec_lo, exec_lo, vcc_lo
	s_cbranch_execz .LBB6_1148
; %bb.1222:                             ;   in Loop: Header=BB6_1149 Depth=1
	s_mov_b32 s4, 0
.LBB6_1223:                             ;   Parent Loop BB6_1149 Depth=1
                                        ; =>  This Inner Loop Header: Depth=2
	s_sleep 1
	global_store_dwordx2 v[4:5], v[11:12], off
	s_waitcnt_vscnt null, 0x0
	global_atomic_cmpswap_x2 v[13:14], v6, v[9:12], s[26:27] offset:24 glc
	s_waitcnt vmcnt(0)
	v_cmp_eq_u64_e32 vcc_lo, v[13:14], v[11:12]
	v_mov_b32_e32 v11, v13
	v_mov_b32_e32 v12, v14
	s_or_b32 s4, vcc_lo, s4
	s_andn2_b32 exec_lo, exec_lo, s4
	s_cbranch_execnz .LBB6_1223
	s_branch .LBB6_1148
.LBB6_1224:
	s_branch .LBB6_1253
.LBB6_1225:
                                        ; implicit-def: $vgpr2_vgpr3
	s_cbranch_execz .LBB6_1253
; %bb.1226:
	v_readfirstlane_b32 s4, v49
	v_mov_b32_e32 v8, 0
	v_mov_b32_e32 v9, 0
	v_cmp_eq_u32_e64 s4, s4, v49
	s_and_saveexec_b32 s5, s4
	s_cbranch_execz .LBB6_1232
; %bb.1227:
	s_waitcnt vmcnt(0)
	v_mov_b32_e32 v2, 0
	s_mov_b32 s6, exec_lo
	global_load_dwordx2 v[5:6], v2, s[26:27] offset:24 glc dlc
	s_waitcnt vmcnt(0)
	buffer_gl1_inv
	buffer_gl0_inv
	s_clause 0x1
	global_load_dwordx2 v[3:4], v2, s[26:27] offset:40
	global_load_dwordx2 v[7:8], v2, s[26:27]
	s_waitcnt vmcnt(1)
	v_and_b32_e32 v4, v4, v6
	v_and_b32_e32 v3, v3, v5
	v_mul_lo_u32 v4, v4, 24
	v_mul_hi_u32 v9, v3, 24
	v_mul_lo_u32 v3, v3, 24
	v_add_nc_u32_e32 v4, v9, v4
	s_waitcnt vmcnt(0)
	v_add_co_u32 v3, vcc_lo, v7, v3
	v_add_co_ci_u32_e32 v4, vcc_lo, v8, v4, vcc_lo
	global_load_dwordx2 v[3:4], v[3:4], off glc dlc
	s_waitcnt vmcnt(0)
	global_atomic_cmpswap_x2 v[8:9], v2, v[3:6], s[26:27] offset:24 glc
	s_waitcnt vmcnt(0)
	buffer_gl1_inv
	buffer_gl0_inv
	v_cmpx_ne_u64_e64 v[8:9], v[5:6]
	s_cbranch_execz .LBB6_1231
; %bb.1228:
	s_mov_b32 s7, 0
	.p2align	6
.LBB6_1229:                             ; =>This Inner Loop Header: Depth=1
	s_sleep 1
	s_clause 0x1
	global_load_dwordx2 v[3:4], v2, s[26:27] offset:40
	global_load_dwordx2 v[10:11], v2, s[26:27]
	v_mov_b32_e32 v5, v8
	v_mov_b32_e32 v6, v9
	s_waitcnt vmcnt(1)
	v_and_b32_e32 v3, v3, v5
	v_and_b32_e32 v4, v4, v6
	s_waitcnt vmcnt(0)
	v_mad_u64_u32 v[7:8], null, v3, 24, v[10:11]
	v_mov_b32_e32 v3, v8
	v_mad_u64_u32 v[3:4], null, v4, 24, v[3:4]
	v_mov_b32_e32 v8, v3
	global_load_dwordx2 v[3:4], v[7:8], off glc dlc
	s_waitcnt vmcnt(0)
	global_atomic_cmpswap_x2 v[8:9], v2, v[3:6], s[26:27] offset:24 glc
	s_waitcnt vmcnt(0)
	buffer_gl1_inv
	buffer_gl0_inv
	v_cmp_eq_u64_e32 vcc_lo, v[8:9], v[5:6]
	s_or_b32 s7, vcc_lo, s7
	s_andn2_b32 exec_lo, exec_lo, s7
	s_cbranch_execnz .LBB6_1229
; %bb.1230:
	s_or_b32 exec_lo, exec_lo, s7
.LBB6_1231:
	s_or_b32 exec_lo, exec_lo, s6
.LBB6_1232:
	s_or_b32 exec_lo, exec_lo, s5
	s_waitcnt vmcnt(0)
	v_mov_b32_e32 v2, 0
	v_readfirstlane_b32 s6, v8
	v_readfirstlane_b32 s7, v9
	s_mov_b32 s5, exec_lo
	s_clause 0x1
	global_load_dwordx2 v[10:11], v2, s[26:27] offset:40
	global_load_dwordx4 v[4:7], v2, s[26:27]
	s_waitcnt vmcnt(1)
	v_readfirstlane_b32 s10, v10
	v_readfirstlane_b32 s11, v11
	s_and_b64 s[10:11], s[6:7], s[10:11]
	s_mul_i32 s16, s11, 24
	s_mul_hi_u32 s17, s10, 24
	s_mul_i32 s18, s10, 24
	s_add_i32 s17, s17, s16
	s_waitcnt vmcnt(0)
	v_add_co_u32 v8, vcc_lo, v4, s18
	v_add_co_ci_u32_e32 v9, vcc_lo, s17, v5, vcc_lo
	s_and_saveexec_b32 s16, s4
	s_cbranch_execz .LBB6_1234
; %bb.1233:
	v_mov_b32_e32 v10, s5
	v_mov_b32_e32 v11, v2
	;; [unrolled: 1-line block ×4, first 2 shown]
	global_store_dwordx4 v[8:9], v[10:13], off offset:8
.LBB6_1234:
	s_or_b32 exec_lo, exec_lo, s16
	s_lshl_b64 s[10:11], s[10:11], 12
	s_mov_b32 s16, 0
	v_add_co_u32 v6, vcc_lo, v6, s10
	v_add_co_ci_u32_e32 v7, vcc_lo, s11, v7, vcc_lo
	s_mov_b32 s17, s16
	v_readfirstlane_b32 s10, v6
	v_add_co_u32 v6, vcc_lo, v6, v48
	s_mov_b32 s18, s16
	s_mov_b32 s19, s16
	v_and_or_b32 v0, 0xffffff1f, v0, 32
	v_mov_b32_e32 v3, v2
	v_readfirstlane_b32 s11, v7
	v_mov_b32_e32 v10, s16
	v_add_co_ci_u32_e32 v7, vcc_lo, 0, v7, vcc_lo
	v_mov_b32_e32 v11, s17
	v_mov_b32_e32 v12, s18
	;; [unrolled: 1-line block ×3, first 2 shown]
	global_store_dwordx4 v48, v[0:3], s[10:11]
	global_store_dwordx4 v48, v[10:13], s[10:11] offset:16
	global_store_dwordx4 v48, v[10:13], s[10:11] offset:32
	;; [unrolled: 1-line block ×3, first 2 shown]
	s_and_saveexec_b32 s5, s4
	s_cbranch_execz .LBB6_1242
; %bb.1235:
	v_mov_b32_e32 v10, 0
	v_mov_b32_e32 v11, s6
	;; [unrolled: 1-line block ×3, first 2 shown]
	s_clause 0x1
	global_load_dwordx2 v[13:14], v10, s[26:27] offset:32 glc dlc
	global_load_dwordx2 v[0:1], v10, s[26:27] offset:40
	s_waitcnt vmcnt(0)
	v_readfirstlane_b32 s10, v0
	v_readfirstlane_b32 s11, v1
	s_and_b64 s[10:11], s[10:11], s[6:7]
	s_mul_i32 s11, s11, 24
	s_mul_hi_u32 s16, s10, 24
	s_mul_i32 s10, s10, 24
	s_add_i32 s16, s16, s11
	v_add_co_u32 v4, vcc_lo, v4, s10
	v_add_co_ci_u32_e32 v5, vcc_lo, s16, v5, vcc_lo
	s_mov_b32 s10, exec_lo
	global_store_dwordx2 v[4:5], v[13:14], off
	s_waitcnt_vscnt null, 0x0
	global_atomic_cmpswap_x2 v[2:3], v10, v[11:14], s[26:27] offset:32 glc
	s_waitcnt vmcnt(0)
	v_cmpx_ne_u64_e64 v[2:3], v[13:14]
	s_cbranch_execz .LBB6_1238
; %bb.1236:
	s_mov_b32 s11, 0
.LBB6_1237:                             ; =>This Inner Loop Header: Depth=1
	v_mov_b32_e32 v0, s6
	v_mov_b32_e32 v1, s7
	s_sleep 1
	global_store_dwordx2 v[4:5], v[2:3], off
	s_waitcnt_vscnt null, 0x0
	global_atomic_cmpswap_x2 v[0:1], v10, v[0:3], s[26:27] offset:32 glc
	s_waitcnt vmcnt(0)
	v_cmp_eq_u64_e32 vcc_lo, v[0:1], v[2:3]
	v_mov_b32_e32 v3, v1
	v_mov_b32_e32 v2, v0
	s_or_b32 s11, vcc_lo, s11
	s_andn2_b32 exec_lo, exec_lo, s11
	s_cbranch_execnz .LBB6_1237
.LBB6_1238:
	s_or_b32 exec_lo, exec_lo, s10
	v_mov_b32_e32 v3, 0
	s_mov_b32 s11, exec_lo
	s_mov_b32 s10, exec_lo
	v_mbcnt_lo_u32_b32 v2, s11, 0
	global_load_dwordx2 v[0:1], v3, s[26:27] offset:16
	v_cmpx_eq_u32_e32 0, v2
	s_cbranch_execz .LBB6_1240
; %bb.1239:
	s_bcnt1_i32_b32 s11, s11
	v_mov_b32_e32 v2, s11
	s_waitcnt vmcnt(0)
	global_atomic_add_x2 v[0:1], v[2:3], off offset:8
.LBB6_1240:
	s_or_b32 exec_lo, exec_lo, s10
	s_waitcnt vmcnt(0)
	global_load_dwordx2 v[2:3], v[0:1], off offset:16
	s_waitcnt vmcnt(0)
	v_cmp_eq_u64_e32 vcc_lo, 0, v[2:3]
	s_cbranch_vccnz .LBB6_1242
; %bb.1241:
	global_load_dword v0, v[0:1], off offset:24
	v_mov_b32_e32 v1, 0
	s_waitcnt vmcnt(0)
	v_and_b32_e32 v4, 0x7fffff, v0
	s_waitcnt_vscnt null, 0x0
	global_store_dwordx2 v[2:3], v[0:1], off
	v_readfirstlane_b32 m0, v4
	s_sendmsg sendmsg(MSG_INTERRUPT)
.LBB6_1242:
	s_or_b32 exec_lo, exec_lo, s5
	s_branch .LBB6_1246
	.p2align	6
.LBB6_1243:                             ;   in Loop: Header=BB6_1246 Depth=1
	s_or_b32 exec_lo, exec_lo, s5
	v_readfirstlane_b32 s5, v0
	s_cmp_eq_u32 s5, 0
	s_cbranch_scc1 .LBB6_1245
; %bb.1244:                             ;   in Loop: Header=BB6_1246 Depth=1
	s_sleep 1
	s_cbranch_execnz .LBB6_1246
	s_branch .LBB6_1248
	.p2align	6
.LBB6_1245:
	s_branch .LBB6_1248
.LBB6_1246:                             ; =>This Inner Loop Header: Depth=1
	v_mov_b32_e32 v0, 1
	s_and_saveexec_b32 s5, s4
	s_cbranch_execz .LBB6_1243
; %bb.1247:                             ;   in Loop: Header=BB6_1246 Depth=1
	global_load_dword v0, v[8:9], off offset:20 glc dlc
	s_waitcnt vmcnt(0)
	buffer_gl1_inv
	buffer_gl0_inv
	v_and_b32_e32 v0, 1, v0
	s_branch .LBB6_1243
.LBB6_1248:
	global_load_dwordx2 v[2:3], v[6:7], off
	s_and_saveexec_b32 s5, s4
	s_cbranch_execz .LBB6_1252
; %bb.1249:
	v_mov_b32_e32 v8, 0
	s_clause 0x2
	global_load_dwordx2 v[0:1], v8, s[26:27] offset:40
	global_load_dwordx2 v[9:10], v8, s[26:27] offset:24 glc dlc
	global_load_dwordx2 v[6:7], v8, s[26:27]
	s_waitcnt vmcnt(2)
	v_add_co_u32 v11, vcc_lo, v0, 1
	v_add_co_ci_u32_e32 v12, vcc_lo, 0, v1, vcc_lo
	v_add_co_u32 v4, vcc_lo, v11, s6
	v_add_co_ci_u32_e32 v5, vcc_lo, s7, v12, vcc_lo
	v_cmp_eq_u64_e32 vcc_lo, 0, v[4:5]
	v_cndmask_b32_e32 v5, v5, v12, vcc_lo
	v_cndmask_b32_e32 v4, v4, v11, vcc_lo
	v_and_b32_e32 v1, v5, v1
	v_and_b32_e32 v0, v4, v0
	v_mul_lo_u32 v1, v1, 24
	v_mul_hi_u32 v11, v0, 24
	v_mul_lo_u32 v0, v0, 24
	v_add_nc_u32_e32 v1, v11, v1
	s_waitcnt vmcnt(0)
	v_add_co_u32 v0, vcc_lo, v6, v0
	v_mov_b32_e32 v6, v9
	v_add_co_ci_u32_e32 v1, vcc_lo, v7, v1, vcc_lo
	v_mov_b32_e32 v7, v10
	global_store_dwordx2 v[0:1], v[9:10], off
	s_waitcnt_vscnt null, 0x0
	global_atomic_cmpswap_x2 v[6:7], v8, v[4:7], s[26:27] offset:24 glc
	s_waitcnt vmcnt(0)
	v_cmp_ne_u64_e32 vcc_lo, v[6:7], v[9:10]
	s_and_b32 exec_lo, exec_lo, vcc_lo
	s_cbranch_execz .LBB6_1252
; %bb.1250:
	s_mov_b32 s4, 0
.LBB6_1251:                             ; =>This Inner Loop Header: Depth=1
	s_sleep 1
	global_store_dwordx2 v[0:1], v[6:7], off
	s_waitcnt_vscnt null, 0x0
	global_atomic_cmpswap_x2 v[9:10], v8, v[4:7], s[26:27] offset:24 glc
	s_waitcnt vmcnt(0)
	v_cmp_eq_u64_e32 vcc_lo, v[9:10], v[6:7]
	v_mov_b32_e32 v6, v9
	v_mov_b32_e32 v7, v10
	s_or_b32 s4, vcc_lo, s4
	s_andn2_b32 exec_lo, exec_lo, s4
	s_cbranch_execnz .LBB6_1251
.LBB6_1252:
	s_or_b32 exec_lo, exec_lo, s5
.LBB6_1253:
	v_readfirstlane_b32 s4, v49
	s_waitcnt vmcnt(0)
	v_mov_b32_e32 v0, 0
	v_mov_b32_e32 v1, 0
	v_cmp_eq_u32_e64 s4, s4, v49
	s_and_saveexec_b32 s5, s4
	s_cbranch_execz .LBB6_1259
; %bb.1254:
	v_mov_b32_e32 v4, 0
	s_mov_b32 s6, exec_lo
	global_load_dwordx2 v[7:8], v4, s[26:27] offset:24 glc dlc
	s_waitcnt vmcnt(0)
	buffer_gl1_inv
	buffer_gl0_inv
	s_clause 0x1
	global_load_dwordx2 v[0:1], v4, s[26:27] offset:40
	global_load_dwordx2 v[5:6], v4, s[26:27]
	s_waitcnt vmcnt(1)
	v_and_b32_e32 v1, v1, v8
	v_and_b32_e32 v0, v0, v7
	v_mul_lo_u32 v1, v1, 24
	v_mul_hi_u32 v9, v0, 24
	v_mul_lo_u32 v0, v0, 24
	v_add_nc_u32_e32 v1, v9, v1
	s_waitcnt vmcnt(0)
	v_add_co_u32 v0, vcc_lo, v5, v0
	v_add_co_ci_u32_e32 v1, vcc_lo, v6, v1, vcc_lo
	global_load_dwordx2 v[5:6], v[0:1], off glc dlc
	s_waitcnt vmcnt(0)
	global_atomic_cmpswap_x2 v[0:1], v4, v[5:8], s[26:27] offset:24 glc
	s_waitcnt vmcnt(0)
	buffer_gl1_inv
	buffer_gl0_inv
	v_cmpx_ne_u64_e64 v[0:1], v[7:8]
	s_cbranch_execz .LBB6_1258
; %bb.1255:
	s_mov_b32 s7, 0
	.p2align	6
.LBB6_1256:                             ; =>This Inner Loop Header: Depth=1
	s_sleep 1
	s_clause 0x1
	global_load_dwordx2 v[5:6], v4, s[26:27] offset:40
	global_load_dwordx2 v[9:10], v4, s[26:27]
	v_mov_b32_e32 v8, v1
	v_mov_b32_e32 v7, v0
	s_waitcnt vmcnt(1)
	v_and_b32_e32 v0, v5, v7
	v_and_b32_e32 v5, v6, v8
	s_waitcnt vmcnt(0)
	v_mad_u64_u32 v[0:1], null, v0, 24, v[9:10]
	v_mad_u64_u32 v[5:6], null, v5, 24, v[1:2]
	v_mov_b32_e32 v1, v5
	global_load_dwordx2 v[5:6], v[0:1], off glc dlc
	s_waitcnt vmcnt(0)
	global_atomic_cmpswap_x2 v[0:1], v4, v[5:8], s[26:27] offset:24 glc
	s_waitcnt vmcnt(0)
	buffer_gl1_inv
	buffer_gl0_inv
	v_cmp_eq_u64_e32 vcc_lo, v[0:1], v[7:8]
	s_or_b32 s7, vcc_lo, s7
	s_andn2_b32 exec_lo, exec_lo, s7
	s_cbranch_execnz .LBB6_1256
; %bb.1257:
	s_or_b32 exec_lo, exec_lo, s7
.LBB6_1258:
	s_or_b32 exec_lo, exec_lo, s6
.LBB6_1259:
	s_or_b32 exec_lo, exec_lo, s5
	v_mov_b32_e32 v5, 0
	v_readfirstlane_b32 s6, v0
	v_readfirstlane_b32 s7, v1
	s_mov_b32 s5, exec_lo
	s_clause 0x1
	global_load_dwordx2 v[10:11], v5, s[26:27] offset:40
	global_load_dwordx4 v[6:9], v5, s[26:27]
	s_waitcnt vmcnt(1)
	v_readfirstlane_b32 s10, v10
	v_readfirstlane_b32 s11, v11
	s_and_b64 s[10:11], s[6:7], s[10:11]
	s_mul_i32 s16, s11, 24
	s_mul_hi_u32 s17, s10, 24
	s_mul_i32 s18, s10, 24
	s_add_i32 s17, s17, s16
	s_waitcnt vmcnt(0)
	v_add_co_u32 v10, vcc_lo, v6, s18
	v_add_co_ci_u32_e32 v11, vcc_lo, s17, v7, vcc_lo
	s_and_saveexec_b32 s16, s4
	s_cbranch_execz .LBB6_1261
; %bb.1260:
	v_mov_b32_e32 v4, s5
	v_mov_b32_e32 v13, v5
	;; [unrolled: 1-line block ×5, first 2 shown]
	global_store_dwordx4 v[10:11], v[12:15], off offset:8
.LBB6_1261:
	s_or_b32 exec_lo, exec_lo, s16
	s_lshl_b64 s[10:11], s[10:11], 12
	s_mov_b32 s16, 0
	v_add_co_u32 v0, vcc_lo, v8, s10
	v_add_co_ci_u32_e32 v1, vcc_lo, s11, v9, vcc_lo
	s_mov_b32 s17, s16
	s_mov_b32 s18, s16
	;; [unrolled: 1-line block ×3, first 2 shown]
	v_and_or_b32 v2, 0xffffff1d, v2, 34
	v_mov_b32_e32 v4, 10
	v_readfirstlane_b32 s10, v0
	v_readfirstlane_b32 s11, v1
	v_mov_b32_e32 v12, s16
	v_mov_b32_e32 v13, s17
	;; [unrolled: 1-line block ×4, first 2 shown]
	global_store_dwordx4 v48, v[2:5], s[10:11]
	global_store_dwordx4 v48, v[12:15], s[10:11] offset:16
	global_store_dwordx4 v48, v[12:15], s[10:11] offset:32
	;; [unrolled: 1-line block ×3, first 2 shown]
	s_and_saveexec_b32 s5, s4
	s_cbranch_execz .LBB6_1269
; %bb.1262:
	v_mov_b32_e32 v8, 0
	v_mov_b32_e32 v12, s6
	;; [unrolled: 1-line block ×3, first 2 shown]
	s_clause 0x1
	global_load_dwordx2 v[14:15], v8, s[26:27] offset:32 glc dlc
	global_load_dwordx2 v[0:1], v8, s[26:27] offset:40
	s_waitcnt vmcnt(0)
	v_readfirstlane_b32 s10, v0
	v_readfirstlane_b32 s11, v1
	s_and_b64 s[10:11], s[10:11], s[6:7]
	s_mul_i32 s11, s11, 24
	s_mul_hi_u32 s16, s10, 24
	s_mul_i32 s10, s10, 24
	s_add_i32 s16, s16, s11
	v_add_co_u32 v4, vcc_lo, v6, s10
	v_add_co_ci_u32_e32 v5, vcc_lo, s16, v7, vcc_lo
	s_mov_b32 s10, exec_lo
	global_store_dwordx2 v[4:5], v[14:15], off
	s_waitcnt_vscnt null, 0x0
	global_atomic_cmpswap_x2 v[2:3], v8, v[12:15], s[26:27] offset:32 glc
	s_waitcnt vmcnt(0)
	v_cmpx_ne_u64_e64 v[2:3], v[14:15]
	s_cbranch_execz .LBB6_1265
; %bb.1263:
	s_mov_b32 s11, 0
.LBB6_1264:                             ; =>This Inner Loop Header: Depth=1
	v_mov_b32_e32 v0, s6
	v_mov_b32_e32 v1, s7
	s_sleep 1
	global_store_dwordx2 v[4:5], v[2:3], off
	s_waitcnt_vscnt null, 0x0
	global_atomic_cmpswap_x2 v[0:1], v8, v[0:3], s[26:27] offset:32 glc
	s_waitcnt vmcnt(0)
	v_cmp_eq_u64_e32 vcc_lo, v[0:1], v[2:3]
	v_mov_b32_e32 v3, v1
	v_mov_b32_e32 v2, v0
	s_or_b32 s11, vcc_lo, s11
	s_andn2_b32 exec_lo, exec_lo, s11
	s_cbranch_execnz .LBB6_1264
.LBB6_1265:
	s_or_b32 exec_lo, exec_lo, s10
	v_mov_b32_e32 v3, 0
	s_mov_b32 s11, exec_lo
	s_mov_b32 s10, exec_lo
	v_mbcnt_lo_u32_b32 v2, s11, 0
	global_load_dwordx2 v[0:1], v3, s[26:27] offset:16
	v_cmpx_eq_u32_e32 0, v2
	s_cbranch_execz .LBB6_1267
; %bb.1266:
	s_bcnt1_i32_b32 s11, s11
	v_mov_b32_e32 v2, s11
	s_waitcnt vmcnt(0)
	global_atomic_add_x2 v[0:1], v[2:3], off offset:8
.LBB6_1267:
	s_or_b32 exec_lo, exec_lo, s10
	s_waitcnt vmcnt(0)
	global_load_dwordx2 v[2:3], v[0:1], off offset:16
	s_waitcnt vmcnt(0)
	v_cmp_eq_u64_e32 vcc_lo, 0, v[2:3]
	s_cbranch_vccnz .LBB6_1269
; %bb.1268:
	global_load_dword v0, v[0:1], off offset:24
	v_mov_b32_e32 v1, 0
	s_waitcnt vmcnt(0)
	v_and_b32_e32 v4, 0x7fffff, v0
	s_waitcnt_vscnt null, 0x0
	global_store_dwordx2 v[2:3], v[0:1], off
	v_readfirstlane_b32 m0, v4
	s_sendmsg sendmsg(MSG_INTERRUPT)
.LBB6_1269:
	s_or_b32 exec_lo, exec_lo, s5
	s_branch .LBB6_1273
	.p2align	6
.LBB6_1270:                             ;   in Loop: Header=BB6_1273 Depth=1
	s_or_b32 exec_lo, exec_lo, s5
	v_readfirstlane_b32 s5, v0
	s_cmp_eq_u32 s5, 0
	s_cbranch_scc1 .LBB6_1272
; %bb.1271:                             ;   in Loop: Header=BB6_1273 Depth=1
	s_sleep 1
	s_cbranch_execnz .LBB6_1273
	s_branch .LBB6_1275
	.p2align	6
.LBB6_1272:
	s_branch .LBB6_1275
.LBB6_1273:                             ; =>This Inner Loop Header: Depth=1
	v_mov_b32_e32 v0, 1
	s_and_saveexec_b32 s5, s4
	s_cbranch_execz .LBB6_1270
; %bb.1274:                             ;   in Loop: Header=BB6_1273 Depth=1
	global_load_dword v0, v[10:11], off offset:20 glc dlc
	s_waitcnt vmcnt(0)
	buffer_gl1_inv
	buffer_gl0_inv
	v_and_b32_e32 v0, 1, v0
	s_branch .LBB6_1270
.LBB6_1275:
	s_and_saveexec_b32 s5, s4
	s_cbranch_execz .LBB6_1279
; %bb.1276:
	v_mov_b32_e32 v6, 0
	s_clause 0x2
	global_load_dwordx2 v[2:3], v6, s[26:27] offset:40
	global_load_dwordx2 v[7:8], v6, s[26:27] offset:24 glc dlc
	global_load_dwordx2 v[4:5], v6, s[26:27]
	s_waitcnt vmcnt(2)
	v_add_co_u32 v9, vcc_lo, v2, 1
	v_add_co_ci_u32_e32 v10, vcc_lo, 0, v3, vcc_lo
	v_add_co_u32 v0, vcc_lo, v9, s6
	v_add_co_ci_u32_e32 v1, vcc_lo, s7, v10, vcc_lo
	v_cmp_eq_u64_e32 vcc_lo, 0, v[0:1]
	v_cndmask_b32_e32 v1, v1, v10, vcc_lo
	v_cndmask_b32_e32 v0, v0, v9, vcc_lo
	v_and_b32_e32 v3, v1, v3
	v_and_b32_e32 v2, v0, v2
	v_mul_lo_u32 v3, v3, 24
	v_mul_hi_u32 v9, v2, 24
	v_mul_lo_u32 v2, v2, 24
	v_add_nc_u32_e32 v3, v9, v3
	s_waitcnt vmcnt(0)
	v_add_co_u32 v4, vcc_lo, v4, v2
	v_mov_b32_e32 v2, v7
	v_add_co_ci_u32_e32 v5, vcc_lo, v5, v3, vcc_lo
	v_mov_b32_e32 v3, v8
	global_store_dwordx2 v[4:5], v[7:8], off
	s_waitcnt_vscnt null, 0x0
	global_atomic_cmpswap_x2 v[2:3], v6, v[0:3], s[26:27] offset:24 glc
	s_waitcnt vmcnt(0)
	v_cmp_ne_u64_e32 vcc_lo, v[2:3], v[7:8]
	s_and_b32 exec_lo, exec_lo, vcc_lo
	s_cbranch_execz .LBB6_1279
; %bb.1277:
	s_mov_b32 s4, 0
.LBB6_1278:                             ; =>This Inner Loop Header: Depth=1
	s_sleep 1
	global_store_dwordx2 v[4:5], v[2:3], off
	s_waitcnt_vscnt null, 0x0
	global_atomic_cmpswap_x2 v[7:8], v6, v[0:3], s[26:27] offset:24 glc
	s_waitcnt vmcnt(0)
	v_cmp_eq_u64_e32 vcc_lo, v[7:8], v[2:3]
	v_mov_b32_e32 v2, v7
	v_mov_b32_e32 v3, v8
	s_or_b32 s4, vcc_lo, s4
	s_andn2_b32 exec_lo, exec_lo, s4
	s_cbranch_execnz .LBB6_1278
.LBB6_1279:
	s_or_b32 exec_lo, exec_lo, s5
	v_readfirstlane_b32 s4, v49
	v_mov_b32_e32 v6, 0
	v_mov_b32_e32 v7, 0
	v_cmp_eq_u32_e64 s4, s4, v49
	s_and_saveexec_b32 s5, s4
	s_cbranch_execz .LBB6_1285
; %bb.1280:
	v_mov_b32_e32 v0, 0
	s_mov_b32 s6, exec_lo
	global_load_dwordx2 v[3:4], v0, s[26:27] offset:24 glc dlc
	s_waitcnt vmcnt(0)
	buffer_gl1_inv
	buffer_gl0_inv
	s_clause 0x1
	global_load_dwordx2 v[1:2], v0, s[26:27] offset:40
	global_load_dwordx2 v[5:6], v0, s[26:27]
	s_waitcnt vmcnt(1)
	v_and_b32_e32 v2, v2, v4
	v_and_b32_e32 v1, v1, v3
	v_mul_lo_u32 v2, v2, 24
	v_mul_hi_u32 v7, v1, 24
	v_mul_lo_u32 v1, v1, 24
	v_add_nc_u32_e32 v2, v7, v2
	s_waitcnt vmcnt(0)
	v_add_co_u32 v1, vcc_lo, v5, v1
	v_add_co_ci_u32_e32 v2, vcc_lo, v6, v2, vcc_lo
	global_load_dwordx2 v[1:2], v[1:2], off glc dlc
	s_waitcnt vmcnt(0)
	global_atomic_cmpswap_x2 v[6:7], v0, v[1:4], s[26:27] offset:24 glc
	s_waitcnt vmcnt(0)
	buffer_gl1_inv
	buffer_gl0_inv
	v_cmpx_ne_u64_e64 v[6:7], v[3:4]
	s_cbranch_execz .LBB6_1284
; %bb.1281:
	s_mov_b32 s7, 0
	.p2align	6
.LBB6_1282:                             ; =>This Inner Loop Header: Depth=1
	s_sleep 1
	s_clause 0x1
	global_load_dwordx2 v[1:2], v0, s[26:27] offset:40
	global_load_dwordx2 v[8:9], v0, s[26:27]
	v_mov_b32_e32 v3, v6
	v_mov_b32_e32 v4, v7
	s_waitcnt vmcnt(1)
	v_and_b32_e32 v1, v1, v3
	v_and_b32_e32 v2, v2, v4
	s_waitcnt vmcnt(0)
	v_mad_u64_u32 v[5:6], null, v1, 24, v[8:9]
	v_mov_b32_e32 v1, v6
	v_mad_u64_u32 v[1:2], null, v2, 24, v[1:2]
	v_mov_b32_e32 v6, v1
	global_load_dwordx2 v[1:2], v[5:6], off glc dlc
	s_waitcnt vmcnt(0)
	global_atomic_cmpswap_x2 v[6:7], v0, v[1:4], s[26:27] offset:24 glc
	s_waitcnt vmcnt(0)
	buffer_gl1_inv
	buffer_gl0_inv
	v_cmp_eq_u64_e32 vcc_lo, v[6:7], v[3:4]
	s_or_b32 s7, vcc_lo, s7
	s_andn2_b32 exec_lo, exec_lo, s7
	s_cbranch_execnz .LBB6_1282
; %bb.1283:
	s_or_b32 exec_lo, exec_lo, s7
.LBB6_1284:
	s_or_b32 exec_lo, exec_lo, s6
.LBB6_1285:
	s_or_b32 exec_lo, exec_lo, s5
	v_mov_b32_e32 v5, 0
	v_readfirstlane_b32 s6, v6
	v_readfirstlane_b32 s7, v7
	s_mov_b32 s5, exec_lo
	s_clause 0x1
	global_load_dwordx2 v[8:9], v5, s[26:27] offset:40
	global_load_dwordx4 v[0:3], v5, s[26:27]
	s_waitcnt vmcnt(1)
	v_readfirstlane_b32 s10, v8
	v_readfirstlane_b32 s11, v9
	s_and_b64 s[10:11], s[6:7], s[10:11]
	s_mul_i32 s16, s11, 24
	s_mul_hi_u32 s17, s10, 24
	s_mul_i32 s18, s10, 24
	s_add_i32 s17, s17, s16
	s_waitcnt vmcnt(0)
	v_add_co_u32 v8, vcc_lo, v0, s18
	v_add_co_ci_u32_e32 v9, vcc_lo, s17, v1, vcc_lo
	s_and_saveexec_b32 s16, s4
	s_cbranch_execz .LBB6_1287
; %bb.1286:
	v_mov_b32_e32 v4, s5
	v_mov_b32_e32 v6, 2
	;; [unrolled: 1-line block ×3, first 2 shown]
	global_store_dwordx4 v[8:9], v[4:7], off offset:8
.LBB6_1287:
	s_or_b32 exec_lo, exec_lo, s16
	s_lshl_b64 s[10:11], s[10:11], 12
	s_mov_b32 s16, 0
	v_add_co_u32 v2, vcc_lo, v2, s10
	v_add_co_ci_u32_e32 v3, vcc_lo, s11, v3, vcc_lo
	s_mov_b32 s17, s16
	v_add_co_u32 v10, vcc_lo, v2, v48
	s_mov_b32 s18, s16
	s_mov_b32 s19, s16
	v_mov_b32_e32 v4, 33
	v_mov_b32_e32 v6, v5
	;; [unrolled: 1-line block ×3, first 2 shown]
	v_readfirstlane_b32 s10, v2
	v_readfirstlane_b32 s11, v3
	v_mov_b32_e32 v12, s16
	v_add_co_ci_u32_e32 v11, vcc_lo, 0, v3, vcc_lo
	v_mov_b32_e32 v13, s17
	v_mov_b32_e32 v14, s18
	;; [unrolled: 1-line block ×3, first 2 shown]
	global_store_dwordx4 v48, v[4:7], s[10:11]
	global_store_dwordx4 v48, v[12:15], s[10:11] offset:16
	global_store_dwordx4 v48, v[12:15], s[10:11] offset:32
	;; [unrolled: 1-line block ×3, first 2 shown]
	s_and_saveexec_b32 s5, s4
	s_cbranch_execz .LBB6_1295
; %bb.1288:
	v_mov_b32_e32 v6, 0
	v_mov_b32_e32 v12, s6
	;; [unrolled: 1-line block ×3, first 2 shown]
	s_clause 0x1
	global_load_dwordx2 v[14:15], v6, s[26:27] offset:32 glc dlc
	global_load_dwordx2 v[2:3], v6, s[26:27] offset:40
	s_waitcnt vmcnt(0)
	v_readfirstlane_b32 s10, v2
	v_readfirstlane_b32 s11, v3
	s_and_b64 s[10:11], s[10:11], s[6:7]
	s_mul_i32 s11, s11, 24
	s_mul_hi_u32 s16, s10, 24
	s_mul_i32 s10, s10, 24
	s_add_i32 s16, s16, s11
	v_add_co_u32 v4, vcc_lo, v0, s10
	v_add_co_ci_u32_e32 v5, vcc_lo, s16, v1, vcc_lo
	s_mov_b32 s10, exec_lo
	global_store_dwordx2 v[4:5], v[14:15], off
	s_waitcnt_vscnt null, 0x0
	global_atomic_cmpswap_x2 v[2:3], v6, v[12:15], s[26:27] offset:32 glc
	s_waitcnt vmcnt(0)
	v_cmpx_ne_u64_e64 v[2:3], v[14:15]
	s_cbranch_execz .LBB6_1291
; %bb.1289:
	s_mov_b32 s11, 0
.LBB6_1290:                             ; =>This Inner Loop Header: Depth=1
	v_mov_b32_e32 v0, s6
	v_mov_b32_e32 v1, s7
	s_sleep 1
	global_store_dwordx2 v[4:5], v[2:3], off
	s_waitcnt_vscnt null, 0x0
	global_atomic_cmpswap_x2 v[0:1], v6, v[0:3], s[26:27] offset:32 glc
	s_waitcnt vmcnt(0)
	v_cmp_eq_u64_e32 vcc_lo, v[0:1], v[2:3]
	v_mov_b32_e32 v3, v1
	v_mov_b32_e32 v2, v0
	s_or_b32 s11, vcc_lo, s11
	s_andn2_b32 exec_lo, exec_lo, s11
	s_cbranch_execnz .LBB6_1290
.LBB6_1291:
	s_or_b32 exec_lo, exec_lo, s10
	v_mov_b32_e32 v3, 0
	s_mov_b32 s11, exec_lo
	s_mov_b32 s10, exec_lo
	v_mbcnt_lo_u32_b32 v2, s11, 0
	global_load_dwordx2 v[0:1], v3, s[26:27] offset:16
	v_cmpx_eq_u32_e32 0, v2
	s_cbranch_execz .LBB6_1293
; %bb.1292:
	s_bcnt1_i32_b32 s11, s11
	v_mov_b32_e32 v2, s11
	s_waitcnt vmcnt(0)
	global_atomic_add_x2 v[0:1], v[2:3], off offset:8
.LBB6_1293:
	s_or_b32 exec_lo, exec_lo, s10
	s_waitcnt vmcnt(0)
	global_load_dwordx2 v[2:3], v[0:1], off offset:16
	s_waitcnt vmcnt(0)
	v_cmp_eq_u64_e32 vcc_lo, 0, v[2:3]
	s_cbranch_vccnz .LBB6_1295
; %bb.1294:
	global_load_dword v0, v[0:1], off offset:24
	v_mov_b32_e32 v1, 0
	s_waitcnt vmcnt(0)
	v_and_b32_e32 v4, 0x7fffff, v0
	s_waitcnt_vscnt null, 0x0
	global_store_dwordx2 v[2:3], v[0:1], off
	v_readfirstlane_b32 m0, v4
	s_sendmsg sendmsg(MSG_INTERRUPT)
.LBB6_1295:
	s_or_b32 exec_lo, exec_lo, s5
	s_branch .LBB6_1299
	.p2align	6
.LBB6_1296:                             ;   in Loop: Header=BB6_1299 Depth=1
	s_or_b32 exec_lo, exec_lo, s5
	v_readfirstlane_b32 s5, v0
	s_cmp_eq_u32 s5, 0
	s_cbranch_scc1 .LBB6_1298
; %bb.1297:                             ;   in Loop: Header=BB6_1299 Depth=1
	s_sleep 1
	s_cbranch_execnz .LBB6_1299
	s_branch .LBB6_1301
	.p2align	6
.LBB6_1298:
	s_branch .LBB6_1301
.LBB6_1299:                             ; =>This Inner Loop Header: Depth=1
	v_mov_b32_e32 v0, 1
	s_and_saveexec_b32 s5, s4
	s_cbranch_execz .LBB6_1296
; %bb.1300:                             ;   in Loop: Header=BB6_1299 Depth=1
	global_load_dword v0, v[8:9], off offset:20 glc dlc
	s_waitcnt vmcnt(0)
	buffer_gl1_inv
	buffer_gl0_inv
	v_and_b32_e32 v0, 1, v0
	s_branch .LBB6_1296
.LBB6_1301:
	global_load_dwordx2 v[4:5], v[10:11], off
	s_and_saveexec_b32 s5, s4
	s_cbranch_execz .LBB6_1305
; %bb.1302:
	v_mov_b32_e32 v8, 0
	s_clause 0x2
	global_load_dwordx2 v[2:3], v8, s[26:27] offset:40
	global_load_dwordx2 v[9:10], v8, s[26:27] offset:24 glc dlc
	global_load_dwordx2 v[6:7], v8, s[26:27]
	s_waitcnt vmcnt(2)
	v_add_co_u32 v11, vcc_lo, v2, 1
	v_add_co_ci_u32_e32 v12, vcc_lo, 0, v3, vcc_lo
	v_add_co_u32 v0, vcc_lo, v11, s6
	v_add_co_ci_u32_e32 v1, vcc_lo, s7, v12, vcc_lo
	v_cmp_eq_u64_e32 vcc_lo, 0, v[0:1]
	v_cndmask_b32_e32 v1, v1, v12, vcc_lo
	v_cndmask_b32_e32 v0, v0, v11, vcc_lo
	v_and_b32_e32 v3, v1, v3
	v_and_b32_e32 v2, v0, v2
	v_mul_lo_u32 v3, v3, 24
	v_mul_hi_u32 v11, v2, 24
	v_mul_lo_u32 v2, v2, 24
	v_add_nc_u32_e32 v3, v11, v3
	s_waitcnt vmcnt(0)
	v_add_co_u32 v6, vcc_lo, v6, v2
	v_mov_b32_e32 v2, v9
	v_add_co_ci_u32_e32 v7, vcc_lo, v7, v3, vcc_lo
	v_mov_b32_e32 v3, v10
	global_store_dwordx2 v[6:7], v[9:10], off
	s_waitcnt_vscnt null, 0x0
	global_atomic_cmpswap_x2 v[2:3], v8, v[0:3], s[26:27] offset:24 glc
	s_waitcnt vmcnt(0)
	v_cmp_ne_u64_e32 vcc_lo, v[2:3], v[9:10]
	s_and_b32 exec_lo, exec_lo, vcc_lo
	s_cbranch_execz .LBB6_1305
; %bb.1303:
	s_mov_b32 s4, 0
.LBB6_1304:                             ; =>This Inner Loop Header: Depth=1
	s_sleep 1
	global_store_dwordx2 v[6:7], v[2:3], off
	s_waitcnt_vscnt null, 0x0
	global_atomic_cmpswap_x2 v[9:10], v8, v[0:3], s[26:27] offset:24 glc
	s_waitcnt vmcnt(0)
	v_cmp_eq_u64_e32 vcc_lo, v[9:10], v[2:3]
	v_mov_b32_e32 v2, v9
	v_mov_b32_e32 v3, v10
	s_or_b32 s4, vcc_lo, s4
	s_andn2_b32 exec_lo, exec_lo, s4
	s_cbranch_execnz .LBB6_1304
.LBB6_1305:
	s_or_b32 exec_lo, exec_lo, s5
	s_and_b32 vcc_lo, exec_lo, s15
	s_cbranch_vccz .LBB6_1384
; %bb.1306:
	s_waitcnt vmcnt(0)
	v_and_b32_e32 v28, 2, v4
	v_mov_b32_e32 v7, 0
	v_and_b32_e32 v0, -3, v4
	v_mov_b32_e32 v1, v5
	v_mov_b32_e32 v8, 2
	;; [unrolled: 1-line block ×3, first 2 shown]
	s_mov_b64 s[10:11], 3
	s_getpc_b64 s[6:7]
	s_add_u32 s6, s6, .str.5@rel32@lo+4
	s_addc_u32 s7, s7, .str.5@rel32@hi+12
	s_branch .LBB6_1308
.LBB6_1307:                             ;   in Loop: Header=BB6_1308 Depth=1
	s_or_b32 exec_lo, exec_lo, s5
	s_sub_u32 s10, s10, s16
	s_subb_u32 s11, s11, s17
	s_add_u32 s6, s6, s16
	s_addc_u32 s7, s7, s17
	s_cmp_lg_u64 s[10:11], 0
	s_cbranch_scc0 .LBB6_1383
.LBB6_1308:                             ; =>This Loop Header: Depth=1
                                        ;     Child Loop BB6_1317 Depth 2
                                        ;     Child Loop BB6_1313 Depth 2
	;; [unrolled: 1-line block ×11, first 2 shown]
	v_cmp_lt_u64_e64 s4, s[10:11], 56
	v_cmp_gt_u64_e64 s5, s[10:11], 7
                                        ; implicit-def: $vgpr2_vgpr3
                                        ; implicit-def: $sgpr15
	s_and_b32 s4, s4, exec_lo
	s_cselect_b32 s17, s11, 0
	s_cselect_b32 s16, s10, 56
	s_and_b32 vcc_lo, exec_lo, s5
	s_mov_b32 s4, -1
	s_cbranch_vccz .LBB6_1315
; %bb.1309:                             ;   in Loop: Header=BB6_1308 Depth=1
	s_andn2_b32 vcc_lo, exec_lo, s4
	s_mov_b64 s[4:5], s[6:7]
	s_cbranch_vccz .LBB6_1319
.LBB6_1310:                             ;   in Loop: Header=BB6_1308 Depth=1
	s_cmp_gt_u32 s15, 7
	s_cbranch_scc1 .LBB6_1320
.LBB6_1311:                             ;   in Loop: Header=BB6_1308 Depth=1
	v_mov_b32_e32 v10, 0
	v_mov_b32_e32 v11, 0
	s_cmp_eq_u32 s15, 0
	s_cbranch_scc1 .LBB6_1314
; %bb.1312:                             ;   in Loop: Header=BB6_1308 Depth=1
	s_mov_b64 s[18:19], 0
	s_mov_b64 s[20:21], 0
.LBB6_1313:                             ;   Parent Loop BB6_1308 Depth=1
                                        ; =>  This Inner Loop Header: Depth=2
	s_add_u32 s22, s4, s20
	s_addc_u32 s23, s5, s21
	s_add_u32 s20, s20, 1
	global_load_ubyte v6, v7, s[22:23]
	s_addc_u32 s21, s21, 0
	s_waitcnt vmcnt(0)
	v_and_b32_e32 v6, 0xffff, v6
	v_lshlrev_b64 v[12:13], s18, v[6:7]
	s_add_u32 s18, s18, 8
	s_addc_u32 s19, s19, 0
	s_cmp_lg_u32 s15, s20
	v_or_b32_e32 v10, v12, v10
	v_or_b32_e32 v11, v13, v11
	s_cbranch_scc1 .LBB6_1313
.LBB6_1314:                             ;   in Loop: Header=BB6_1308 Depth=1
	s_mov_b32 s22, 0
	s_cbranch_execz .LBB6_1321
	s_branch .LBB6_1322
.LBB6_1315:                             ;   in Loop: Header=BB6_1308 Depth=1
	s_waitcnt vmcnt(0)
	v_mov_b32_e32 v2, 0
	v_mov_b32_e32 v3, 0
	s_cmp_eq_u64 s[10:11], 0
	s_mov_b64 s[4:5], 0
	s_cbranch_scc1 .LBB6_1318
; %bb.1316:                             ;   in Loop: Header=BB6_1308 Depth=1
	v_mov_b32_e32 v2, 0
	v_mov_b32_e32 v3, 0
	s_lshl_b64 s[18:19], s[16:17], 3
	s_mov_b64 s[20:21], s[6:7]
.LBB6_1317:                             ;   Parent Loop BB6_1308 Depth=1
                                        ; =>  This Inner Loop Header: Depth=2
	global_load_ubyte v6, v7, s[20:21]
	s_waitcnt vmcnt(0)
	v_and_b32_e32 v6, 0xffff, v6
	v_lshlrev_b64 v[10:11], s4, v[6:7]
	s_add_u32 s4, s4, 8
	s_addc_u32 s5, s5, 0
	s_add_u32 s20, s20, 1
	s_addc_u32 s21, s21, 0
	s_cmp_lg_u32 s18, s4
	v_or_b32_e32 v2, v10, v2
	v_or_b32_e32 v3, v11, v3
	s_cbranch_scc1 .LBB6_1317
.LBB6_1318:                             ;   in Loop: Header=BB6_1308 Depth=1
	s_mov_b32 s15, 0
	s_mov_b64 s[4:5], s[6:7]
	s_cbranch_execnz .LBB6_1310
.LBB6_1319:                             ;   in Loop: Header=BB6_1308 Depth=1
	global_load_dwordx2 v[2:3], v7, s[6:7]
	s_add_i32 s15, s16, -8
	s_add_u32 s4, s6, 8
	s_addc_u32 s5, s7, 0
	s_cmp_gt_u32 s15, 7
	s_cbranch_scc0 .LBB6_1311
.LBB6_1320:                             ;   in Loop: Header=BB6_1308 Depth=1
                                        ; implicit-def: $vgpr10_vgpr11
                                        ; implicit-def: $sgpr22
.LBB6_1321:                             ;   in Loop: Header=BB6_1308 Depth=1
	global_load_dwordx2 v[10:11], v7, s[4:5]
	s_add_i32 s22, s15, -8
	s_add_u32 s4, s4, 8
	s_addc_u32 s5, s5, 0
.LBB6_1322:                             ;   in Loop: Header=BB6_1308 Depth=1
	s_cmp_gt_u32 s22, 7
	s_cbranch_scc1 .LBB6_1327
; %bb.1323:                             ;   in Loop: Header=BB6_1308 Depth=1
	v_mov_b32_e32 v12, 0
	v_mov_b32_e32 v13, 0
	s_cmp_eq_u32 s22, 0
	s_cbranch_scc1 .LBB6_1326
; %bb.1324:                             ;   in Loop: Header=BB6_1308 Depth=1
	s_mov_b64 s[18:19], 0
	s_mov_b64 s[20:21], 0
.LBB6_1325:                             ;   Parent Loop BB6_1308 Depth=1
                                        ; =>  This Inner Loop Header: Depth=2
	s_add_u32 s24, s4, s20
	s_addc_u32 s25, s5, s21
	s_add_u32 s20, s20, 1
	global_load_ubyte v6, v7, s[24:25]
	s_addc_u32 s21, s21, 0
	s_waitcnt vmcnt(0)
	v_and_b32_e32 v6, 0xffff, v6
	v_lshlrev_b64 v[14:15], s18, v[6:7]
	s_add_u32 s18, s18, 8
	s_addc_u32 s19, s19, 0
	s_cmp_lg_u32 s22, s20
	v_or_b32_e32 v12, v14, v12
	v_or_b32_e32 v13, v15, v13
	s_cbranch_scc1 .LBB6_1325
.LBB6_1326:                             ;   in Loop: Header=BB6_1308 Depth=1
	s_mov_b32 s15, 0
	s_cbranch_execz .LBB6_1328
	s_branch .LBB6_1329
.LBB6_1327:                             ;   in Loop: Header=BB6_1308 Depth=1
                                        ; implicit-def: $sgpr15
.LBB6_1328:                             ;   in Loop: Header=BB6_1308 Depth=1
	global_load_dwordx2 v[12:13], v7, s[4:5]
	s_add_i32 s15, s22, -8
	s_add_u32 s4, s4, 8
	s_addc_u32 s5, s5, 0
.LBB6_1329:                             ;   in Loop: Header=BB6_1308 Depth=1
	s_cmp_gt_u32 s15, 7
	s_cbranch_scc1 .LBB6_1334
; %bb.1330:                             ;   in Loop: Header=BB6_1308 Depth=1
	v_mov_b32_e32 v14, 0
	v_mov_b32_e32 v15, 0
	s_cmp_eq_u32 s15, 0
	s_cbranch_scc1 .LBB6_1333
; %bb.1331:                             ;   in Loop: Header=BB6_1308 Depth=1
	s_mov_b64 s[18:19], 0
	s_mov_b64 s[20:21], 0
.LBB6_1332:                             ;   Parent Loop BB6_1308 Depth=1
                                        ; =>  This Inner Loop Header: Depth=2
	s_add_u32 s22, s4, s20
	s_addc_u32 s23, s5, s21
	s_add_u32 s20, s20, 1
	global_load_ubyte v6, v7, s[22:23]
	s_addc_u32 s21, s21, 0
	s_waitcnt vmcnt(0)
	v_and_b32_e32 v6, 0xffff, v6
	v_lshlrev_b64 v[16:17], s18, v[6:7]
	s_add_u32 s18, s18, 8
	s_addc_u32 s19, s19, 0
	s_cmp_lg_u32 s15, s20
	v_or_b32_e32 v14, v16, v14
	v_or_b32_e32 v15, v17, v15
	s_cbranch_scc1 .LBB6_1332
.LBB6_1333:                             ;   in Loop: Header=BB6_1308 Depth=1
	s_mov_b32 s22, 0
	s_cbranch_execz .LBB6_1335
	s_branch .LBB6_1336
.LBB6_1334:                             ;   in Loop: Header=BB6_1308 Depth=1
                                        ; implicit-def: $vgpr14_vgpr15
                                        ; implicit-def: $sgpr22
.LBB6_1335:                             ;   in Loop: Header=BB6_1308 Depth=1
	global_load_dwordx2 v[14:15], v7, s[4:5]
	s_add_i32 s22, s15, -8
	s_add_u32 s4, s4, 8
	s_addc_u32 s5, s5, 0
.LBB6_1336:                             ;   in Loop: Header=BB6_1308 Depth=1
	s_cmp_gt_u32 s22, 7
	s_cbranch_scc1 .LBB6_1341
; %bb.1337:                             ;   in Loop: Header=BB6_1308 Depth=1
	v_mov_b32_e32 v16, 0
	v_mov_b32_e32 v17, 0
	s_cmp_eq_u32 s22, 0
	s_cbranch_scc1 .LBB6_1340
; %bb.1338:                             ;   in Loop: Header=BB6_1308 Depth=1
	s_mov_b64 s[18:19], 0
	s_mov_b64 s[20:21], 0
.LBB6_1339:                             ;   Parent Loop BB6_1308 Depth=1
                                        ; =>  This Inner Loop Header: Depth=2
	s_add_u32 s24, s4, s20
	s_addc_u32 s25, s5, s21
	s_add_u32 s20, s20, 1
	global_load_ubyte v6, v7, s[24:25]
	s_addc_u32 s21, s21, 0
	s_waitcnt vmcnt(0)
	v_and_b32_e32 v6, 0xffff, v6
	v_lshlrev_b64 v[18:19], s18, v[6:7]
	s_add_u32 s18, s18, 8
	s_addc_u32 s19, s19, 0
	s_cmp_lg_u32 s22, s20
	v_or_b32_e32 v16, v18, v16
	v_or_b32_e32 v17, v19, v17
	s_cbranch_scc1 .LBB6_1339
.LBB6_1340:                             ;   in Loop: Header=BB6_1308 Depth=1
	s_mov_b32 s15, 0
	s_cbranch_execz .LBB6_1342
	s_branch .LBB6_1343
.LBB6_1341:                             ;   in Loop: Header=BB6_1308 Depth=1
                                        ; implicit-def: $sgpr15
.LBB6_1342:                             ;   in Loop: Header=BB6_1308 Depth=1
	global_load_dwordx2 v[16:17], v7, s[4:5]
	s_add_i32 s15, s22, -8
	s_add_u32 s4, s4, 8
	s_addc_u32 s5, s5, 0
.LBB6_1343:                             ;   in Loop: Header=BB6_1308 Depth=1
	s_cmp_gt_u32 s15, 7
	s_cbranch_scc1 .LBB6_1348
; %bb.1344:                             ;   in Loop: Header=BB6_1308 Depth=1
	v_mov_b32_e32 v18, 0
	v_mov_b32_e32 v19, 0
	s_cmp_eq_u32 s15, 0
	s_cbranch_scc1 .LBB6_1347
; %bb.1345:                             ;   in Loop: Header=BB6_1308 Depth=1
	s_mov_b64 s[18:19], 0
	s_mov_b64 s[20:21], 0
.LBB6_1346:                             ;   Parent Loop BB6_1308 Depth=1
                                        ; =>  This Inner Loop Header: Depth=2
	s_add_u32 s22, s4, s20
	s_addc_u32 s23, s5, s21
	s_add_u32 s20, s20, 1
	global_load_ubyte v6, v7, s[22:23]
	s_addc_u32 s21, s21, 0
	s_waitcnt vmcnt(0)
	v_and_b32_e32 v6, 0xffff, v6
	v_lshlrev_b64 v[20:21], s18, v[6:7]
	s_add_u32 s18, s18, 8
	s_addc_u32 s19, s19, 0
	s_cmp_lg_u32 s15, s20
	v_or_b32_e32 v18, v20, v18
	v_or_b32_e32 v19, v21, v19
	s_cbranch_scc1 .LBB6_1346
.LBB6_1347:                             ;   in Loop: Header=BB6_1308 Depth=1
	s_mov_b32 s22, 0
	s_cbranch_execz .LBB6_1349
	s_branch .LBB6_1350
.LBB6_1348:                             ;   in Loop: Header=BB6_1308 Depth=1
                                        ; implicit-def: $vgpr18_vgpr19
                                        ; implicit-def: $sgpr22
.LBB6_1349:                             ;   in Loop: Header=BB6_1308 Depth=1
	global_load_dwordx2 v[18:19], v7, s[4:5]
	s_add_i32 s22, s15, -8
	s_add_u32 s4, s4, 8
	s_addc_u32 s5, s5, 0
.LBB6_1350:                             ;   in Loop: Header=BB6_1308 Depth=1
	s_cmp_gt_u32 s22, 7
	s_cbranch_scc1 .LBB6_1355
; %bb.1351:                             ;   in Loop: Header=BB6_1308 Depth=1
	v_mov_b32_e32 v20, 0
	v_mov_b32_e32 v21, 0
	s_cmp_eq_u32 s22, 0
	s_cbranch_scc1 .LBB6_1354
; %bb.1352:                             ;   in Loop: Header=BB6_1308 Depth=1
	s_mov_b64 s[18:19], 0
	s_mov_b64 s[20:21], s[4:5]
.LBB6_1353:                             ;   Parent Loop BB6_1308 Depth=1
                                        ; =>  This Inner Loop Header: Depth=2
	global_load_ubyte v6, v7, s[20:21]
	s_add_i32 s22, s22, -1
	s_waitcnt vmcnt(0)
	v_and_b32_e32 v6, 0xffff, v6
	v_lshlrev_b64 v[22:23], s18, v[6:7]
	s_add_u32 s18, s18, 8
	s_addc_u32 s19, s19, 0
	s_add_u32 s20, s20, 1
	s_addc_u32 s21, s21, 0
	s_cmp_lg_u32 s22, 0
	v_or_b32_e32 v20, v22, v20
	v_or_b32_e32 v21, v23, v21
	s_cbranch_scc1 .LBB6_1353
.LBB6_1354:                             ;   in Loop: Header=BB6_1308 Depth=1
	s_cbranch_execz .LBB6_1356
	s_branch .LBB6_1357
.LBB6_1355:                             ;   in Loop: Header=BB6_1308 Depth=1
.LBB6_1356:                             ;   in Loop: Header=BB6_1308 Depth=1
	global_load_dwordx2 v[20:21], v7, s[4:5]
.LBB6_1357:                             ;   in Loop: Header=BB6_1308 Depth=1
	v_readfirstlane_b32 s4, v49
	v_mov_b32_e32 v26, 0
	v_mov_b32_e32 v27, 0
	v_cmp_eq_u32_e64 s4, s4, v49
	s_and_saveexec_b32 s5, s4
	s_cbranch_execz .LBB6_1363
; %bb.1358:                             ;   in Loop: Header=BB6_1308 Depth=1
	global_load_dwordx2 v[24:25], v7, s[26:27] offset:24 glc dlc
	s_waitcnt vmcnt(0)
	buffer_gl1_inv
	buffer_gl0_inv
	s_clause 0x1
	global_load_dwordx2 v[22:23], v7, s[26:27] offset:40
	global_load_dwordx2 v[26:27], v7, s[26:27]
	s_mov_b32 s15, exec_lo
	s_waitcnt vmcnt(1)
	v_and_b32_e32 v6, v23, v25
	v_and_b32_e32 v22, v22, v24
	v_mul_lo_u32 v6, v6, 24
	v_mul_hi_u32 v23, v22, 24
	v_mul_lo_u32 v22, v22, 24
	v_add_nc_u32_e32 v6, v23, v6
	s_waitcnt vmcnt(0)
	v_add_co_u32 v22, vcc_lo, v26, v22
	v_add_co_ci_u32_e32 v23, vcc_lo, v27, v6, vcc_lo
	global_load_dwordx2 v[22:23], v[22:23], off glc dlc
	s_waitcnt vmcnt(0)
	global_atomic_cmpswap_x2 v[26:27], v7, v[22:25], s[26:27] offset:24 glc
	s_waitcnt vmcnt(0)
	buffer_gl1_inv
	buffer_gl0_inv
	v_cmpx_ne_u64_e64 v[26:27], v[24:25]
	s_cbranch_execz .LBB6_1362
; %bb.1359:                             ;   in Loop: Header=BB6_1308 Depth=1
	s_mov_b32 s18, 0
	.p2align	6
.LBB6_1360:                             ;   Parent Loop BB6_1308 Depth=1
                                        ; =>  This Inner Loop Header: Depth=2
	s_sleep 1
	s_clause 0x1
	global_load_dwordx2 v[22:23], v7, s[26:27] offset:40
	global_load_dwordx2 v[29:30], v7, s[26:27]
	v_mov_b32_e32 v24, v26
	v_mov_b32_e32 v25, v27
	s_waitcnt vmcnt(1)
	v_and_b32_e32 v6, v22, v24
	v_and_b32_e32 v22, v23, v25
	s_waitcnt vmcnt(0)
	v_mad_u64_u32 v[26:27], null, v6, 24, v[29:30]
	v_mov_b32_e32 v6, v27
	v_mad_u64_u32 v[22:23], null, v22, 24, v[6:7]
	v_mov_b32_e32 v27, v22
	global_load_dwordx2 v[22:23], v[26:27], off glc dlc
	s_waitcnt vmcnt(0)
	global_atomic_cmpswap_x2 v[26:27], v7, v[22:25], s[26:27] offset:24 glc
	s_waitcnt vmcnt(0)
	buffer_gl1_inv
	buffer_gl0_inv
	v_cmp_eq_u64_e32 vcc_lo, v[26:27], v[24:25]
	s_or_b32 s18, vcc_lo, s18
	s_andn2_b32 exec_lo, exec_lo, s18
	s_cbranch_execnz .LBB6_1360
; %bb.1361:                             ;   in Loop: Header=BB6_1308 Depth=1
	s_or_b32 exec_lo, exec_lo, s18
.LBB6_1362:                             ;   in Loop: Header=BB6_1308 Depth=1
	s_or_b32 exec_lo, exec_lo, s15
.LBB6_1363:                             ;   in Loop: Header=BB6_1308 Depth=1
	s_or_b32 exec_lo, exec_lo, s5
	s_clause 0x1
	global_load_dwordx2 v[29:30], v7, s[26:27] offset:40
	global_load_dwordx4 v[22:25], v7, s[26:27]
	v_readfirstlane_b32 s18, v26
	v_readfirstlane_b32 s19, v27
	s_mov_b32 s5, exec_lo
	s_waitcnt vmcnt(1)
	v_readfirstlane_b32 s20, v29
	v_readfirstlane_b32 s21, v30
	s_and_b64 s[20:21], s[18:19], s[20:21]
	s_mul_i32 s15, s21, 24
	s_mul_hi_u32 s22, s20, 24
	s_mul_i32 s23, s20, 24
	s_add_i32 s22, s22, s15
	s_waitcnt vmcnt(0)
	v_add_co_u32 v26, vcc_lo, v22, s23
	v_add_co_ci_u32_e32 v27, vcc_lo, s22, v23, vcc_lo
	s_and_saveexec_b32 s15, s4
	s_cbranch_execz .LBB6_1365
; %bb.1364:                             ;   in Loop: Header=BB6_1308 Depth=1
	v_mov_b32_e32 v6, s5
	global_store_dwordx4 v[26:27], v[6:9], off offset:8
.LBB6_1365:                             ;   in Loop: Header=BB6_1308 Depth=1
	s_or_b32 exec_lo, exec_lo, s15
	s_lshl_b64 s[20:21], s[20:21], 12
	v_cmp_gt_u64_e64 vcc_lo, s[10:11], 56
	v_or_b32_e32 v29, v0, v28
	v_add_co_u32 v24, s5, v24, s20
	v_add_co_ci_u32_e64 v25, s5, s21, v25, s5
	s_lshl_b32 s5, s16, 2
	v_or_b32_e32 v6, 0, v1
	v_cndmask_b32_e32 v0, v29, v0, vcc_lo
	s_add_i32 s5, s5, 28
	v_readfirstlane_b32 s20, v24
	s_and_b32 s5, s5, 0x1e0
	v_cndmask_b32_e32 v1, v6, v1, vcc_lo
	v_readfirstlane_b32 s21, v25
	v_and_or_b32 v0, 0xffffff1f, v0, s5
	global_store_dwordx4 v48, v[0:3], s[20:21]
	global_store_dwordx4 v48, v[10:13], s[20:21] offset:16
	global_store_dwordx4 v48, v[14:17], s[20:21] offset:32
	;; [unrolled: 1-line block ×3, first 2 shown]
	s_and_saveexec_b32 s5, s4
	s_cbranch_execz .LBB6_1373
; %bb.1366:                             ;   in Loop: Header=BB6_1308 Depth=1
	s_clause 0x1
	global_load_dwordx2 v[14:15], v7, s[26:27] offset:32 glc dlc
	global_load_dwordx2 v[0:1], v7, s[26:27] offset:40
	v_mov_b32_e32 v12, s18
	v_mov_b32_e32 v13, s19
	s_waitcnt vmcnt(0)
	v_readfirstlane_b32 s20, v0
	v_readfirstlane_b32 s21, v1
	s_and_b64 s[20:21], s[20:21], s[18:19]
	s_mul_i32 s15, s21, 24
	s_mul_hi_u32 s21, s20, 24
	s_mul_i32 s20, s20, 24
	s_add_i32 s21, s21, s15
	v_add_co_u32 v10, vcc_lo, v22, s20
	v_add_co_ci_u32_e32 v11, vcc_lo, s21, v23, vcc_lo
	s_mov_b32 s15, exec_lo
	global_store_dwordx2 v[10:11], v[14:15], off
	s_waitcnt_vscnt null, 0x0
	global_atomic_cmpswap_x2 v[2:3], v7, v[12:15], s[26:27] offset:32 glc
	s_waitcnt vmcnt(0)
	v_cmpx_ne_u64_e64 v[2:3], v[14:15]
	s_cbranch_execz .LBB6_1369
; %bb.1367:                             ;   in Loop: Header=BB6_1308 Depth=1
	s_mov_b32 s20, 0
.LBB6_1368:                             ;   Parent Loop BB6_1308 Depth=1
                                        ; =>  This Inner Loop Header: Depth=2
	v_mov_b32_e32 v0, s18
	v_mov_b32_e32 v1, s19
	s_sleep 1
	global_store_dwordx2 v[10:11], v[2:3], off
	s_waitcnt_vscnt null, 0x0
	global_atomic_cmpswap_x2 v[0:1], v7, v[0:3], s[26:27] offset:32 glc
	s_waitcnt vmcnt(0)
	v_cmp_eq_u64_e32 vcc_lo, v[0:1], v[2:3]
	v_mov_b32_e32 v3, v1
	v_mov_b32_e32 v2, v0
	s_or_b32 s20, vcc_lo, s20
	s_andn2_b32 exec_lo, exec_lo, s20
	s_cbranch_execnz .LBB6_1368
.LBB6_1369:                             ;   in Loop: Header=BB6_1308 Depth=1
	s_or_b32 exec_lo, exec_lo, s15
	global_load_dwordx2 v[0:1], v7, s[26:27] offset:16
	s_mov_b32 s20, exec_lo
	s_mov_b32 s15, exec_lo
	v_mbcnt_lo_u32_b32 v2, s20, 0
	v_cmpx_eq_u32_e32 0, v2
	s_cbranch_execz .LBB6_1371
; %bb.1370:                             ;   in Loop: Header=BB6_1308 Depth=1
	s_bcnt1_i32_b32 s20, s20
	v_mov_b32_e32 v6, s20
	s_waitcnt vmcnt(0)
	global_atomic_add_x2 v[0:1], v[6:7], off offset:8
.LBB6_1371:                             ;   in Loop: Header=BB6_1308 Depth=1
	s_or_b32 exec_lo, exec_lo, s15
	s_waitcnt vmcnt(0)
	global_load_dwordx2 v[2:3], v[0:1], off offset:16
	s_waitcnt vmcnt(0)
	v_cmp_eq_u64_e32 vcc_lo, 0, v[2:3]
	s_cbranch_vccnz .LBB6_1373
; %bb.1372:                             ;   in Loop: Header=BB6_1308 Depth=1
	global_load_dword v6, v[0:1], off offset:24
	s_waitcnt vmcnt(0)
	v_and_b32_e32 v0, 0x7fffff, v6
	s_waitcnt_vscnt null, 0x0
	global_store_dwordx2 v[2:3], v[6:7], off
	v_readfirstlane_b32 m0, v0
	s_sendmsg sendmsg(MSG_INTERRUPT)
.LBB6_1373:                             ;   in Loop: Header=BB6_1308 Depth=1
	s_or_b32 exec_lo, exec_lo, s5
	v_add_co_u32 v0, vcc_lo, v24, v48
	v_add_co_ci_u32_e32 v1, vcc_lo, 0, v25, vcc_lo
	s_branch .LBB6_1377
	.p2align	6
.LBB6_1374:                             ;   in Loop: Header=BB6_1377 Depth=2
	s_or_b32 exec_lo, exec_lo, s5
	v_readfirstlane_b32 s5, v2
	s_cmp_eq_u32 s5, 0
	s_cbranch_scc1 .LBB6_1376
; %bb.1375:                             ;   in Loop: Header=BB6_1377 Depth=2
	s_sleep 1
	s_cbranch_execnz .LBB6_1377
	s_branch .LBB6_1379
	.p2align	6
.LBB6_1376:                             ;   in Loop: Header=BB6_1308 Depth=1
	s_branch .LBB6_1379
.LBB6_1377:                             ;   Parent Loop BB6_1308 Depth=1
                                        ; =>  This Inner Loop Header: Depth=2
	v_mov_b32_e32 v2, 1
	s_and_saveexec_b32 s5, s4
	s_cbranch_execz .LBB6_1374
; %bb.1378:                             ;   in Loop: Header=BB6_1377 Depth=2
	global_load_dword v2, v[26:27], off offset:20 glc dlc
	s_waitcnt vmcnt(0)
	buffer_gl1_inv
	buffer_gl0_inv
	v_and_b32_e32 v2, 1, v2
	s_branch .LBB6_1374
.LBB6_1379:                             ;   in Loop: Header=BB6_1308 Depth=1
	global_load_dwordx4 v[0:3], v[0:1], off
	s_and_saveexec_b32 s5, s4
	s_cbranch_execz .LBB6_1307
; %bb.1380:                             ;   in Loop: Header=BB6_1308 Depth=1
	s_clause 0x2
	global_load_dwordx2 v[2:3], v7, s[26:27] offset:40
	global_load_dwordx2 v[14:15], v7, s[26:27] offset:24 glc dlc
	global_load_dwordx2 v[12:13], v7, s[26:27]
	s_waitcnt vmcnt(2)
	v_add_co_u32 v6, vcc_lo, v2, 1
	v_add_co_ci_u32_e32 v16, vcc_lo, 0, v3, vcc_lo
	v_add_co_u32 v10, vcc_lo, v6, s18
	v_add_co_ci_u32_e32 v11, vcc_lo, s19, v16, vcc_lo
	v_cmp_eq_u64_e32 vcc_lo, 0, v[10:11]
	v_cndmask_b32_e32 v11, v11, v16, vcc_lo
	v_cndmask_b32_e32 v10, v10, v6, vcc_lo
	v_and_b32_e32 v3, v11, v3
	v_and_b32_e32 v2, v10, v2
	v_mul_lo_u32 v3, v3, 24
	v_mul_hi_u32 v6, v2, 24
	v_mul_lo_u32 v2, v2, 24
	v_add_nc_u32_e32 v3, v6, v3
	s_waitcnt vmcnt(0)
	v_add_co_u32 v2, vcc_lo, v12, v2
	v_mov_b32_e32 v12, v14
	v_add_co_ci_u32_e32 v3, vcc_lo, v13, v3, vcc_lo
	v_mov_b32_e32 v13, v15
	global_store_dwordx2 v[2:3], v[14:15], off
	s_waitcnt_vscnt null, 0x0
	global_atomic_cmpswap_x2 v[12:13], v7, v[10:13], s[26:27] offset:24 glc
	s_waitcnt vmcnt(0)
	v_cmp_ne_u64_e32 vcc_lo, v[12:13], v[14:15]
	s_and_b32 exec_lo, exec_lo, vcc_lo
	s_cbranch_execz .LBB6_1307
; %bb.1381:                             ;   in Loop: Header=BB6_1308 Depth=1
	s_mov_b32 s4, 0
.LBB6_1382:                             ;   Parent Loop BB6_1308 Depth=1
                                        ; =>  This Inner Loop Header: Depth=2
	s_sleep 1
	global_store_dwordx2 v[2:3], v[12:13], off
	s_waitcnt_vscnt null, 0x0
	global_atomic_cmpswap_x2 v[14:15], v7, v[10:13], s[26:27] offset:24 glc
	s_waitcnt vmcnt(0)
	v_cmp_eq_u64_e32 vcc_lo, v[14:15], v[12:13]
	v_mov_b32_e32 v12, v14
	v_mov_b32_e32 v13, v15
	s_or_b32 s4, vcc_lo, s4
	s_andn2_b32 exec_lo, exec_lo, s4
	s_cbranch_execnz .LBB6_1382
	s_branch .LBB6_1307
.LBB6_1383:
	s_branch .LBB6_1412
.LBB6_1384:
                                        ; implicit-def: $vgpr0_vgpr1
	s_cbranch_execz .LBB6_1412
; %bb.1385:
	v_readfirstlane_b32 s4, v49
	v_mov_b32_e32 v7, 0
	v_mov_b32_e32 v8, 0
	v_cmp_eq_u32_e64 s4, s4, v49
	s_and_saveexec_b32 s5, s4
	s_cbranch_execz .LBB6_1391
; %bb.1386:
	s_waitcnt vmcnt(0)
	v_mov_b32_e32 v0, 0
	s_mov_b32 s6, exec_lo
	global_load_dwordx2 v[9:10], v0, s[26:27] offset:24 glc dlc
	s_waitcnt vmcnt(0)
	buffer_gl1_inv
	buffer_gl0_inv
	s_clause 0x1
	global_load_dwordx2 v[1:2], v0, s[26:27] offset:40
	global_load_dwordx2 v[6:7], v0, s[26:27]
	s_waitcnt vmcnt(1)
	v_and_b32_e32 v2, v2, v10
	v_and_b32_e32 v1, v1, v9
	v_mul_lo_u32 v2, v2, 24
	v_mul_hi_u32 v3, v1, 24
	v_mul_lo_u32 v1, v1, 24
	v_add_nc_u32_e32 v2, v3, v2
	s_waitcnt vmcnt(0)
	v_add_co_u32 v1, vcc_lo, v6, v1
	v_add_co_ci_u32_e32 v2, vcc_lo, v7, v2, vcc_lo
	global_load_dwordx2 v[7:8], v[1:2], off glc dlc
	s_waitcnt vmcnt(0)
	global_atomic_cmpswap_x2 v[7:8], v0, v[7:10], s[26:27] offset:24 glc
	s_waitcnt vmcnt(0)
	buffer_gl1_inv
	buffer_gl0_inv
	v_cmpx_ne_u64_e64 v[7:8], v[9:10]
	s_cbranch_execz .LBB6_1390
; %bb.1387:
	s_mov_b32 s7, 0
	.p2align	6
.LBB6_1388:                             ; =>This Inner Loop Header: Depth=1
	s_sleep 1
	s_clause 0x1
	global_load_dwordx2 v[1:2], v0, s[26:27] offset:40
	global_load_dwordx2 v[11:12], v0, s[26:27]
	v_mov_b32_e32 v10, v8
	v_mov_b32_e32 v9, v7
	s_waitcnt vmcnt(1)
	v_and_b32_e32 v1, v1, v9
	v_and_b32_e32 v2, v2, v10
	s_waitcnt vmcnt(0)
	v_mad_u64_u32 v[6:7], null, v1, 24, v[11:12]
	v_mov_b32_e32 v1, v7
	v_mad_u64_u32 v[1:2], null, v2, 24, v[1:2]
	v_mov_b32_e32 v7, v1
	global_load_dwordx2 v[7:8], v[6:7], off glc dlc
	s_waitcnt vmcnt(0)
	global_atomic_cmpswap_x2 v[7:8], v0, v[7:10], s[26:27] offset:24 glc
	s_waitcnt vmcnt(0)
	buffer_gl1_inv
	buffer_gl0_inv
	v_cmp_eq_u64_e32 vcc_lo, v[7:8], v[9:10]
	s_or_b32 s7, vcc_lo, s7
	s_andn2_b32 exec_lo, exec_lo, s7
	s_cbranch_execnz .LBB6_1388
; %bb.1389:
	s_or_b32 exec_lo, exec_lo, s7
.LBB6_1390:
	s_or_b32 exec_lo, exec_lo, s6
.LBB6_1391:
	s_or_b32 exec_lo, exec_lo, s5
	v_mov_b32_e32 v6, 0
	v_readfirstlane_b32 s6, v7
	v_readfirstlane_b32 s7, v8
	s_mov_b32 s5, exec_lo
	s_clause 0x1
	global_load_dwordx2 v[9:10], v6, s[26:27] offset:40
	global_load_dwordx4 v[0:3], v6, s[26:27]
	s_waitcnt vmcnt(1)
	v_readfirstlane_b32 s10, v9
	v_readfirstlane_b32 s11, v10
	s_and_b64 s[10:11], s[6:7], s[10:11]
	s_mul_i32 s15, s11, 24
	s_mul_hi_u32 s16, s10, 24
	s_mul_i32 s17, s10, 24
	s_add_i32 s16, s16, s15
	s_waitcnt vmcnt(0)
	v_add_co_u32 v8, vcc_lo, v0, s17
	v_add_co_ci_u32_e32 v9, vcc_lo, s16, v1, vcc_lo
	s_and_saveexec_b32 s15, s4
	s_cbranch_execz .LBB6_1393
; %bb.1392:
	v_mov_b32_e32 v10, s5
	v_mov_b32_e32 v11, v6
	;; [unrolled: 1-line block ×4, first 2 shown]
	global_store_dwordx4 v[8:9], v[10:13], off offset:8
.LBB6_1393:
	s_or_b32 exec_lo, exec_lo, s15
	s_lshl_b64 s[10:11], s[10:11], 12
	s_mov_b32 s16, 0
	v_add_co_u32 v2, vcc_lo, v2, s10
	v_add_co_ci_u32_e32 v3, vcc_lo, s11, v3, vcc_lo
	s_mov_b32 s17, s16
	v_add_co_u32 v10, vcc_lo, v2, v48
	s_mov_b32 s18, s16
	s_mov_b32 s19, s16
	v_and_or_b32 v4, 0xffffff1f, v4, 32
	v_mov_b32_e32 v7, v6
	v_readfirstlane_b32 s10, v2
	v_readfirstlane_b32 s11, v3
	v_mov_b32_e32 v12, s16
	v_add_co_ci_u32_e32 v11, vcc_lo, 0, v3, vcc_lo
	v_mov_b32_e32 v13, s17
	v_mov_b32_e32 v14, s18
	;; [unrolled: 1-line block ×3, first 2 shown]
	global_store_dwordx4 v48, v[4:7], s[10:11]
	global_store_dwordx4 v48, v[12:15], s[10:11] offset:16
	global_store_dwordx4 v48, v[12:15], s[10:11] offset:32
	;; [unrolled: 1-line block ×3, first 2 shown]
	s_and_saveexec_b32 s5, s4
	s_cbranch_execz .LBB6_1401
; %bb.1394:
	v_mov_b32_e32 v6, 0
	v_mov_b32_e32 v12, s6
	;; [unrolled: 1-line block ×3, first 2 shown]
	s_clause 0x1
	global_load_dwordx2 v[14:15], v6, s[26:27] offset:32 glc dlc
	global_load_dwordx2 v[2:3], v6, s[26:27] offset:40
	s_waitcnt vmcnt(0)
	v_readfirstlane_b32 s10, v2
	v_readfirstlane_b32 s11, v3
	s_and_b64 s[10:11], s[10:11], s[6:7]
	s_mul_i32 s11, s11, 24
	s_mul_hi_u32 s15, s10, 24
	s_mul_i32 s10, s10, 24
	s_add_i32 s15, s15, s11
	v_add_co_u32 v4, vcc_lo, v0, s10
	v_add_co_ci_u32_e32 v5, vcc_lo, s15, v1, vcc_lo
	s_mov_b32 s10, exec_lo
	global_store_dwordx2 v[4:5], v[14:15], off
	s_waitcnt_vscnt null, 0x0
	global_atomic_cmpswap_x2 v[2:3], v6, v[12:15], s[26:27] offset:32 glc
	s_waitcnt vmcnt(0)
	v_cmpx_ne_u64_e64 v[2:3], v[14:15]
	s_cbranch_execz .LBB6_1397
; %bb.1395:
	s_mov_b32 s11, 0
.LBB6_1396:                             ; =>This Inner Loop Header: Depth=1
	v_mov_b32_e32 v0, s6
	v_mov_b32_e32 v1, s7
	s_sleep 1
	global_store_dwordx2 v[4:5], v[2:3], off
	s_waitcnt_vscnt null, 0x0
	global_atomic_cmpswap_x2 v[0:1], v6, v[0:3], s[26:27] offset:32 glc
	s_waitcnt vmcnt(0)
	v_cmp_eq_u64_e32 vcc_lo, v[0:1], v[2:3]
	v_mov_b32_e32 v3, v1
	v_mov_b32_e32 v2, v0
	s_or_b32 s11, vcc_lo, s11
	s_andn2_b32 exec_lo, exec_lo, s11
	s_cbranch_execnz .LBB6_1396
.LBB6_1397:
	s_or_b32 exec_lo, exec_lo, s10
	v_mov_b32_e32 v3, 0
	s_mov_b32 s11, exec_lo
	s_mov_b32 s10, exec_lo
	v_mbcnt_lo_u32_b32 v2, s11, 0
	global_load_dwordx2 v[0:1], v3, s[26:27] offset:16
	v_cmpx_eq_u32_e32 0, v2
	s_cbranch_execz .LBB6_1399
; %bb.1398:
	s_bcnt1_i32_b32 s11, s11
	v_mov_b32_e32 v2, s11
	s_waitcnt vmcnt(0)
	global_atomic_add_x2 v[0:1], v[2:3], off offset:8
.LBB6_1399:
	s_or_b32 exec_lo, exec_lo, s10
	s_waitcnt vmcnt(0)
	global_load_dwordx2 v[2:3], v[0:1], off offset:16
	s_waitcnt vmcnt(0)
	v_cmp_eq_u64_e32 vcc_lo, 0, v[2:3]
	s_cbranch_vccnz .LBB6_1401
; %bb.1400:
	global_load_dword v0, v[0:1], off offset:24
	v_mov_b32_e32 v1, 0
	s_waitcnt vmcnt(0)
	v_and_b32_e32 v4, 0x7fffff, v0
	s_waitcnt_vscnt null, 0x0
	global_store_dwordx2 v[2:3], v[0:1], off
	v_readfirstlane_b32 m0, v4
	s_sendmsg sendmsg(MSG_INTERRUPT)
.LBB6_1401:
	s_or_b32 exec_lo, exec_lo, s5
	s_branch .LBB6_1405
	.p2align	6
.LBB6_1402:                             ;   in Loop: Header=BB6_1405 Depth=1
	s_or_b32 exec_lo, exec_lo, s5
	v_readfirstlane_b32 s5, v0
	s_cmp_eq_u32 s5, 0
	s_cbranch_scc1 .LBB6_1404
; %bb.1403:                             ;   in Loop: Header=BB6_1405 Depth=1
	s_sleep 1
	s_cbranch_execnz .LBB6_1405
	s_branch .LBB6_1407
	.p2align	6
.LBB6_1404:
	s_branch .LBB6_1407
.LBB6_1405:                             ; =>This Inner Loop Header: Depth=1
	v_mov_b32_e32 v0, 1
	s_and_saveexec_b32 s5, s4
	s_cbranch_execz .LBB6_1402
; %bb.1406:                             ;   in Loop: Header=BB6_1405 Depth=1
	global_load_dword v0, v[8:9], off offset:20 glc dlc
	s_waitcnt vmcnt(0)
	buffer_gl1_inv
	buffer_gl0_inv
	v_and_b32_e32 v0, 1, v0
	s_branch .LBB6_1402
.LBB6_1407:
	global_load_dwordx2 v[0:1], v[10:11], off
	s_and_saveexec_b32 s5, s4
	s_cbranch_execz .LBB6_1411
; %bb.1408:
	v_mov_b32_e32 v8, 0
	s_clause 0x2
	global_load_dwordx2 v[4:5], v8, s[26:27] offset:40
	global_load_dwordx2 v[9:10], v8, s[26:27] offset:24 glc dlc
	global_load_dwordx2 v[6:7], v8, s[26:27]
	s_waitcnt vmcnt(2)
	v_add_co_u32 v11, vcc_lo, v4, 1
	v_add_co_ci_u32_e32 v12, vcc_lo, 0, v5, vcc_lo
	v_add_co_u32 v2, vcc_lo, v11, s6
	v_add_co_ci_u32_e32 v3, vcc_lo, s7, v12, vcc_lo
	v_cmp_eq_u64_e32 vcc_lo, 0, v[2:3]
	v_cndmask_b32_e32 v3, v3, v12, vcc_lo
	v_cndmask_b32_e32 v2, v2, v11, vcc_lo
	v_and_b32_e32 v5, v3, v5
	v_and_b32_e32 v4, v2, v4
	v_mul_lo_u32 v5, v5, 24
	v_mul_hi_u32 v11, v4, 24
	v_mul_lo_u32 v4, v4, 24
	v_add_nc_u32_e32 v5, v11, v5
	s_waitcnt vmcnt(0)
	v_add_co_u32 v6, vcc_lo, v6, v4
	v_mov_b32_e32 v4, v9
	v_add_co_ci_u32_e32 v7, vcc_lo, v7, v5, vcc_lo
	v_mov_b32_e32 v5, v10
	global_store_dwordx2 v[6:7], v[9:10], off
	s_waitcnt_vscnt null, 0x0
	global_atomic_cmpswap_x2 v[4:5], v8, v[2:5], s[26:27] offset:24 glc
	s_waitcnt vmcnt(0)
	v_cmp_ne_u64_e32 vcc_lo, v[4:5], v[9:10]
	s_and_b32 exec_lo, exec_lo, vcc_lo
	s_cbranch_execz .LBB6_1411
; %bb.1409:
	s_mov_b32 s4, 0
.LBB6_1410:                             ; =>This Inner Loop Header: Depth=1
	s_sleep 1
	global_store_dwordx2 v[6:7], v[4:5], off
	s_waitcnt_vscnt null, 0x0
	global_atomic_cmpswap_x2 v[9:10], v8, v[2:5], s[26:27] offset:24 glc
	s_waitcnt vmcnt(0)
	v_cmp_eq_u64_e32 vcc_lo, v[9:10], v[4:5]
	v_mov_b32_e32 v4, v9
	v_mov_b32_e32 v5, v10
	s_or_b32 s4, vcc_lo, s4
	s_andn2_b32 exec_lo, exec_lo, s4
	s_cbranch_execnz .LBB6_1410
.LBB6_1411:
	s_or_b32 exec_lo, exec_lo, s5
.LBB6_1412:
	s_getpc_b64 s[6:7]
	s_add_u32 s6, s6, .str.2@rel32@lo+4
	s_addc_u32 s7, s7, .str.2@rel32@hi+12
	s_cmp_lg_u64 s[6:7], 0
	s_cbranch_scc0 .LBB6_1491
; %bb.1413:
	s_waitcnt vmcnt(0)
	v_and_b32_e32 v6, -3, v0
	v_mov_b32_e32 v7, v1
	v_mov_b32_e32 v3, 0
	;; [unrolled: 1-line block ×4, first 2 shown]
	s_mov_b64 s[10:11], 13
	s_branch .LBB6_1415
.LBB6_1414:                             ;   in Loop: Header=BB6_1415 Depth=1
	s_or_b32 exec_lo, exec_lo, s5
	s_sub_u32 s10, s10, s16
	s_subb_u32 s11, s11, s17
	s_add_u32 s6, s6, s16
	s_addc_u32 s7, s7, s17
	s_cmp_lg_u64 s[10:11], 0
	s_cbranch_scc0 .LBB6_1490
.LBB6_1415:                             ; =>This Loop Header: Depth=1
                                        ;     Child Loop BB6_1424 Depth 2
                                        ;     Child Loop BB6_1420 Depth 2
	;; [unrolled: 1-line block ×11, first 2 shown]
	v_cmp_lt_u64_e64 s4, s[10:11], 56
	v_cmp_gt_u64_e64 s5, s[10:11], 7
                                        ; implicit-def: $sgpr15
	s_and_b32 s4, s4, exec_lo
	s_cselect_b32 s17, s11, 0
	s_cselect_b32 s16, s10, 56
	s_and_b32 vcc_lo, exec_lo, s5
	s_mov_b32 s4, -1
	s_cbranch_vccz .LBB6_1422
; %bb.1416:                             ;   in Loop: Header=BB6_1415 Depth=1
	s_andn2_b32 vcc_lo, exec_lo, s4
	s_mov_b64 s[4:5], s[6:7]
	s_cbranch_vccz .LBB6_1426
.LBB6_1417:                             ;   in Loop: Header=BB6_1415 Depth=1
	s_cmp_gt_u32 s15, 7
	s_cbranch_scc1 .LBB6_1427
.LBB6_1418:                             ;   in Loop: Header=BB6_1415 Depth=1
	v_mov_b32_e32 v10, 0
	v_mov_b32_e32 v11, 0
	s_cmp_eq_u32 s15, 0
	s_cbranch_scc1 .LBB6_1421
; %bb.1419:                             ;   in Loop: Header=BB6_1415 Depth=1
	s_mov_b64 s[18:19], 0
	s_mov_b64 s[20:21], 0
.LBB6_1420:                             ;   Parent Loop BB6_1415 Depth=1
                                        ; =>  This Inner Loop Header: Depth=2
	s_add_u32 s22, s4, s20
	s_addc_u32 s23, s5, s21
	s_add_u32 s20, s20, 1
	global_load_ubyte v2, v3, s[22:23]
	s_addc_u32 s21, s21, 0
	s_waitcnt vmcnt(0)
	v_and_b32_e32 v2, 0xffff, v2
	v_lshlrev_b64 v[12:13], s18, v[2:3]
	s_add_u32 s18, s18, 8
	s_addc_u32 s19, s19, 0
	s_cmp_lg_u32 s15, s20
	v_or_b32_e32 v10, v12, v10
	v_or_b32_e32 v11, v13, v11
	s_cbranch_scc1 .LBB6_1420
.LBB6_1421:                             ;   in Loop: Header=BB6_1415 Depth=1
	s_mov_b32 s22, 0
	s_cbranch_execz .LBB6_1428
	s_branch .LBB6_1429
.LBB6_1422:                             ;   in Loop: Header=BB6_1415 Depth=1
	s_waitcnt vmcnt(0)
	v_mov_b32_e32 v8, 0
	v_mov_b32_e32 v9, 0
	s_cmp_eq_u64 s[10:11], 0
	s_mov_b64 s[4:5], 0
	s_cbranch_scc1 .LBB6_1425
; %bb.1423:                             ;   in Loop: Header=BB6_1415 Depth=1
	v_mov_b32_e32 v8, 0
	v_mov_b32_e32 v9, 0
	s_lshl_b64 s[18:19], s[16:17], 3
	s_mov_b64 s[20:21], s[6:7]
.LBB6_1424:                             ;   Parent Loop BB6_1415 Depth=1
                                        ; =>  This Inner Loop Header: Depth=2
	global_load_ubyte v2, v3, s[20:21]
	s_waitcnt vmcnt(0)
	v_and_b32_e32 v2, 0xffff, v2
	v_lshlrev_b64 v[10:11], s4, v[2:3]
	s_add_u32 s4, s4, 8
	s_addc_u32 s5, s5, 0
	s_add_u32 s20, s20, 1
	s_addc_u32 s21, s21, 0
	s_cmp_lg_u32 s18, s4
	v_or_b32_e32 v8, v10, v8
	v_or_b32_e32 v9, v11, v9
	s_cbranch_scc1 .LBB6_1424
.LBB6_1425:                             ;   in Loop: Header=BB6_1415 Depth=1
	s_mov_b32 s15, 0
	s_mov_b64 s[4:5], s[6:7]
	s_cbranch_execnz .LBB6_1417
.LBB6_1426:                             ;   in Loop: Header=BB6_1415 Depth=1
	global_load_dwordx2 v[8:9], v3, s[6:7]
	s_add_i32 s15, s16, -8
	s_add_u32 s4, s6, 8
	s_addc_u32 s5, s7, 0
	s_cmp_gt_u32 s15, 7
	s_cbranch_scc0 .LBB6_1418
.LBB6_1427:                             ;   in Loop: Header=BB6_1415 Depth=1
                                        ; implicit-def: $vgpr10_vgpr11
                                        ; implicit-def: $sgpr22
.LBB6_1428:                             ;   in Loop: Header=BB6_1415 Depth=1
	global_load_dwordx2 v[10:11], v3, s[4:5]
	s_add_i32 s22, s15, -8
	s_add_u32 s4, s4, 8
	s_addc_u32 s5, s5, 0
.LBB6_1429:                             ;   in Loop: Header=BB6_1415 Depth=1
	s_cmp_gt_u32 s22, 7
	s_cbranch_scc1 .LBB6_1434
; %bb.1430:                             ;   in Loop: Header=BB6_1415 Depth=1
	v_mov_b32_e32 v12, 0
	v_mov_b32_e32 v13, 0
	s_cmp_eq_u32 s22, 0
	s_cbranch_scc1 .LBB6_1433
; %bb.1431:                             ;   in Loop: Header=BB6_1415 Depth=1
	s_mov_b64 s[18:19], 0
	s_mov_b64 s[20:21], 0
.LBB6_1432:                             ;   Parent Loop BB6_1415 Depth=1
                                        ; =>  This Inner Loop Header: Depth=2
	s_add_u32 s24, s4, s20
	s_addc_u32 s25, s5, s21
	s_add_u32 s20, s20, 1
	global_load_ubyte v2, v3, s[24:25]
	s_addc_u32 s21, s21, 0
	s_waitcnt vmcnt(0)
	v_and_b32_e32 v2, 0xffff, v2
	v_lshlrev_b64 v[14:15], s18, v[2:3]
	s_add_u32 s18, s18, 8
	s_addc_u32 s19, s19, 0
	s_cmp_lg_u32 s22, s20
	v_or_b32_e32 v12, v14, v12
	v_or_b32_e32 v13, v15, v13
	s_cbranch_scc1 .LBB6_1432
.LBB6_1433:                             ;   in Loop: Header=BB6_1415 Depth=1
	s_mov_b32 s15, 0
	s_cbranch_execz .LBB6_1435
	s_branch .LBB6_1436
.LBB6_1434:                             ;   in Loop: Header=BB6_1415 Depth=1
                                        ; implicit-def: $sgpr15
.LBB6_1435:                             ;   in Loop: Header=BB6_1415 Depth=1
	global_load_dwordx2 v[12:13], v3, s[4:5]
	s_add_i32 s15, s22, -8
	s_add_u32 s4, s4, 8
	s_addc_u32 s5, s5, 0
.LBB6_1436:                             ;   in Loop: Header=BB6_1415 Depth=1
	s_cmp_gt_u32 s15, 7
	s_cbranch_scc1 .LBB6_1441
; %bb.1437:                             ;   in Loop: Header=BB6_1415 Depth=1
	v_mov_b32_e32 v14, 0
	v_mov_b32_e32 v15, 0
	s_cmp_eq_u32 s15, 0
	s_cbranch_scc1 .LBB6_1440
; %bb.1438:                             ;   in Loop: Header=BB6_1415 Depth=1
	s_mov_b64 s[18:19], 0
	s_mov_b64 s[20:21], 0
.LBB6_1439:                             ;   Parent Loop BB6_1415 Depth=1
                                        ; =>  This Inner Loop Header: Depth=2
	s_add_u32 s22, s4, s20
	s_addc_u32 s23, s5, s21
	s_add_u32 s20, s20, 1
	global_load_ubyte v2, v3, s[22:23]
	s_addc_u32 s21, s21, 0
	s_waitcnt vmcnt(0)
	v_and_b32_e32 v2, 0xffff, v2
	v_lshlrev_b64 v[16:17], s18, v[2:3]
	s_add_u32 s18, s18, 8
	s_addc_u32 s19, s19, 0
	s_cmp_lg_u32 s15, s20
	v_or_b32_e32 v14, v16, v14
	v_or_b32_e32 v15, v17, v15
	s_cbranch_scc1 .LBB6_1439
.LBB6_1440:                             ;   in Loop: Header=BB6_1415 Depth=1
	s_mov_b32 s22, 0
	s_cbranch_execz .LBB6_1442
	s_branch .LBB6_1443
.LBB6_1441:                             ;   in Loop: Header=BB6_1415 Depth=1
                                        ; implicit-def: $vgpr14_vgpr15
                                        ; implicit-def: $sgpr22
.LBB6_1442:                             ;   in Loop: Header=BB6_1415 Depth=1
	global_load_dwordx2 v[14:15], v3, s[4:5]
	s_add_i32 s22, s15, -8
	s_add_u32 s4, s4, 8
	s_addc_u32 s5, s5, 0
.LBB6_1443:                             ;   in Loop: Header=BB6_1415 Depth=1
	s_cmp_gt_u32 s22, 7
	s_cbranch_scc1 .LBB6_1448
; %bb.1444:                             ;   in Loop: Header=BB6_1415 Depth=1
	v_mov_b32_e32 v16, 0
	v_mov_b32_e32 v17, 0
	s_cmp_eq_u32 s22, 0
	s_cbranch_scc1 .LBB6_1447
; %bb.1445:                             ;   in Loop: Header=BB6_1415 Depth=1
	s_mov_b64 s[18:19], 0
	s_mov_b64 s[20:21], 0
.LBB6_1446:                             ;   Parent Loop BB6_1415 Depth=1
                                        ; =>  This Inner Loop Header: Depth=2
	s_add_u32 s24, s4, s20
	s_addc_u32 s25, s5, s21
	s_add_u32 s20, s20, 1
	global_load_ubyte v2, v3, s[24:25]
	s_addc_u32 s21, s21, 0
	s_waitcnt vmcnt(0)
	v_and_b32_e32 v2, 0xffff, v2
	v_lshlrev_b64 v[18:19], s18, v[2:3]
	s_add_u32 s18, s18, 8
	s_addc_u32 s19, s19, 0
	s_cmp_lg_u32 s22, s20
	v_or_b32_e32 v16, v18, v16
	v_or_b32_e32 v17, v19, v17
	s_cbranch_scc1 .LBB6_1446
.LBB6_1447:                             ;   in Loop: Header=BB6_1415 Depth=1
	s_mov_b32 s15, 0
	s_cbranch_execz .LBB6_1449
	s_branch .LBB6_1450
.LBB6_1448:                             ;   in Loop: Header=BB6_1415 Depth=1
                                        ; implicit-def: $sgpr15
.LBB6_1449:                             ;   in Loop: Header=BB6_1415 Depth=1
	global_load_dwordx2 v[16:17], v3, s[4:5]
	s_add_i32 s15, s22, -8
	s_add_u32 s4, s4, 8
	s_addc_u32 s5, s5, 0
.LBB6_1450:                             ;   in Loop: Header=BB6_1415 Depth=1
	s_cmp_gt_u32 s15, 7
	s_cbranch_scc1 .LBB6_1455
; %bb.1451:                             ;   in Loop: Header=BB6_1415 Depth=1
	v_mov_b32_e32 v18, 0
	v_mov_b32_e32 v19, 0
	s_cmp_eq_u32 s15, 0
	s_cbranch_scc1 .LBB6_1454
; %bb.1452:                             ;   in Loop: Header=BB6_1415 Depth=1
	s_mov_b64 s[18:19], 0
	s_mov_b64 s[20:21], 0
.LBB6_1453:                             ;   Parent Loop BB6_1415 Depth=1
                                        ; =>  This Inner Loop Header: Depth=2
	s_add_u32 s22, s4, s20
	s_addc_u32 s23, s5, s21
	s_add_u32 s20, s20, 1
	global_load_ubyte v2, v3, s[22:23]
	s_addc_u32 s21, s21, 0
	s_waitcnt vmcnt(0)
	v_and_b32_e32 v2, 0xffff, v2
	v_lshlrev_b64 v[20:21], s18, v[2:3]
	s_add_u32 s18, s18, 8
	s_addc_u32 s19, s19, 0
	s_cmp_lg_u32 s15, s20
	v_or_b32_e32 v18, v20, v18
	v_or_b32_e32 v19, v21, v19
	s_cbranch_scc1 .LBB6_1453
.LBB6_1454:                             ;   in Loop: Header=BB6_1415 Depth=1
	s_mov_b32 s22, 0
	s_cbranch_execz .LBB6_1456
	s_branch .LBB6_1457
.LBB6_1455:                             ;   in Loop: Header=BB6_1415 Depth=1
                                        ; implicit-def: $vgpr18_vgpr19
                                        ; implicit-def: $sgpr22
.LBB6_1456:                             ;   in Loop: Header=BB6_1415 Depth=1
	global_load_dwordx2 v[18:19], v3, s[4:5]
	s_add_i32 s22, s15, -8
	s_add_u32 s4, s4, 8
	s_addc_u32 s5, s5, 0
.LBB6_1457:                             ;   in Loop: Header=BB6_1415 Depth=1
	s_cmp_gt_u32 s22, 7
	s_cbranch_scc1 .LBB6_1462
; %bb.1458:                             ;   in Loop: Header=BB6_1415 Depth=1
	v_mov_b32_e32 v20, 0
	v_mov_b32_e32 v21, 0
	s_cmp_eq_u32 s22, 0
	s_cbranch_scc1 .LBB6_1461
; %bb.1459:                             ;   in Loop: Header=BB6_1415 Depth=1
	s_mov_b64 s[18:19], 0
	s_mov_b64 s[20:21], s[4:5]
.LBB6_1460:                             ;   Parent Loop BB6_1415 Depth=1
                                        ; =>  This Inner Loop Header: Depth=2
	global_load_ubyte v2, v3, s[20:21]
	s_add_i32 s22, s22, -1
	s_waitcnt vmcnt(0)
	v_and_b32_e32 v2, 0xffff, v2
	v_lshlrev_b64 v[22:23], s18, v[2:3]
	s_add_u32 s18, s18, 8
	s_addc_u32 s19, s19, 0
	s_add_u32 s20, s20, 1
	s_addc_u32 s21, s21, 0
	s_cmp_lg_u32 s22, 0
	v_or_b32_e32 v20, v22, v20
	v_or_b32_e32 v21, v23, v21
	s_cbranch_scc1 .LBB6_1460
.LBB6_1461:                             ;   in Loop: Header=BB6_1415 Depth=1
	s_cbranch_execz .LBB6_1463
	s_branch .LBB6_1464
.LBB6_1462:                             ;   in Loop: Header=BB6_1415 Depth=1
.LBB6_1463:                             ;   in Loop: Header=BB6_1415 Depth=1
	global_load_dwordx2 v[20:21], v3, s[4:5]
.LBB6_1464:                             ;   in Loop: Header=BB6_1415 Depth=1
	v_readfirstlane_b32 s4, v49
	v_mov_b32_e32 v26, 0
	v_mov_b32_e32 v27, 0
	v_cmp_eq_u32_e64 s4, s4, v49
	s_and_saveexec_b32 s5, s4
	s_cbranch_execz .LBB6_1470
; %bb.1465:                             ;   in Loop: Header=BB6_1415 Depth=1
	global_load_dwordx2 v[24:25], v3, s[26:27] offset:24 glc dlc
	s_waitcnt vmcnt(0)
	buffer_gl1_inv
	buffer_gl0_inv
	s_clause 0x1
	global_load_dwordx2 v[22:23], v3, s[26:27] offset:40
	global_load_dwordx2 v[26:27], v3, s[26:27]
	s_mov_b32 s15, exec_lo
	s_waitcnt vmcnt(1)
	v_and_b32_e32 v2, v23, v25
	v_and_b32_e32 v22, v22, v24
	v_mul_lo_u32 v2, v2, 24
	v_mul_hi_u32 v23, v22, 24
	v_mul_lo_u32 v22, v22, 24
	v_add_nc_u32_e32 v2, v23, v2
	s_waitcnt vmcnt(0)
	v_add_co_u32 v22, vcc_lo, v26, v22
	v_add_co_ci_u32_e32 v23, vcc_lo, v27, v2, vcc_lo
	global_load_dwordx2 v[22:23], v[22:23], off glc dlc
	s_waitcnt vmcnt(0)
	global_atomic_cmpswap_x2 v[26:27], v3, v[22:25], s[26:27] offset:24 glc
	s_waitcnt vmcnt(0)
	buffer_gl1_inv
	buffer_gl0_inv
	v_cmpx_ne_u64_e64 v[26:27], v[24:25]
	s_cbranch_execz .LBB6_1469
; %bb.1466:                             ;   in Loop: Header=BB6_1415 Depth=1
	s_mov_b32 s18, 0
	.p2align	6
.LBB6_1467:                             ;   Parent Loop BB6_1415 Depth=1
                                        ; =>  This Inner Loop Header: Depth=2
	s_sleep 1
	s_clause 0x1
	global_load_dwordx2 v[22:23], v3, s[26:27] offset:40
	global_load_dwordx2 v[28:29], v3, s[26:27]
	v_mov_b32_e32 v24, v26
	v_mov_b32_e32 v25, v27
	s_waitcnt vmcnt(1)
	v_and_b32_e32 v2, v22, v24
	v_and_b32_e32 v22, v23, v25
	s_waitcnt vmcnt(0)
	v_mad_u64_u32 v[26:27], null, v2, 24, v[28:29]
	v_mov_b32_e32 v2, v27
	v_mad_u64_u32 v[22:23], null, v22, 24, v[2:3]
	v_mov_b32_e32 v27, v22
	global_load_dwordx2 v[22:23], v[26:27], off glc dlc
	s_waitcnt vmcnt(0)
	global_atomic_cmpswap_x2 v[26:27], v3, v[22:25], s[26:27] offset:24 glc
	s_waitcnt vmcnt(0)
	buffer_gl1_inv
	buffer_gl0_inv
	v_cmp_eq_u64_e32 vcc_lo, v[26:27], v[24:25]
	s_or_b32 s18, vcc_lo, s18
	s_andn2_b32 exec_lo, exec_lo, s18
	s_cbranch_execnz .LBB6_1467
; %bb.1468:                             ;   in Loop: Header=BB6_1415 Depth=1
	s_or_b32 exec_lo, exec_lo, s18
.LBB6_1469:                             ;   in Loop: Header=BB6_1415 Depth=1
	s_or_b32 exec_lo, exec_lo, s15
.LBB6_1470:                             ;   in Loop: Header=BB6_1415 Depth=1
	s_or_b32 exec_lo, exec_lo, s5
	s_clause 0x1
	global_load_dwordx2 v[28:29], v3, s[26:27] offset:40
	global_load_dwordx4 v[22:25], v3, s[26:27]
	v_readfirstlane_b32 s18, v26
	v_readfirstlane_b32 s19, v27
	s_mov_b32 s5, exec_lo
	s_waitcnt vmcnt(1)
	v_readfirstlane_b32 s20, v28
	v_readfirstlane_b32 s21, v29
	s_and_b64 s[20:21], s[18:19], s[20:21]
	s_mul_i32 s15, s21, 24
	s_mul_hi_u32 s22, s20, 24
	s_mul_i32 s23, s20, 24
	s_add_i32 s22, s22, s15
	s_waitcnt vmcnt(0)
	v_add_co_u32 v26, vcc_lo, v22, s23
	v_add_co_ci_u32_e32 v27, vcc_lo, s22, v23, vcc_lo
	s_and_saveexec_b32 s15, s4
	s_cbranch_execz .LBB6_1472
; %bb.1471:                             ;   in Loop: Header=BB6_1415 Depth=1
	v_mov_b32_e32 v2, s5
	global_store_dwordx4 v[26:27], v[2:5], off offset:8
.LBB6_1472:                             ;   in Loop: Header=BB6_1415 Depth=1
	s_or_b32 exec_lo, exec_lo, s15
	s_lshl_b64 s[20:21], s[20:21], 12
	v_or_b32_e32 v2, 2, v6
	v_add_co_u32 v24, vcc_lo, v24, s20
	v_add_co_ci_u32_e32 v25, vcc_lo, s21, v25, vcc_lo
	v_cmp_gt_u64_e64 vcc_lo, s[10:11], 56
	s_lshl_b32 s5, s16, 2
	v_readfirstlane_b32 s20, v24
	s_add_i32 s5, s5, 28
	v_readfirstlane_b32 s21, v25
	s_and_b32 s5, s5, 0x1e0
	v_cndmask_b32_e32 v2, v2, v6, vcc_lo
	v_and_or_b32 v6, 0xffffff1f, v2, s5
	global_store_dwordx4 v48, v[10:13], s[20:21] offset:16
	global_store_dwordx4 v48, v[6:9], s[20:21]
	global_store_dwordx4 v48, v[14:17], s[20:21] offset:32
	global_store_dwordx4 v48, v[18:21], s[20:21] offset:48
	s_and_saveexec_b32 s5, s4
	s_cbranch_execz .LBB6_1480
; %bb.1473:                             ;   in Loop: Header=BB6_1415 Depth=1
	s_clause 0x1
	global_load_dwordx2 v[14:15], v3, s[26:27] offset:32 glc dlc
	global_load_dwordx2 v[6:7], v3, s[26:27] offset:40
	v_mov_b32_e32 v12, s18
	v_mov_b32_e32 v13, s19
	s_waitcnt vmcnt(0)
	v_readfirstlane_b32 s20, v6
	v_readfirstlane_b32 s21, v7
	s_and_b64 s[20:21], s[20:21], s[18:19]
	s_mul_i32 s15, s21, 24
	s_mul_hi_u32 s21, s20, 24
	s_mul_i32 s20, s20, 24
	s_add_i32 s21, s21, s15
	v_add_co_u32 v10, vcc_lo, v22, s20
	v_add_co_ci_u32_e32 v11, vcc_lo, s21, v23, vcc_lo
	s_mov_b32 s15, exec_lo
	global_store_dwordx2 v[10:11], v[14:15], off
	s_waitcnt_vscnt null, 0x0
	global_atomic_cmpswap_x2 v[8:9], v3, v[12:15], s[26:27] offset:32 glc
	s_waitcnt vmcnt(0)
	v_cmpx_ne_u64_e64 v[8:9], v[14:15]
	s_cbranch_execz .LBB6_1476
; %bb.1474:                             ;   in Loop: Header=BB6_1415 Depth=1
	s_mov_b32 s20, 0
.LBB6_1475:                             ;   Parent Loop BB6_1415 Depth=1
                                        ; =>  This Inner Loop Header: Depth=2
	v_mov_b32_e32 v6, s18
	v_mov_b32_e32 v7, s19
	s_sleep 1
	global_store_dwordx2 v[10:11], v[8:9], off
	s_waitcnt_vscnt null, 0x0
	global_atomic_cmpswap_x2 v[6:7], v3, v[6:9], s[26:27] offset:32 glc
	s_waitcnt vmcnt(0)
	v_cmp_eq_u64_e32 vcc_lo, v[6:7], v[8:9]
	v_mov_b32_e32 v9, v7
	v_mov_b32_e32 v8, v6
	s_or_b32 s20, vcc_lo, s20
	s_andn2_b32 exec_lo, exec_lo, s20
	s_cbranch_execnz .LBB6_1475
.LBB6_1476:                             ;   in Loop: Header=BB6_1415 Depth=1
	s_or_b32 exec_lo, exec_lo, s15
	global_load_dwordx2 v[6:7], v3, s[26:27] offset:16
	s_mov_b32 s20, exec_lo
	s_mov_b32 s15, exec_lo
	v_mbcnt_lo_u32_b32 v2, s20, 0
	v_cmpx_eq_u32_e32 0, v2
	s_cbranch_execz .LBB6_1478
; %bb.1477:                             ;   in Loop: Header=BB6_1415 Depth=1
	s_bcnt1_i32_b32 s20, s20
	v_mov_b32_e32 v2, s20
	s_waitcnt vmcnt(0)
	global_atomic_add_x2 v[6:7], v[2:3], off offset:8
.LBB6_1478:                             ;   in Loop: Header=BB6_1415 Depth=1
	s_or_b32 exec_lo, exec_lo, s15
	s_waitcnt vmcnt(0)
	global_load_dwordx2 v[8:9], v[6:7], off offset:16
	s_waitcnt vmcnt(0)
	v_cmp_eq_u64_e32 vcc_lo, 0, v[8:9]
	s_cbranch_vccnz .LBB6_1480
; %bb.1479:                             ;   in Loop: Header=BB6_1415 Depth=1
	global_load_dword v2, v[6:7], off offset:24
	s_waitcnt vmcnt(0)
	v_and_b32_e32 v6, 0x7fffff, v2
	s_waitcnt_vscnt null, 0x0
	global_store_dwordx2 v[8:9], v[2:3], off
	v_readfirstlane_b32 m0, v6
	s_sendmsg sendmsg(MSG_INTERRUPT)
.LBB6_1480:                             ;   in Loop: Header=BB6_1415 Depth=1
	s_or_b32 exec_lo, exec_lo, s5
	v_add_co_u32 v6, vcc_lo, v24, v48
	v_add_co_ci_u32_e32 v7, vcc_lo, 0, v25, vcc_lo
	s_branch .LBB6_1484
	.p2align	6
.LBB6_1481:                             ;   in Loop: Header=BB6_1484 Depth=2
	s_or_b32 exec_lo, exec_lo, s5
	v_readfirstlane_b32 s5, v2
	s_cmp_eq_u32 s5, 0
	s_cbranch_scc1 .LBB6_1483
; %bb.1482:                             ;   in Loop: Header=BB6_1484 Depth=2
	s_sleep 1
	s_cbranch_execnz .LBB6_1484
	s_branch .LBB6_1486
	.p2align	6
.LBB6_1483:                             ;   in Loop: Header=BB6_1415 Depth=1
	s_branch .LBB6_1486
.LBB6_1484:                             ;   Parent Loop BB6_1415 Depth=1
                                        ; =>  This Inner Loop Header: Depth=2
	v_mov_b32_e32 v2, 1
	s_and_saveexec_b32 s5, s4
	s_cbranch_execz .LBB6_1481
; %bb.1485:                             ;   in Loop: Header=BB6_1484 Depth=2
	global_load_dword v2, v[26:27], off offset:20 glc dlc
	s_waitcnt vmcnt(0)
	buffer_gl1_inv
	buffer_gl0_inv
	v_and_b32_e32 v2, 1, v2
	s_branch .LBB6_1481
.LBB6_1486:                             ;   in Loop: Header=BB6_1415 Depth=1
	global_load_dwordx4 v[6:9], v[6:7], off
	s_and_saveexec_b32 s5, s4
	s_cbranch_execz .LBB6_1414
; %bb.1487:                             ;   in Loop: Header=BB6_1415 Depth=1
	s_clause 0x2
	global_load_dwordx2 v[10:11], v3, s[26:27] offset:40
	global_load_dwordx2 v[14:15], v3, s[26:27] offset:24 glc dlc
	global_load_dwordx2 v[12:13], v3, s[26:27]
	s_waitcnt vmcnt(2)
	v_add_co_u32 v2, vcc_lo, v10, 1
	v_add_co_ci_u32_e32 v16, vcc_lo, 0, v11, vcc_lo
	v_add_co_u32 v8, vcc_lo, v2, s18
	v_add_co_ci_u32_e32 v9, vcc_lo, s19, v16, vcc_lo
	v_cmp_eq_u64_e32 vcc_lo, 0, v[8:9]
	v_cndmask_b32_e32 v9, v9, v16, vcc_lo
	v_cndmask_b32_e32 v8, v8, v2, vcc_lo
	v_and_b32_e32 v2, v9, v11
	v_and_b32_e32 v10, v8, v10
	v_mul_lo_u32 v2, v2, 24
	v_mul_hi_u32 v11, v10, 24
	v_mul_lo_u32 v10, v10, 24
	v_add_nc_u32_e32 v2, v11, v2
	s_waitcnt vmcnt(0)
	v_add_co_u32 v12, vcc_lo, v12, v10
	v_mov_b32_e32 v10, v14
	v_mov_b32_e32 v11, v15
	v_add_co_ci_u32_e32 v13, vcc_lo, v13, v2, vcc_lo
	global_store_dwordx2 v[12:13], v[14:15], off
	s_waitcnt_vscnt null, 0x0
	global_atomic_cmpswap_x2 v[10:11], v3, v[8:11], s[26:27] offset:24 glc
	s_waitcnt vmcnt(0)
	v_cmp_ne_u64_e32 vcc_lo, v[10:11], v[14:15]
	s_and_b32 exec_lo, exec_lo, vcc_lo
	s_cbranch_execz .LBB6_1414
; %bb.1488:                             ;   in Loop: Header=BB6_1415 Depth=1
	s_mov_b32 s4, 0
.LBB6_1489:                             ;   Parent Loop BB6_1415 Depth=1
                                        ; =>  This Inner Loop Header: Depth=2
	s_sleep 1
	global_store_dwordx2 v[12:13], v[10:11], off
	s_waitcnt_vscnt null, 0x0
	global_atomic_cmpswap_x2 v[14:15], v3, v[8:11], s[26:27] offset:24 glc
	s_waitcnt vmcnt(0)
	v_cmp_eq_u64_e32 vcc_lo, v[14:15], v[10:11]
	v_mov_b32_e32 v10, v14
	v_mov_b32_e32 v11, v15
	s_or_b32 s4, vcc_lo, s4
	s_andn2_b32 exec_lo, exec_lo, s4
	s_cbranch_execnz .LBB6_1489
	s_branch .LBB6_1414
.LBB6_1490:
	s_mov_b32 s4, 0
	s_branch .LBB6_1492
.LBB6_1491:
	s_mov_b32 s4, -1
.LBB6_1492:
	s_mov_b32 s35, s12
	s_mov_b32 s36, s13
	;; [unrolled: 1-line block ×3, first 2 shown]
	s_and_b32 vcc_lo, exec_lo, s4
	s_cbranch_vccz .LBB6_1520
; %bb.1493:
	v_readfirstlane_b32 s4, v49
	s_waitcnt vmcnt(0)
	v_mov_b32_e32 v8, 0
	v_mov_b32_e32 v9, 0
	v_cmp_eq_u32_e64 s4, s4, v49
	s_and_saveexec_b32 s5, s4
	s_cbranch_execz .LBB6_1499
; %bb.1494:
	v_mov_b32_e32 v2, 0
	s_mov_b32 s6, exec_lo
	global_load_dwordx2 v[5:6], v2, s[26:27] offset:24 glc dlc
	s_waitcnt vmcnt(0)
	buffer_gl1_inv
	buffer_gl0_inv
	s_clause 0x1
	global_load_dwordx2 v[3:4], v2, s[26:27] offset:40
	global_load_dwordx2 v[7:8], v2, s[26:27]
	s_waitcnt vmcnt(1)
	v_and_b32_e32 v4, v4, v6
	v_and_b32_e32 v3, v3, v5
	v_mul_lo_u32 v4, v4, 24
	v_mul_hi_u32 v9, v3, 24
	v_mul_lo_u32 v3, v3, 24
	v_add_nc_u32_e32 v4, v9, v4
	s_waitcnt vmcnt(0)
	v_add_co_u32 v3, vcc_lo, v7, v3
	v_add_co_ci_u32_e32 v4, vcc_lo, v8, v4, vcc_lo
	global_load_dwordx2 v[3:4], v[3:4], off glc dlc
	s_waitcnt vmcnt(0)
	global_atomic_cmpswap_x2 v[8:9], v2, v[3:6], s[26:27] offset:24 glc
	s_waitcnt vmcnt(0)
	buffer_gl1_inv
	buffer_gl0_inv
	v_cmpx_ne_u64_e64 v[8:9], v[5:6]
	s_cbranch_execz .LBB6_1498
; %bb.1495:
	s_mov_b32 s7, 0
	.p2align	6
.LBB6_1496:                             ; =>This Inner Loop Header: Depth=1
	s_sleep 1
	s_clause 0x1
	global_load_dwordx2 v[3:4], v2, s[26:27] offset:40
	global_load_dwordx2 v[10:11], v2, s[26:27]
	v_mov_b32_e32 v5, v8
	v_mov_b32_e32 v6, v9
	s_waitcnt vmcnt(1)
	v_and_b32_e32 v3, v3, v5
	v_and_b32_e32 v4, v4, v6
	s_waitcnt vmcnt(0)
	v_mad_u64_u32 v[7:8], null, v3, 24, v[10:11]
	v_mov_b32_e32 v3, v8
	v_mad_u64_u32 v[3:4], null, v4, 24, v[3:4]
	v_mov_b32_e32 v8, v3
	global_load_dwordx2 v[3:4], v[7:8], off glc dlc
	s_waitcnt vmcnt(0)
	global_atomic_cmpswap_x2 v[8:9], v2, v[3:6], s[26:27] offset:24 glc
	s_waitcnt vmcnt(0)
	buffer_gl1_inv
	buffer_gl0_inv
	v_cmp_eq_u64_e32 vcc_lo, v[8:9], v[5:6]
	s_or_b32 s7, vcc_lo, s7
	s_andn2_b32 exec_lo, exec_lo, s7
	s_cbranch_execnz .LBB6_1496
; %bb.1497:
	s_or_b32 exec_lo, exec_lo, s7
.LBB6_1498:
	s_or_b32 exec_lo, exec_lo, s6
.LBB6_1499:
	s_or_b32 exec_lo, exec_lo, s5
	v_mov_b32_e32 v2, 0
	v_readfirstlane_b32 s6, v8
	v_readfirstlane_b32 s7, v9
	s_mov_b32 s5, exec_lo
	s_clause 0x1
	global_load_dwordx2 v[10:11], v2, s[26:27] offset:40
	global_load_dwordx4 v[4:7], v2, s[26:27]
	s_waitcnt vmcnt(1)
	v_readfirstlane_b32 s10, v10
	v_readfirstlane_b32 s11, v11
	s_and_b64 s[10:11], s[6:7], s[10:11]
	s_mul_i32 s12, s11, 24
	s_mul_hi_u32 s13, s10, 24
	s_mul_i32 s14, s10, 24
	s_add_i32 s13, s13, s12
	s_waitcnt vmcnt(0)
	v_add_co_u32 v8, vcc_lo, v4, s14
	v_add_co_ci_u32_e32 v9, vcc_lo, s13, v5, vcc_lo
	s_and_saveexec_b32 s12, s4
	s_cbranch_execz .LBB6_1501
; %bb.1500:
	v_mov_b32_e32 v10, s5
	v_mov_b32_e32 v11, v2
	;; [unrolled: 1-line block ×4, first 2 shown]
	global_store_dwordx4 v[8:9], v[10:13], off offset:8
.LBB6_1501:
	s_or_b32 exec_lo, exec_lo, s12
	s_lshl_b64 s[10:11], s[10:11], 12
	s_mov_b32 s12, 0
	v_add_co_u32 v6, vcc_lo, v6, s10
	v_add_co_ci_u32_e32 v7, vcc_lo, s11, v7, vcc_lo
	s_mov_b32 s13, s12
	s_mov_b32 s14, s12
	;; [unrolled: 1-line block ×3, first 2 shown]
	v_and_or_b32 v0, 0xffffff1d, v0, 34
	v_mov_b32_e32 v3, v2
	v_readfirstlane_b32 s10, v6
	v_readfirstlane_b32 s11, v7
	v_mov_b32_e32 v10, s12
	v_mov_b32_e32 v11, s13
	;; [unrolled: 1-line block ×4, first 2 shown]
	global_store_dwordx4 v48, v[0:3], s[10:11]
	global_store_dwordx4 v48, v[10:13], s[10:11] offset:16
	global_store_dwordx4 v48, v[10:13], s[10:11] offset:32
	;; [unrolled: 1-line block ×3, first 2 shown]
	s_and_saveexec_b32 s5, s4
	s_cbranch_execz .LBB6_1509
; %bb.1502:
	v_mov_b32_e32 v6, 0
	v_mov_b32_e32 v10, s6
	;; [unrolled: 1-line block ×3, first 2 shown]
	s_clause 0x1
	global_load_dwordx2 v[12:13], v6, s[26:27] offset:32 glc dlc
	global_load_dwordx2 v[0:1], v6, s[26:27] offset:40
	s_waitcnt vmcnt(0)
	v_readfirstlane_b32 s10, v0
	v_readfirstlane_b32 s11, v1
	s_and_b64 s[10:11], s[10:11], s[6:7]
	s_mul_i32 s11, s11, 24
	s_mul_hi_u32 s12, s10, 24
	s_mul_i32 s10, s10, 24
	s_add_i32 s12, s12, s11
	v_add_co_u32 v4, vcc_lo, v4, s10
	v_add_co_ci_u32_e32 v5, vcc_lo, s12, v5, vcc_lo
	s_mov_b32 s10, exec_lo
	global_store_dwordx2 v[4:5], v[12:13], off
	s_waitcnt_vscnt null, 0x0
	global_atomic_cmpswap_x2 v[2:3], v6, v[10:13], s[26:27] offset:32 glc
	s_waitcnt vmcnt(0)
	v_cmpx_ne_u64_e64 v[2:3], v[12:13]
	s_cbranch_execz .LBB6_1505
; %bb.1503:
	s_mov_b32 s11, 0
.LBB6_1504:                             ; =>This Inner Loop Header: Depth=1
	v_mov_b32_e32 v0, s6
	v_mov_b32_e32 v1, s7
	s_sleep 1
	global_store_dwordx2 v[4:5], v[2:3], off
	s_waitcnt_vscnt null, 0x0
	global_atomic_cmpswap_x2 v[0:1], v6, v[0:3], s[26:27] offset:32 glc
	s_waitcnt vmcnt(0)
	v_cmp_eq_u64_e32 vcc_lo, v[0:1], v[2:3]
	v_mov_b32_e32 v3, v1
	v_mov_b32_e32 v2, v0
	s_or_b32 s11, vcc_lo, s11
	s_andn2_b32 exec_lo, exec_lo, s11
	s_cbranch_execnz .LBB6_1504
.LBB6_1505:
	s_or_b32 exec_lo, exec_lo, s10
	v_mov_b32_e32 v3, 0
	s_mov_b32 s11, exec_lo
	s_mov_b32 s10, exec_lo
	v_mbcnt_lo_u32_b32 v2, s11, 0
	global_load_dwordx2 v[0:1], v3, s[26:27] offset:16
	v_cmpx_eq_u32_e32 0, v2
	s_cbranch_execz .LBB6_1507
; %bb.1506:
	s_bcnt1_i32_b32 s11, s11
	v_mov_b32_e32 v2, s11
	s_waitcnt vmcnt(0)
	global_atomic_add_x2 v[0:1], v[2:3], off offset:8
.LBB6_1507:
	s_or_b32 exec_lo, exec_lo, s10
	s_waitcnt vmcnt(0)
	global_load_dwordx2 v[2:3], v[0:1], off offset:16
	s_waitcnt vmcnt(0)
	v_cmp_eq_u64_e32 vcc_lo, 0, v[2:3]
	s_cbranch_vccnz .LBB6_1509
; %bb.1508:
	global_load_dword v0, v[0:1], off offset:24
	v_mov_b32_e32 v1, 0
	s_waitcnt vmcnt(0)
	v_and_b32_e32 v4, 0x7fffff, v0
	s_waitcnt_vscnt null, 0x0
	global_store_dwordx2 v[2:3], v[0:1], off
	v_readfirstlane_b32 m0, v4
	s_sendmsg sendmsg(MSG_INTERRUPT)
.LBB6_1509:
	s_or_b32 exec_lo, exec_lo, s5
	s_branch .LBB6_1513
	.p2align	6
.LBB6_1510:                             ;   in Loop: Header=BB6_1513 Depth=1
	s_or_b32 exec_lo, exec_lo, s5
	v_readfirstlane_b32 s5, v0
	s_cmp_eq_u32 s5, 0
	s_cbranch_scc1 .LBB6_1512
; %bb.1511:                             ;   in Loop: Header=BB6_1513 Depth=1
	s_sleep 1
	s_cbranch_execnz .LBB6_1513
	s_branch .LBB6_1515
	.p2align	6
.LBB6_1512:
	s_branch .LBB6_1515
.LBB6_1513:                             ; =>This Inner Loop Header: Depth=1
	v_mov_b32_e32 v0, 1
	s_and_saveexec_b32 s5, s4
	s_cbranch_execz .LBB6_1510
; %bb.1514:                             ;   in Loop: Header=BB6_1513 Depth=1
	global_load_dword v0, v[8:9], off offset:20 glc dlc
	s_waitcnt vmcnt(0)
	buffer_gl1_inv
	buffer_gl0_inv
	v_and_b32_e32 v0, 1, v0
	s_branch .LBB6_1510
.LBB6_1515:
	s_and_saveexec_b32 s5, s4
	s_cbranch_execz .LBB6_1519
; %bb.1516:
	v_mov_b32_e32 v6, 0
	s_clause 0x2
	global_load_dwordx2 v[2:3], v6, s[26:27] offset:40
	global_load_dwordx2 v[7:8], v6, s[26:27] offset:24 glc dlc
	global_load_dwordx2 v[4:5], v6, s[26:27]
	s_waitcnt vmcnt(2)
	v_add_co_u32 v9, vcc_lo, v2, 1
	v_add_co_ci_u32_e32 v10, vcc_lo, 0, v3, vcc_lo
	v_add_co_u32 v0, vcc_lo, v9, s6
	v_add_co_ci_u32_e32 v1, vcc_lo, s7, v10, vcc_lo
	v_cmp_eq_u64_e32 vcc_lo, 0, v[0:1]
	v_cndmask_b32_e32 v1, v1, v10, vcc_lo
	v_cndmask_b32_e32 v0, v0, v9, vcc_lo
	v_and_b32_e32 v3, v1, v3
	v_and_b32_e32 v2, v0, v2
	v_mul_lo_u32 v3, v3, 24
	v_mul_hi_u32 v9, v2, 24
	v_mul_lo_u32 v2, v2, 24
	v_add_nc_u32_e32 v3, v9, v3
	s_waitcnt vmcnt(0)
	v_add_co_u32 v4, vcc_lo, v4, v2
	v_mov_b32_e32 v2, v7
	v_add_co_ci_u32_e32 v5, vcc_lo, v5, v3, vcc_lo
	v_mov_b32_e32 v3, v8
	global_store_dwordx2 v[4:5], v[7:8], off
	s_waitcnt_vscnt null, 0x0
	global_atomic_cmpswap_x2 v[2:3], v6, v[0:3], s[26:27] offset:24 glc
	s_waitcnt vmcnt(0)
	v_cmp_ne_u64_e32 vcc_lo, v[2:3], v[7:8]
	s_and_b32 exec_lo, exec_lo, vcc_lo
	s_cbranch_execz .LBB6_1519
; %bb.1517:
	s_mov_b32 s4, 0
.LBB6_1518:                             ; =>This Inner Loop Header: Depth=1
	s_sleep 1
	global_store_dwordx2 v[4:5], v[2:3], off
	s_waitcnt_vscnt null, 0x0
	global_atomic_cmpswap_x2 v[7:8], v6, v[0:3], s[26:27] offset:24 glc
	s_waitcnt vmcnt(0)
	v_cmp_eq_u64_e32 vcc_lo, v[7:8], v[2:3]
	v_mov_b32_e32 v2, v7
	v_mov_b32_e32 v3, v8
	s_or_b32 s4, vcc_lo, s4
	s_andn2_b32 exec_lo, exec_lo, s4
	s_cbranch_execnz .LBB6_1518
.LBB6_1519:
	s_or_b32 exec_lo, exec_lo, s5
.LBB6_1520:
	s_getpc_b64 s[4:5]
	s_add_u32 s4, s4, .str.13@rel32@lo+4
	s_addc_u32 s5, s5, .str.13@rel32@hi+12
	s_waitcnt vmcnt(0)
	v_mov_b32_e32 v0, s4
	v_mov_b32_e32 v1, s5
	s_mov_b64 s[38:39], src_private_base
	s_getpc_b64 s[40:41]
	s_add_u32 s40, s40, _ZNK8migraphx13basic_printerIZNS_4coutEvEUlT_E_ElsEPKc@rel32@lo+4
	s_addc_u32 s41, s41, _ZNK8migraphx13basic_printerIZNS_4coutEvEUlT_E_ElsEPKc@rel32@hi+12
	s_mov_b64 s[24:25], s[8:9]
	s_swappc_b64 s[30:31], s[40:41]
	s_getpc_b64 s[4:5]
	s_add_u32 s4, s4, .str.3@rel32@lo+4
	s_addc_u32 s5, s5, .str.3@rel32@hi+12
	v_mov_b32_e32 v0, s4
	v_mov_b32_e32 v1, s5
	s_mov_b64 s[8:9], s[24:25]
	s_swappc_b64 s[30:31], s[40:41]
	v_mov_b32_e32 v0, v38
	v_mov_b32_e32 v1, s39
	s_mov_b64 s[8:9], s[24:25]
	s_getpc_b64 s[42:43]
	s_add_u32 s42, s42, _ZN8migraphx4test12print_streamIKNS_13basic_printerIZNS_4coutEvEUlT_E_EEPiEEvRS3_RKT0_@rel32@lo+4
	s_addc_u32 s43, s43, _ZN8migraphx4test12print_streamIKNS_13basic_printerIZNS_4coutEvEUlT_E_EEPiEEvRS3_RKT0_@rel32@hi+12
	s_swappc_b64 s[30:31], s[42:43]
	s_getpc_b64 s[22:23]
	s_add_u32 s22, s22, .str.8@rel32@lo+4
	s_addc_u32 s23, s23, .str.8@rel32@hi+12
	v_mov_b32_e32 v0, s22
	v_mov_b32_e32 v1, s23
	s_mov_b64 s[8:9], s[24:25]
	s_swappc_b64 s[30:31], s[40:41]
	s_getpc_b64 s[4:5]
	s_add_u32 s4, s4, .str.10@rel32@lo+4
	s_addc_u32 s5, s5, .str.10@rel32@hi+12
	v_mov_b32_e32 v0, s4
	v_mov_b32_e32 v1, s5
	s_mov_b64 s[8:9], s[24:25]
	s_swappc_b64 s[30:31], s[40:41]
	v_mov_b32_e32 v0, s22
	v_mov_b32_e32 v1, s23
	s_mov_b64 s[8:9], s[24:25]
	s_swappc_b64 s[30:31], s[40:41]
	;; [unrolled: 4-line block ×3, first 2 shown]
	s_getpc_b64 s[4:5]
	s_add_u32 s4, s4, .str.4@rel32@lo+4
	s_addc_u32 s5, s5, .str.4@rel32@hi+12
	v_mov_b32_e32 v0, s4
	v_mov_b32_e32 v1, s5
	s_mov_b64 s[8:9], s[24:25]
	s_mov_b64 s[22:23], s[24:25]
	s_swappc_b64 s[30:31], s[40:41]
	v_readfirstlane_b32 s4, v49
	v_mov_b32_e32 v6, 0
	v_mov_b32_e32 v7, 0
	v_cmp_eq_u32_e64 s4, s4, v49
	s_and_saveexec_b32 s5, s4
	s_mov_b32 s14, s37
	s_mov_b32 s13, s36
	;; [unrolled: 1-line block ×3, first 2 shown]
	s_cbranch_execz .LBB6_1526
; %bb.1521:
	v_mov_b32_e32 v0, 0
	s_mov_b32 s6, exec_lo
	global_load_dwordx2 v[3:4], v0, s[26:27] offset:24 glc dlc
	s_waitcnt vmcnt(0)
	buffer_gl1_inv
	buffer_gl0_inv
	s_clause 0x1
	global_load_dwordx2 v[1:2], v0, s[26:27] offset:40
	global_load_dwordx2 v[5:6], v0, s[26:27]
	s_waitcnt vmcnt(1)
	v_and_b32_e32 v2, v2, v4
	v_and_b32_e32 v1, v1, v3
	v_mul_lo_u32 v2, v2, 24
	v_mul_hi_u32 v7, v1, 24
	v_mul_lo_u32 v1, v1, 24
	v_add_nc_u32_e32 v2, v7, v2
	s_waitcnt vmcnt(0)
	v_add_co_u32 v1, vcc_lo, v5, v1
	v_add_co_ci_u32_e32 v2, vcc_lo, v6, v2, vcc_lo
	global_load_dwordx2 v[1:2], v[1:2], off glc dlc
	s_waitcnt vmcnt(0)
	global_atomic_cmpswap_x2 v[6:7], v0, v[1:4], s[26:27] offset:24 glc
	s_waitcnt vmcnt(0)
	buffer_gl1_inv
	buffer_gl0_inv
	v_cmpx_ne_u64_e64 v[6:7], v[3:4]
	s_cbranch_execz .LBB6_1525
; %bb.1522:
	s_mov_b32 s7, 0
	.p2align	6
.LBB6_1523:                             ; =>This Inner Loop Header: Depth=1
	s_sleep 1
	s_clause 0x1
	global_load_dwordx2 v[1:2], v0, s[26:27] offset:40
	global_load_dwordx2 v[8:9], v0, s[26:27]
	v_mov_b32_e32 v3, v6
	v_mov_b32_e32 v4, v7
	s_waitcnt vmcnt(1)
	v_and_b32_e32 v1, v1, v3
	v_and_b32_e32 v2, v2, v4
	s_waitcnt vmcnt(0)
	v_mad_u64_u32 v[5:6], null, v1, 24, v[8:9]
	v_mov_b32_e32 v1, v6
	v_mad_u64_u32 v[1:2], null, v2, 24, v[1:2]
	v_mov_b32_e32 v6, v1
	global_load_dwordx2 v[1:2], v[5:6], off glc dlc
	s_waitcnt vmcnt(0)
	global_atomic_cmpswap_x2 v[6:7], v0, v[1:4], s[26:27] offset:24 glc
	s_waitcnt vmcnt(0)
	buffer_gl1_inv
	buffer_gl0_inv
	v_cmp_eq_u64_e32 vcc_lo, v[6:7], v[3:4]
	s_or_b32 s7, vcc_lo, s7
	s_andn2_b32 exec_lo, exec_lo, s7
	s_cbranch_execnz .LBB6_1523
; %bb.1524:
	s_or_b32 exec_lo, exec_lo, s7
.LBB6_1525:
	s_or_b32 exec_lo, exec_lo, s6
.LBB6_1526:
	s_or_b32 exec_lo, exec_lo, s5
	v_mov_b32_e32 v5, 0
	v_readfirstlane_b32 s6, v6
	v_readfirstlane_b32 s7, v7
	s_mov_b32 s5, exec_lo
	s_clause 0x1
	global_load_dwordx2 v[8:9], v5, s[26:27] offset:40
	global_load_dwordx4 v[0:3], v5, s[26:27]
	s_waitcnt vmcnt(1)
	v_readfirstlane_b32 s8, v8
	v_readfirstlane_b32 s9, v9
	s_and_b64 s[8:9], s[6:7], s[8:9]
	s_mul_i32 s10, s9, 24
	s_mul_hi_u32 s11, s8, 24
	s_mul_i32 s15, s8, 24
	s_add_i32 s11, s11, s10
	s_waitcnt vmcnt(0)
	v_add_co_u32 v8, vcc_lo, v0, s15
	v_add_co_ci_u32_e32 v9, vcc_lo, s11, v1, vcc_lo
	s_and_saveexec_b32 s10, s4
	s_cbranch_execz .LBB6_1528
; %bb.1527:
	v_mov_b32_e32 v4, s5
	v_mov_b32_e32 v6, 2
	;; [unrolled: 1-line block ×3, first 2 shown]
	global_store_dwordx4 v[8:9], v[4:7], off offset:8
.LBB6_1528:
	s_or_b32 exec_lo, exec_lo, s10
	s_lshl_b64 s[8:9], s[8:9], 12
	v_mov_b32_e32 v4, 33
	v_add_co_u32 v2, vcc_lo, v2, s8
	v_add_co_ci_u32_e32 v3, vcc_lo, s9, v3, vcc_lo
	s_mov_b32 s8, 0
	v_add_co_u32 v10, vcc_lo, v2, v48
	s_mov_b32 s11, s8
	s_mov_b32 s9, s8
	;; [unrolled: 1-line block ×3, first 2 shown]
	v_mov_b32_e32 v6, v5
	v_mov_b32_e32 v7, v5
	v_readfirstlane_b32 s16, v2
	v_readfirstlane_b32 s17, v3
	v_mov_b32_e32 v15, s11
	v_add_co_ci_u32_e32 v11, vcc_lo, 0, v3, vcc_lo
	v_mov_b32_e32 v14, s10
	v_mov_b32_e32 v13, s9
	;; [unrolled: 1-line block ×3, first 2 shown]
	global_store_dwordx4 v48, v[4:7], s[16:17]
	global_store_dwordx4 v48, v[12:15], s[16:17] offset:16
	global_store_dwordx4 v48, v[12:15], s[16:17] offset:32
	;; [unrolled: 1-line block ×3, first 2 shown]
	s_and_saveexec_b32 s5, s4
	s_mov_b64 s[8:9], s[22:23]
	s_cbranch_execz .LBB6_1536
; %bb.1529:
	v_mov_b32_e32 v6, 0
	v_mov_b32_e32 v12, s6
	;; [unrolled: 1-line block ×3, first 2 shown]
	s_clause 0x1
	global_load_dwordx2 v[14:15], v6, s[26:27] offset:32 glc dlc
	global_load_dwordx2 v[2:3], v6, s[26:27] offset:40
	s_waitcnt vmcnt(0)
	v_readfirstlane_b32 s10, v2
	v_readfirstlane_b32 s11, v3
	s_and_b64 s[10:11], s[10:11], s[6:7]
	s_mul_i32 s11, s11, 24
	s_mul_hi_u32 s15, s10, 24
	s_mul_i32 s10, s10, 24
	s_add_i32 s15, s15, s11
	v_add_co_u32 v4, vcc_lo, v0, s10
	v_add_co_ci_u32_e32 v5, vcc_lo, s15, v1, vcc_lo
	s_mov_b32 s10, exec_lo
	global_store_dwordx2 v[4:5], v[14:15], off
	s_waitcnt_vscnt null, 0x0
	global_atomic_cmpswap_x2 v[2:3], v6, v[12:15], s[26:27] offset:32 glc
	s_waitcnt vmcnt(0)
	v_cmpx_ne_u64_e64 v[2:3], v[14:15]
	s_cbranch_execz .LBB6_1532
; %bb.1530:
	s_mov_b32 s11, 0
.LBB6_1531:                             ; =>This Inner Loop Header: Depth=1
	v_mov_b32_e32 v0, s6
	v_mov_b32_e32 v1, s7
	s_sleep 1
	global_store_dwordx2 v[4:5], v[2:3], off
	s_waitcnt_vscnt null, 0x0
	global_atomic_cmpswap_x2 v[0:1], v6, v[0:3], s[26:27] offset:32 glc
	s_waitcnt vmcnt(0)
	v_cmp_eq_u64_e32 vcc_lo, v[0:1], v[2:3]
	v_mov_b32_e32 v3, v1
	v_mov_b32_e32 v2, v0
	s_or_b32 s11, vcc_lo, s11
	s_andn2_b32 exec_lo, exec_lo, s11
	s_cbranch_execnz .LBB6_1531
.LBB6_1532:
	s_or_b32 exec_lo, exec_lo, s10
	v_mov_b32_e32 v3, 0
	s_mov_b32 s11, exec_lo
	s_mov_b32 s10, exec_lo
	v_mbcnt_lo_u32_b32 v2, s11, 0
	global_load_dwordx2 v[0:1], v3, s[26:27] offset:16
	v_cmpx_eq_u32_e32 0, v2
	s_cbranch_execz .LBB6_1534
; %bb.1533:
	s_bcnt1_i32_b32 s11, s11
	v_mov_b32_e32 v2, s11
	s_waitcnt vmcnt(0)
	global_atomic_add_x2 v[0:1], v[2:3], off offset:8
.LBB6_1534:
	s_or_b32 exec_lo, exec_lo, s10
	s_waitcnt vmcnt(0)
	global_load_dwordx2 v[2:3], v[0:1], off offset:16
	s_waitcnt vmcnt(0)
	v_cmp_eq_u64_e32 vcc_lo, 0, v[2:3]
	s_cbranch_vccnz .LBB6_1536
; %bb.1535:
	global_load_dword v0, v[0:1], off offset:24
	v_mov_b32_e32 v1, 0
	s_waitcnt vmcnt(0)
	v_and_b32_e32 v4, 0x7fffff, v0
	s_waitcnt_vscnt null, 0x0
	global_store_dwordx2 v[2:3], v[0:1], off
	v_readfirstlane_b32 m0, v4
	s_sendmsg sendmsg(MSG_INTERRUPT)
.LBB6_1536:
	s_or_b32 exec_lo, exec_lo, s5
	s_branch .LBB6_1540
	.p2align	6
.LBB6_1537:                             ;   in Loop: Header=BB6_1540 Depth=1
	s_or_b32 exec_lo, exec_lo, s5
	v_readfirstlane_b32 s5, v0
	s_cmp_eq_u32 s5, 0
	s_cbranch_scc1 .LBB6_1539
; %bb.1538:                             ;   in Loop: Header=BB6_1540 Depth=1
	s_sleep 1
	s_cbranch_execnz .LBB6_1540
	s_branch .LBB6_1542
	.p2align	6
.LBB6_1539:
	s_branch .LBB6_1542
.LBB6_1540:                             ; =>This Inner Loop Header: Depth=1
	v_mov_b32_e32 v0, 1
	s_and_saveexec_b32 s5, s4
	s_cbranch_execz .LBB6_1537
; %bb.1541:                             ;   in Loop: Header=BB6_1540 Depth=1
	global_load_dword v0, v[8:9], off offset:20 glc dlc
	s_waitcnt vmcnt(0)
	buffer_gl1_inv
	buffer_gl0_inv
	v_and_b32_e32 v0, 1, v0
	s_branch .LBB6_1537
.LBB6_1542:
	global_load_dwordx2 v[0:1], v[10:11], off
	s_and_saveexec_b32 s5, s4
	s_cbranch_execz .LBB6_1546
; %bb.1543:
	v_mov_b32_e32 v8, 0
	s_clause 0x2
	global_load_dwordx2 v[4:5], v8, s[26:27] offset:40
	global_load_dwordx2 v[9:10], v8, s[26:27] offset:24 glc dlc
	global_load_dwordx2 v[6:7], v8, s[26:27]
	s_waitcnt vmcnt(2)
	v_add_co_u32 v11, vcc_lo, v4, 1
	v_add_co_ci_u32_e32 v12, vcc_lo, 0, v5, vcc_lo
	v_add_co_u32 v2, vcc_lo, v11, s6
	v_add_co_ci_u32_e32 v3, vcc_lo, s7, v12, vcc_lo
	v_cmp_eq_u64_e32 vcc_lo, 0, v[2:3]
	v_cndmask_b32_e32 v3, v3, v12, vcc_lo
	v_cndmask_b32_e32 v2, v2, v11, vcc_lo
	v_and_b32_e32 v5, v3, v5
	v_and_b32_e32 v4, v2, v4
	v_mul_lo_u32 v5, v5, 24
	v_mul_hi_u32 v11, v4, 24
	v_mul_lo_u32 v4, v4, 24
	v_add_nc_u32_e32 v5, v11, v5
	s_waitcnt vmcnt(0)
	v_add_co_u32 v6, vcc_lo, v6, v4
	v_mov_b32_e32 v4, v9
	v_add_co_ci_u32_e32 v7, vcc_lo, v7, v5, vcc_lo
	v_mov_b32_e32 v5, v10
	global_store_dwordx2 v[6:7], v[9:10], off
	s_waitcnt_vscnt null, 0x0
	global_atomic_cmpswap_x2 v[4:5], v8, v[2:5], s[26:27] offset:24 glc
	s_waitcnt vmcnt(0)
	v_cmp_ne_u64_e32 vcc_lo, v[4:5], v[9:10]
	s_and_b32 exec_lo, exec_lo, vcc_lo
	s_cbranch_execz .LBB6_1546
; %bb.1544:
	s_mov_b32 s4, 0
.LBB6_1545:                             ; =>This Inner Loop Header: Depth=1
	s_sleep 1
	global_store_dwordx2 v[6:7], v[4:5], off
	s_waitcnt_vscnt null, 0x0
	global_atomic_cmpswap_x2 v[9:10], v8, v[2:5], s[26:27] offset:24 glc
	s_waitcnt vmcnt(0)
	v_cmp_eq_u64_e32 vcc_lo, v[9:10], v[4:5]
	v_mov_b32_e32 v4, v9
	v_mov_b32_e32 v5, v10
	s_or_b32 s4, vcc_lo, s4
	s_andn2_b32 exec_lo, exec_lo, s4
	s_cbranch_execnz .LBB6_1545
.LBB6_1546:
	s_or_b32 exec_lo, exec_lo, s5
	s_and_b32 vcc_lo, exec_lo, s34
	s_cbranch_vccz .LBB6_1625
; %bb.1547:
	s_waitcnt vmcnt(0)
	v_and_b32_e32 v31, 2, v0
	v_mov_b32_e32 v6, 0
	v_and_b32_e32 v2, -3, v0
	v_mov_b32_e32 v3, v1
	v_mov_b32_e32 v7, 2
	;; [unrolled: 1-line block ×3, first 2 shown]
	s_mov_b64 s[10:11], 3
	s_getpc_b64 s[6:7]
	s_add_u32 s6, s6, .str.6@rel32@lo+4
	s_addc_u32 s7, s7, .str.6@rel32@hi+12
	s_branch .LBB6_1549
.LBB6_1548:                             ;   in Loop: Header=BB6_1549 Depth=1
	s_or_b32 exec_lo, exec_lo, s5
	s_sub_u32 s10, s10, s16
	s_subb_u32 s11, s11, s17
	s_add_u32 s6, s6, s16
	s_addc_u32 s7, s7, s17
	s_cmp_lg_u64 s[10:11], 0
	s_cbranch_scc0 .LBB6_1624
.LBB6_1549:                             ; =>This Loop Header: Depth=1
                                        ;     Child Loop BB6_1558 Depth 2
                                        ;     Child Loop BB6_1554 Depth 2
	;; [unrolled: 1-line block ×11, first 2 shown]
	v_cmp_lt_u64_e64 s4, s[10:11], 56
	v_cmp_gt_u64_e64 s5, s[10:11], 7
                                        ; implicit-def: $vgpr11_vgpr12
                                        ; implicit-def: $sgpr15
	s_and_b32 s4, s4, exec_lo
	s_cselect_b32 s17, s11, 0
	s_cselect_b32 s16, s10, 56
	s_and_b32 vcc_lo, exec_lo, s5
	s_mov_b32 s4, -1
	s_cbranch_vccz .LBB6_1556
; %bb.1550:                             ;   in Loop: Header=BB6_1549 Depth=1
	s_andn2_b32 vcc_lo, exec_lo, s4
	s_mov_b64 s[4:5], s[6:7]
	s_cbranch_vccz .LBB6_1560
.LBB6_1551:                             ;   in Loop: Header=BB6_1549 Depth=1
	s_cmp_gt_u32 s15, 7
	s_cbranch_scc1 .LBB6_1561
.LBB6_1552:                             ;   in Loop: Header=BB6_1549 Depth=1
	v_mov_b32_e32 v13, 0
	v_mov_b32_e32 v14, 0
	s_cmp_eq_u32 s15, 0
	s_cbranch_scc1 .LBB6_1555
; %bb.1553:                             ;   in Loop: Header=BB6_1549 Depth=1
	s_mov_b64 s[18:19], 0
	s_mov_b64 s[20:21], 0
.LBB6_1554:                             ;   Parent Loop BB6_1549 Depth=1
                                        ; =>  This Inner Loop Header: Depth=2
	s_add_u32 s22, s4, s20
	s_addc_u32 s23, s5, s21
	s_add_u32 s20, s20, 1
	global_load_ubyte v4, v6, s[22:23]
	s_addc_u32 s21, s21, 0
	s_waitcnt vmcnt(0)
	v_and_b32_e32 v5, 0xffff, v4
	v_lshlrev_b64 v[4:5], s18, v[5:6]
	s_add_u32 s18, s18, 8
	s_addc_u32 s19, s19, 0
	s_cmp_lg_u32 s15, s20
	v_or_b32_e32 v13, v4, v13
	v_or_b32_e32 v14, v5, v14
	s_cbranch_scc1 .LBB6_1554
.LBB6_1555:                             ;   in Loop: Header=BB6_1549 Depth=1
	s_mov_b32 s22, 0
	s_cbranch_execz .LBB6_1562
	s_branch .LBB6_1563
.LBB6_1556:                             ;   in Loop: Header=BB6_1549 Depth=1
	v_mov_b32_e32 v11, 0
	v_mov_b32_e32 v12, 0
	s_cmp_eq_u64 s[10:11], 0
	s_mov_b64 s[4:5], 0
	s_cbranch_scc1 .LBB6_1559
; %bb.1557:                             ;   in Loop: Header=BB6_1549 Depth=1
	v_mov_b32_e32 v11, 0
	v_mov_b32_e32 v12, 0
	s_lshl_b64 s[18:19], s[16:17], 3
	s_mov_b64 s[20:21], s[6:7]
.LBB6_1558:                             ;   Parent Loop BB6_1549 Depth=1
                                        ; =>  This Inner Loop Header: Depth=2
	global_load_ubyte v4, v6, s[20:21]
	s_waitcnt vmcnt(0)
	v_and_b32_e32 v5, 0xffff, v4
	v_lshlrev_b64 v[4:5], s4, v[5:6]
	s_add_u32 s4, s4, 8
	s_addc_u32 s5, s5, 0
	s_add_u32 s20, s20, 1
	s_addc_u32 s21, s21, 0
	s_cmp_lg_u32 s18, s4
	v_or_b32_e32 v11, v4, v11
	v_or_b32_e32 v12, v5, v12
	s_cbranch_scc1 .LBB6_1558
.LBB6_1559:                             ;   in Loop: Header=BB6_1549 Depth=1
	s_mov_b32 s15, 0
	s_mov_b64 s[4:5], s[6:7]
	s_cbranch_execnz .LBB6_1551
.LBB6_1560:                             ;   in Loop: Header=BB6_1549 Depth=1
	global_load_dwordx2 v[11:12], v6, s[6:7]
	s_add_i32 s15, s16, -8
	s_add_u32 s4, s6, 8
	s_addc_u32 s5, s7, 0
	s_cmp_gt_u32 s15, 7
	s_cbranch_scc0 .LBB6_1552
.LBB6_1561:                             ;   in Loop: Header=BB6_1549 Depth=1
                                        ; implicit-def: $vgpr13_vgpr14
                                        ; implicit-def: $sgpr22
.LBB6_1562:                             ;   in Loop: Header=BB6_1549 Depth=1
	global_load_dwordx2 v[13:14], v6, s[4:5]
	s_add_i32 s22, s15, -8
	s_add_u32 s4, s4, 8
	s_addc_u32 s5, s5, 0
.LBB6_1563:                             ;   in Loop: Header=BB6_1549 Depth=1
	s_cmp_gt_u32 s22, 7
	s_cbranch_scc1 .LBB6_1568
; %bb.1564:                             ;   in Loop: Header=BB6_1549 Depth=1
	v_mov_b32_e32 v15, 0
	v_mov_b32_e32 v16, 0
	s_cmp_eq_u32 s22, 0
	s_cbranch_scc1 .LBB6_1567
; %bb.1565:                             ;   in Loop: Header=BB6_1549 Depth=1
	s_mov_b64 s[18:19], 0
	s_mov_b64 s[20:21], 0
.LBB6_1566:                             ;   Parent Loop BB6_1549 Depth=1
                                        ; =>  This Inner Loop Header: Depth=2
	s_add_u32 s24, s4, s20
	s_addc_u32 s25, s5, s21
	s_add_u32 s20, s20, 1
	global_load_ubyte v4, v6, s[24:25]
	s_addc_u32 s21, s21, 0
	s_waitcnt vmcnt(0)
	v_and_b32_e32 v5, 0xffff, v4
	v_lshlrev_b64 v[4:5], s18, v[5:6]
	s_add_u32 s18, s18, 8
	s_addc_u32 s19, s19, 0
	s_cmp_lg_u32 s22, s20
	v_or_b32_e32 v15, v4, v15
	v_or_b32_e32 v16, v5, v16
	s_cbranch_scc1 .LBB6_1566
.LBB6_1567:                             ;   in Loop: Header=BB6_1549 Depth=1
	s_mov_b32 s15, 0
	s_cbranch_execz .LBB6_1569
	s_branch .LBB6_1570
.LBB6_1568:                             ;   in Loop: Header=BB6_1549 Depth=1
                                        ; implicit-def: $sgpr15
.LBB6_1569:                             ;   in Loop: Header=BB6_1549 Depth=1
	global_load_dwordx2 v[15:16], v6, s[4:5]
	s_add_i32 s15, s22, -8
	s_add_u32 s4, s4, 8
	s_addc_u32 s5, s5, 0
.LBB6_1570:                             ;   in Loop: Header=BB6_1549 Depth=1
	s_cmp_gt_u32 s15, 7
	s_cbranch_scc1 .LBB6_1575
; %bb.1571:                             ;   in Loop: Header=BB6_1549 Depth=1
	v_mov_b32_e32 v17, 0
	v_mov_b32_e32 v18, 0
	s_cmp_eq_u32 s15, 0
	s_cbranch_scc1 .LBB6_1574
; %bb.1572:                             ;   in Loop: Header=BB6_1549 Depth=1
	s_mov_b64 s[18:19], 0
	s_mov_b64 s[20:21], 0
.LBB6_1573:                             ;   Parent Loop BB6_1549 Depth=1
                                        ; =>  This Inner Loop Header: Depth=2
	s_add_u32 s22, s4, s20
	s_addc_u32 s23, s5, s21
	s_add_u32 s20, s20, 1
	global_load_ubyte v4, v6, s[22:23]
	s_addc_u32 s21, s21, 0
	s_waitcnt vmcnt(0)
	v_and_b32_e32 v5, 0xffff, v4
	v_lshlrev_b64 v[4:5], s18, v[5:6]
	s_add_u32 s18, s18, 8
	s_addc_u32 s19, s19, 0
	s_cmp_lg_u32 s15, s20
	v_or_b32_e32 v17, v4, v17
	v_or_b32_e32 v18, v5, v18
	s_cbranch_scc1 .LBB6_1573
.LBB6_1574:                             ;   in Loop: Header=BB6_1549 Depth=1
	s_mov_b32 s22, 0
	s_cbranch_execz .LBB6_1576
	s_branch .LBB6_1577
.LBB6_1575:                             ;   in Loop: Header=BB6_1549 Depth=1
                                        ; implicit-def: $vgpr17_vgpr18
                                        ; implicit-def: $sgpr22
.LBB6_1576:                             ;   in Loop: Header=BB6_1549 Depth=1
	global_load_dwordx2 v[17:18], v6, s[4:5]
	s_add_i32 s22, s15, -8
	s_add_u32 s4, s4, 8
	s_addc_u32 s5, s5, 0
.LBB6_1577:                             ;   in Loop: Header=BB6_1549 Depth=1
	s_cmp_gt_u32 s22, 7
	s_cbranch_scc1 .LBB6_1582
; %bb.1578:                             ;   in Loop: Header=BB6_1549 Depth=1
	v_mov_b32_e32 v19, 0
	v_mov_b32_e32 v20, 0
	s_cmp_eq_u32 s22, 0
	s_cbranch_scc1 .LBB6_1581
; %bb.1579:                             ;   in Loop: Header=BB6_1549 Depth=1
	s_mov_b64 s[18:19], 0
	s_mov_b64 s[20:21], 0
.LBB6_1580:                             ;   Parent Loop BB6_1549 Depth=1
                                        ; =>  This Inner Loop Header: Depth=2
	s_add_u32 s24, s4, s20
	s_addc_u32 s25, s5, s21
	s_add_u32 s20, s20, 1
	global_load_ubyte v4, v6, s[24:25]
	s_addc_u32 s21, s21, 0
	s_waitcnt vmcnt(0)
	v_and_b32_e32 v5, 0xffff, v4
	v_lshlrev_b64 v[4:5], s18, v[5:6]
	s_add_u32 s18, s18, 8
	s_addc_u32 s19, s19, 0
	s_cmp_lg_u32 s22, s20
	v_or_b32_e32 v19, v4, v19
	v_or_b32_e32 v20, v5, v20
	s_cbranch_scc1 .LBB6_1580
.LBB6_1581:                             ;   in Loop: Header=BB6_1549 Depth=1
	s_mov_b32 s15, 0
	s_cbranch_execz .LBB6_1583
	s_branch .LBB6_1584
.LBB6_1582:                             ;   in Loop: Header=BB6_1549 Depth=1
                                        ; implicit-def: $sgpr15
.LBB6_1583:                             ;   in Loop: Header=BB6_1549 Depth=1
	global_load_dwordx2 v[19:20], v6, s[4:5]
	s_add_i32 s15, s22, -8
	s_add_u32 s4, s4, 8
	s_addc_u32 s5, s5, 0
.LBB6_1584:                             ;   in Loop: Header=BB6_1549 Depth=1
	s_cmp_gt_u32 s15, 7
	s_cbranch_scc1 .LBB6_1589
; %bb.1585:                             ;   in Loop: Header=BB6_1549 Depth=1
	v_mov_b32_e32 v21, 0
	v_mov_b32_e32 v22, 0
	s_cmp_eq_u32 s15, 0
	s_cbranch_scc1 .LBB6_1588
; %bb.1586:                             ;   in Loop: Header=BB6_1549 Depth=1
	s_mov_b64 s[18:19], 0
	s_mov_b64 s[20:21], 0
.LBB6_1587:                             ;   Parent Loop BB6_1549 Depth=1
                                        ; =>  This Inner Loop Header: Depth=2
	s_add_u32 s22, s4, s20
	s_addc_u32 s23, s5, s21
	s_add_u32 s20, s20, 1
	global_load_ubyte v4, v6, s[22:23]
	s_addc_u32 s21, s21, 0
	s_waitcnt vmcnt(0)
	v_and_b32_e32 v5, 0xffff, v4
	v_lshlrev_b64 v[4:5], s18, v[5:6]
	s_add_u32 s18, s18, 8
	s_addc_u32 s19, s19, 0
	s_cmp_lg_u32 s15, s20
	v_or_b32_e32 v21, v4, v21
	v_or_b32_e32 v22, v5, v22
	s_cbranch_scc1 .LBB6_1587
.LBB6_1588:                             ;   in Loop: Header=BB6_1549 Depth=1
	s_mov_b32 s22, 0
	s_cbranch_execz .LBB6_1590
	s_branch .LBB6_1591
.LBB6_1589:                             ;   in Loop: Header=BB6_1549 Depth=1
                                        ; implicit-def: $vgpr21_vgpr22
                                        ; implicit-def: $sgpr22
.LBB6_1590:                             ;   in Loop: Header=BB6_1549 Depth=1
	global_load_dwordx2 v[21:22], v6, s[4:5]
	s_add_i32 s22, s15, -8
	s_add_u32 s4, s4, 8
	s_addc_u32 s5, s5, 0
.LBB6_1591:                             ;   in Loop: Header=BB6_1549 Depth=1
	s_cmp_gt_u32 s22, 7
	s_cbranch_scc1 .LBB6_1596
; %bb.1592:                             ;   in Loop: Header=BB6_1549 Depth=1
	v_mov_b32_e32 v23, 0
	v_mov_b32_e32 v24, 0
	s_cmp_eq_u32 s22, 0
	s_cbranch_scc1 .LBB6_1595
; %bb.1593:                             ;   in Loop: Header=BB6_1549 Depth=1
	s_mov_b64 s[18:19], 0
	s_mov_b64 s[20:21], s[4:5]
.LBB6_1594:                             ;   Parent Loop BB6_1549 Depth=1
                                        ; =>  This Inner Loop Header: Depth=2
	global_load_ubyte v4, v6, s[20:21]
	s_add_i32 s22, s22, -1
	s_waitcnt vmcnt(0)
	v_and_b32_e32 v5, 0xffff, v4
	v_lshlrev_b64 v[4:5], s18, v[5:6]
	s_add_u32 s18, s18, 8
	s_addc_u32 s19, s19, 0
	s_add_u32 s20, s20, 1
	s_addc_u32 s21, s21, 0
	s_cmp_lg_u32 s22, 0
	v_or_b32_e32 v23, v4, v23
	v_or_b32_e32 v24, v5, v24
	s_cbranch_scc1 .LBB6_1594
.LBB6_1595:                             ;   in Loop: Header=BB6_1549 Depth=1
	s_cbranch_execz .LBB6_1597
	s_branch .LBB6_1598
.LBB6_1596:                             ;   in Loop: Header=BB6_1549 Depth=1
.LBB6_1597:                             ;   in Loop: Header=BB6_1549 Depth=1
	global_load_dwordx2 v[23:24], v6, s[4:5]
.LBB6_1598:                             ;   in Loop: Header=BB6_1549 Depth=1
	v_readfirstlane_b32 s4, v49
	s_waitcnt vmcnt(0)
	v_mov_b32_e32 v4, 0
	v_mov_b32_e32 v5, 0
	v_cmp_eq_u32_e64 s4, s4, v49
	s_and_saveexec_b32 s5, s4
	s_cbranch_execz .LBB6_1604
; %bb.1599:                             ;   in Loop: Header=BB6_1549 Depth=1
	global_load_dwordx2 v[27:28], v6, s[26:27] offset:24 glc dlc
	s_waitcnt vmcnt(0)
	buffer_gl1_inv
	buffer_gl0_inv
	s_clause 0x1
	global_load_dwordx2 v[4:5], v6, s[26:27] offset:40
	global_load_dwordx2 v[9:10], v6, s[26:27]
	s_mov_b32 s15, exec_lo
	s_waitcnt vmcnt(1)
	v_and_b32_e32 v5, v5, v28
	v_and_b32_e32 v4, v4, v27
	v_mul_lo_u32 v5, v5, 24
	v_mul_hi_u32 v25, v4, 24
	v_mul_lo_u32 v4, v4, 24
	v_add_nc_u32_e32 v5, v25, v5
	s_waitcnt vmcnt(0)
	v_add_co_u32 v4, vcc_lo, v9, v4
	v_add_co_ci_u32_e32 v5, vcc_lo, v10, v5, vcc_lo
	global_load_dwordx2 v[25:26], v[4:5], off glc dlc
	s_waitcnt vmcnt(0)
	global_atomic_cmpswap_x2 v[4:5], v6, v[25:28], s[26:27] offset:24 glc
	s_waitcnt vmcnt(0)
	buffer_gl1_inv
	buffer_gl0_inv
	v_cmpx_ne_u64_e64 v[4:5], v[27:28]
	s_cbranch_execz .LBB6_1603
; %bb.1600:                             ;   in Loop: Header=BB6_1549 Depth=1
	s_mov_b32 s18, 0
	.p2align	6
.LBB6_1601:                             ;   Parent Loop BB6_1549 Depth=1
                                        ; =>  This Inner Loop Header: Depth=2
	s_sleep 1
	s_clause 0x1
	global_load_dwordx2 v[9:10], v6, s[26:27] offset:40
	global_load_dwordx2 v[25:26], v6, s[26:27]
	v_mov_b32_e32 v28, v5
	v_mov_b32_e32 v27, v4
	s_waitcnt vmcnt(1)
	v_and_b32_e32 v4, v9, v27
	v_and_b32_e32 v9, v10, v28
	s_waitcnt vmcnt(0)
	v_mad_u64_u32 v[4:5], null, v4, 24, v[25:26]
	v_mad_u64_u32 v[9:10], null, v9, 24, v[5:6]
	v_mov_b32_e32 v5, v9
	global_load_dwordx2 v[25:26], v[4:5], off glc dlc
	s_waitcnt vmcnt(0)
	global_atomic_cmpswap_x2 v[4:5], v6, v[25:28], s[26:27] offset:24 glc
	s_waitcnt vmcnt(0)
	buffer_gl1_inv
	buffer_gl0_inv
	v_cmp_eq_u64_e32 vcc_lo, v[4:5], v[27:28]
	s_or_b32 s18, vcc_lo, s18
	s_andn2_b32 exec_lo, exec_lo, s18
	s_cbranch_execnz .LBB6_1601
; %bb.1602:                             ;   in Loop: Header=BB6_1549 Depth=1
	s_or_b32 exec_lo, exec_lo, s18
.LBB6_1603:                             ;   in Loop: Header=BB6_1549 Depth=1
	s_or_b32 exec_lo, exec_lo, s15
.LBB6_1604:                             ;   in Loop: Header=BB6_1549 Depth=1
	s_or_b32 exec_lo, exec_lo, s5
	s_clause 0x1
	global_load_dwordx2 v[9:10], v6, s[26:27] offset:40
	global_load_dwordx4 v[25:28], v6, s[26:27]
	v_readfirstlane_b32 s18, v4
	v_readfirstlane_b32 s19, v5
	s_mov_b32 s5, exec_lo
	s_waitcnt vmcnt(1)
	v_readfirstlane_b32 s20, v9
	v_readfirstlane_b32 s21, v10
	s_and_b64 s[20:21], s[18:19], s[20:21]
	s_mul_i32 s15, s21, 24
	s_mul_hi_u32 s22, s20, 24
	s_mul_i32 s23, s20, 24
	s_add_i32 s22, s22, s15
	s_waitcnt vmcnt(0)
	v_add_co_u32 v29, vcc_lo, v25, s23
	v_add_co_ci_u32_e32 v30, vcc_lo, s22, v26, vcc_lo
	s_and_saveexec_b32 s15, s4
	s_cbranch_execz .LBB6_1606
; %bb.1605:                             ;   in Loop: Header=BB6_1549 Depth=1
	v_mov_b32_e32 v5, s5
	global_store_dwordx4 v[29:30], v[5:8], off offset:8
.LBB6_1606:                             ;   in Loop: Header=BB6_1549 Depth=1
	s_or_b32 exec_lo, exec_lo, s15
	s_lshl_b64 s[20:21], s[20:21], 12
	v_cmp_gt_u64_e64 vcc_lo, s[10:11], 56
	v_or_b32_e32 v5, v2, v31
	v_add_co_u32 v27, s5, v27, s20
	v_add_co_ci_u32_e64 v28, s5, s21, v28, s5
	s_lshl_b32 s5, s16, 2
	v_or_b32_e32 v4, 0, v3
	v_cndmask_b32_e32 v2, v5, v2, vcc_lo
	s_add_i32 s5, s5, 28
	v_readfirstlane_b32 s20, v27
	s_and_b32 s5, s5, 0x1e0
	v_cndmask_b32_e32 v10, v4, v3, vcc_lo
	v_readfirstlane_b32 s21, v28
	v_and_or_b32 v9, 0xffffff1f, v2, s5
	global_store_dwordx4 v48, v[9:12], s[20:21]
	global_store_dwordx4 v48, v[13:16], s[20:21] offset:16
	global_store_dwordx4 v48, v[17:20], s[20:21] offset:32
	global_store_dwordx4 v48, v[21:24], s[20:21] offset:48
	s_and_saveexec_b32 s5, s4
	s_cbranch_execz .LBB6_1614
; %bb.1607:                             ;   in Loop: Header=BB6_1549 Depth=1
	s_clause 0x1
	global_load_dwordx2 v[13:14], v6, s[26:27] offset:32 glc dlc
	global_load_dwordx2 v[2:3], v6, s[26:27] offset:40
	v_mov_b32_e32 v11, s18
	v_mov_b32_e32 v12, s19
	s_waitcnt vmcnt(0)
	v_readfirstlane_b32 s20, v2
	v_readfirstlane_b32 s21, v3
	s_and_b64 s[20:21], s[20:21], s[18:19]
	s_mul_i32 s15, s21, 24
	s_mul_hi_u32 s21, s20, 24
	s_mul_i32 s20, s20, 24
	s_add_i32 s21, s21, s15
	v_add_co_u32 v9, vcc_lo, v25, s20
	v_add_co_ci_u32_e32 v10, vcc_lo, s21, v26, vcc_lo
	s_mov_b32 s15, exec_lo
	global_store_dwordx2 v[9:10], v[13:14], off
	s_waitcnt_vscnt null, 0x0
	global_atomic_cmpswap_x2 v[4:5], v6, v[11:14], s[26:27] offset:32 glc
	s_waitcnt vmcnt(0)
	v_cmpx_ne_u64_e64 v[4:5], v[13:14]
	s_cbranch_execz .LBB6_1610
; %bb.1608:                             ;   in Loop: Header=BB6_1549 Depth=1
	s_mov_b32 s20, 0
.LBB6_1609:                             ;   Parent Loop BB6_1549 Depth=1
                                        ; =>  This Inner Loop Header: Depth=2
	v_mov_b32_e32 v2, s18
	v_mov_b32_e32 v3, s19
	s_sleep 1
	global_store_dwordx2 v[9:10], v[4:5], off
	s_waitcnt_vscnt null, 0x0
	global_atomic_cmpswap_x2 v[2:3], v6, v[2:5], s[26:27] offset:32 glc
	s_waitcnt vmcnt(0)
	v_cmp_eq_u64_e32 vcc_lo, v[2:3], v[4:5]
	v_mov_b32_e32 v5, v3
	v_mov_b32_e32 v4, v2
	s_or_b32 s20, vcc_lo, s20
	s_andn2_b32 exec_lo, exec_lo, s20
	s_cbranch_execnz .LBB6_1609
.LBB6_1610:                             ;   in Loop: Header=BB6_1549 Depth=1
	s_or_b32 exec_lo, exec_lo, s15
	global_load_dwordx2 v[2:3], v6, s[26:27] offset:16
	s_mov_b32 s20, exec_lo
	s_mov_b32 s15, exec_lo
	v_mbcnt_lo_u32_b32 v4, s20, 0
	v_cmpx_eq_u32_e32 0, v4
	s_cbranch_execz .LBB6_1612
; %bb.1611:                             ;   in Loop: Header=BB6_1549 Depth=1
	s_bcnt1_i32_b32 s20, s20
	v_mov_b32_e32 v5, s20
	s_waitcnt vmcnt(0)
	global_atomic_add_x2 v[2:3], v[5:6], off offset:8
.LBB6_1612:                             ;   in Loop: Header=BB6_1549 Depth=1
	s_or_b32 exec_lo, exec_lo, s15
	s_waitcnt vmcnt(0)
	global_load_dwordx2 v[9:10], v[2:3], off offset:16
	s_waitcnt vmcnt(0)
	v_cmp_eq_u64_e32 vcc_lo, 0, v[9:10]
	s_cbranch_vccnz .LBB6_1614
; %bb.1613:                             ;   in Loop: Header=BB6_1549 Depth=1
	global_load_dword v5, v[2:3], off offset:24
	s_waitcnt vmcnt(0)
	v_and_b32_e32 v2, 0x7fffff, v5
	s_waitcnt_vscnt null, 0x0
	global_store_dwordx2 v[9:10], v[5:6], off
	v_readfirstlane_b32 m0, v2
	s_sendmsg sendmsg(MSG_INTERRUPT)
.LBB6_1614:                             ;   in Loop: Header=BB6_1549 Depth=1
	s_or_b32 exec_lo, exec_lo, s5
	v_add_co_u32 v2, vcc_lo, v27, v48
	v_add_co_ci_u32_e32 v3, vcc_lo, 0, v28, vcc_lo
	s_branch .LBB6_1618
	.p2align	6
.LBB6_1615:                             ;   in Loop: Header=BB6_1618 Depth=2
	s_or_b32 exec_lo, exec_lo, s5
	v_readfirstlane_b32 s5, v4
	s_cmp_eq_u32 s5, 0
	s_cbranch_scc1 .LBB6_1617
; %bb.1616:                             ;   in Loop: Header=BB6_1618 Depth=2
	s_sleep 1
	s_cbranch_execnz .LBB6_1618
	s_branch .LBB6_1620
	.p2align	6
.LBB6_1617:                             ;   in Loop: Header=BB6_1549 Depth=1
	s_branch .LBB6_1620
.LBB6_1618:                             ;   Parent Loop BB6_1549 Depth=1
                                        ; =>  This Inner Loop Header: Depth=2
	v_mov_b32_e32 v4, 1
	s_and_saveexec_b32 s5, s4
	s_cbranch_execz .LBB6_1615
; %bb.1619:                             ;   in Loop: Header=BB6_1618 Depth=2
	global_load_dword v4, v[29:30], off offset:20 glc dlc
	s_waitcnt vmcnt(0)
	buffer_gl1_inv
	buffer_gl0_inv
	v_and_b32_e32 v4, 1, v4
	s_branch .LBB6_1615
.LBB6_1620:                             ;   in Loop: Header=BB6_1549 Depth=1
	global_load_dwordx4 v[2:5], v[2:3], off
	s_and_saveexec_b32 s5, s4
	s_cbranch_execz .LBB6_1548
; %bb.1621:                             ;   in Loop: Header=BB6_1549 Depth=1
	s_clause 0x2
	global_load_dwordx2 v[4:5], v6, s[26:27] offset:40
	global_load_dwordx2 v[13:14], v6, s[26:27] offset:24 glc dlc
	global_load_dwordx2 v[11:12], v6, s[26:27]
	s_waitcnt vmcnt(2)
	v_add_co_u32 v15, vcc_lo, v4, 1
	v_add_co_ci_u32_e32 v16, vcc_lo, 0, v5, vcc_lo
	v_add_co_u32 v9, vcc_lo, v15, s18
	v_add_co_ci_u32_e32 v10, vcc_lo, s19, v16, vcc_lo
	v_cmp_eq_u64_e32 vcc_lo, 0, v[9:10]
	v_cndmask_b32_e32 v10, v10, v16, vcc_lo
	v_cndmask_b32_e32 v9, v9, v15, vcc_lo
	v_and_b32_e32 v5, v10, v5
	v_and_b32_e32 v4, v9, v4
	v_mul_lo_u32 v5, v5, 24
	v_mul_hi_u32 v15, v4, 24
	v_mul_lo_u32 v4, v4, 24
	v_add_nc_u32_e32 v5, v15, v5
	s_waitcnt vmcnt(0)
	v_add_co_u32 v4, vcc_lo, v11, v4
	v_mov_b32_e32 v11, v13
	v_add_co_ci_u32_e32 v5, vcc_lo, v12, v5, vcc_lo
	v_mov_b32_e32 v12, v14
	global_store_dwordx2 v[4:5], v[13:14], off
	s_waitcnt_vscnt null, 0x0
	global_atomic_cmpswap_x2 v[11:12], v6, v[9:12], s[26:27] offset:24 glc
	s_waitcnt vmcnt(0)
	v_cmp_ne_u64_e32 vcc_lo, v[11:12], v[13:14]
	s_and_b32 exec_lo, exec_lo, vcc_lo
	s_cbranch_execz .LBB6_1548
; %bb.1622:                             ;   in Loop: Header=BB6_1549 Depth=1
	s_mov_b32 s4, 0
.LBB6_1623:                             ;   Parent Loop BB6_1549 Depth=1
                                        ; =>  This Inner Loop Header: Depth=2
	s_sleep 1
	global_store_dwordx2 v[4:5], v[11:12], off
	s_waitcnt_vscnt null, 0x0
	global_atomic_cmpswap_x2 v[13:14], v6, v[9:12], s[26:27] offset:24 glc
	s_waitcnt vmcnt(0)
	v_cmp_eq_u64_e32 vcc_lo, v[13:14], v[11:12]
	v_mov_b32_e32 v11, v13
	v_mov_b32_e32 v12, v14
	s_or_b32 s4, vcc_lo, s4
	s_andn2_b32 exec_lo, exec_lo, s4
	s_cbranch_execnz .LBB6_1623
	s_branch .LBB6_1548
.LBB6_1624:
	s_branch .LBB6_1653
.LBB6_1625:
                                        ; implicit-def: $vgpr2_vgpr3
	s_cbranch_execz .LBB6_1653
; %bb.1626:
	v_readfirstlane_b32 s4, v49
	v_mov_b32_e32 v8, 0
	v_mov_b32_e32 v9, 0
	v_cmp_eq_u32_e64 s4, s4, v49
	s_and_saveexec_b32 s5, s4
	s_cbranch_execz .LBB6_1632
; %bb.1627:
	s_waitcnt vmcnt(0)
	v_mov_b32_e32 v2, 0
	s_mov_b32 s6, exec_lo
	global_load_dwordx2 v[5:6], v2, s[26:27] offset:24 glc dlc
	s_waitcnt vmcnt(0)
	buffer_gl1_inv
	buffer_gl0_inv
	s_clause 0x1
	global_load_dwordx2 v[3:4], v2, s[26:27] offset:40
	global_load_dwordx2 v[7:8], v2, s[26:27]
	s_waitcnt vmcnt(1)
	v_and_b32_e32 v4, v4, v6
	v_and_b32_e32 v3, v3, v5
	v_mul_lo_u32 v4, v4, 24
	v_mul_hi_u32 v9, v3, 24
	v_mul_lo_u32 v3, v3, 24
	v_add_nc_u32_e32 v4, v9, v4
	s_waitcnt vmcnt(0)
	v_add_co_u32 v3, vcc_lo, v7, v3
	v_add_co_ci_u32_e32 v4, vcc_lo, v8, v4, vcc_lo
	global_load_dwordx2 v[3:4], v[3:4], off glc dlc
	s_waitcnt vmcnt(0)
	global_atomic_cmpswap_x2 v[8:9], v2, v[3:6], s[26:27] offset:24 glc
	s_waitcnt vmcnt(0)
	buffer_gl1_inv
	buffer_gl0_inv
	v_cmpx_ne_u64_e64 v[8:9], v[5:6]
	s_cbranch_execz .LBB6_1631
; %bb.1628:
	s_mov_b32 s7, 0
	.p2align	6
.LBB6_1629:                             ; =>This Inner Loop Header: Depth=1
	s_sleep 1
	s_clause 0x1
	global_load_dwordx2 v[3:4], v2, s[26:27] offset:40
	global_load_dwordx2 v[10:11], v2, s[26:27]
	v_mov_b32_e32 v5, v8
	v_mov_b32_e32 v6, v9
	s_waitcnt vmcnt(1)
	v_and_b32_e32 v3, v3, v5
	v_and_b32_e32 v4, v4, v6
	s_waitcnt vmcnt(0)
	v_mad_u64_u32 v[7:8], null, v3, 24, v[10:11]
	v_mov_b32_e32 v3, v8
	v_mad_u64_u32 v[3:4], null, v4, 24, v[3:4]
	v_mov_b32_e32 v8, v3
	global_load_dwordx2 v[3:4], v[7:8], off glc dlc
	s_waitcnt vmcnt(0)
	global_atomic_cmpswap_x2 v[8:9], v2, v[3:6], s[26:27] offset:24 glc
	s_waitcnt vmcnt(0)
	buffer_gl1_inv
	buffer_gl0_inv
	v_cmp_eq_u64_e32 vcc_lo, v[8:9], v[5:6]
	s_or_b32 s7, vcc_lo, s7
	s_andn2_b32 exec_lo, exec_lo, s7
	s_cbranch_execnz .LBB6_1629
; %bb.1630:
	s_or_b32 exec_lo, exec_lo, s7
.LBB6_1631:
	s_or_b32 exec_lo, exec_lo, s6
.LBB6_1632:
	s_or_b32 exec_lo, exec_lo, s5
	s_waitcnt vmcnt(0)
	v_mov_b32_e32 v2, 0
	v_readfirstlane_b32 s6, v8
	v_readfirstlane_b32 s7, v9
	s_mov_b32 s5, exec_lo
	s_clause 0x1
	global_load_dwordx2 v[10:11], v2, s[26:27] offset:40
	global_load_dwordx4 v[4:7], v2, s[26:27]
	s_waitcnt vmcnt(1)
	v_readfirstlane_b32 s10, v10
	v_readfirstlane_b32 s11, v11
	s_and_b64 s[10:11], s[6:7], s[10:11]
	s_mul_i32 s15, s11, 24
	s_mul_hi_u32 s16, s10, 24
	s_mul_i32 s17, s10, 24
	s_add_i32 s16, s16, s15
	s_waitcnt vmcnt(0)
	v_add_co_u32 v8, vcc_lo, v4, s17
	v_add_co_ci_u32_e32 v9, vcc_lo, s16, v5, vcc_lo
	s_and_saveexec_b32 s15, s4
	s_cbranch_execz .LBB6_1634
; %bb.1633:
	v_mov_b32_e32 v10, s5
	v_mov_b32_e32 v11, v2
	;; [unrolled: 1-line block ×4, first 2 shown]
	global_store_dwordx4 v[8:9], v[10:13], off offset:8
.LBB6_1634:
	s_or_b32 exec_lo, exec_lo, s15
	s_lshl_b64 s[10:11], s[10:11], 12
	s_mov_b32 s16, 0
	v_add_co_u32 v6, vcc_lo, v6, s10
	v_add_co_ci_u32_e32 v7, vcc_lo, s11, v7, vcc_lo
	s_mov_b32 s17, s16
	v_readfirstlane_b32 s10, v6
	v_add_co_u32 v6, vcc_lo, v6, v48
	s_mov_b32 s18, s16
	s_mov_b32 s19, s16
	v_and_or_b32 v0, 0xffffff1f, v0, 32
	v_mov_b32_e32 v3, v2
	v_readfirstlane_b32 s11, v7
	v_mov_b32_e32 v10, s16
	v_add_co_ci_u32_e32 v7, vcc_lo, 0, v7, vcc_lo
	v_mov_b32_e32 v11, s17
	v_mov_b32_e32 v12, s18
	;; [unrolled: 1-line block ×3, first 2 shown]
	global_store_dwordx4 v48, v[0:3], s[10:11]
	global_store_dwordx4 v48, v[10:13], s[10:11] offset:16
	global_store_dwordx4 v48, v[10:13], s[10:11] offset:32
	;; [unrolled: 1-line block ×3, first 2 shown]
	s_and_saveexec_b32 s5, s4
	s_cbranch_execz .LBB6_1642
; %bb.1635:
	v_mov_b32_e32 v10, 0
	v_mov_b32_e32 v11, s6
	;; [unrolled: 1-line block ×3, first 2 shown]
	s_clause 0x1
	global_load_dwordx2 v[13:14], v10, s[26:27] offset:32 glc dlc
	global_load_dwordx2 v[0:1], v10, s[26:27] offset:40
	s_waitcnt vmcnt(0)
	v_readfirstlane_b32 s10, v0
	v_readfirstlane_b32 s11, v1
	s_and_b64 s[10:11], s[10:11], s[6:7]
	s_mul_i32 s11, s11, 24
	s_mul_hi_u32 s15, s10, 24
	s_mul_i32 s10, s10, 24
	s_add_i32 s15, s15, s11
	v_add_co_u32 v4, vcc_lo, v4, s10
	v_add_co_ci_u32_e32 v5, vcc_lo, s15, v5, vcc_lo
	s_mov_b32 s10, exec_lo
	global_store_dwordx2 v[4:5], v[13:14], off
	s_waitcnt_vscnt null, 0x0
	global_atomic_cmpswap_x2 v[2:3], v10, v[11:14], s[26:27] offset:32 glc
	s_waitcnt vmcnt(0)
	v_cmpx_ne_u64_e64 v[2:3], v[13:14]
	s_cbranch_execz .LBB6_1638
; %bb.1636:
	s_mov_b32 s11, 0
.LBB6_1637:                             ; =>This Inner Loop Header: Depth=1
	v_mov_b32_e32 v0, s6
	v_mov_b32_e32 v1, s7
	s_sleep 1
	global_store_dwordx2 v[4:5], v[2:3], off
	s_waitcnt_vscnt null, 0x0
	global_atomic_cmpswap_x2 v[0:1], v10, v[0:3], s[26:27] offset:32 glc
	s_waitcnt vmcnt(0)
	v_cmp_eq_u64_e32 vcc_lo, v[0:1], v[2:3]
	v_mov_b32_e32 v3, v1
	v_mov_b32_e32 v2, v0
	s_or_b32 s11, vcc_lo, s11
	s_andn2_b32 exec_lo, exec_lo, s11
	s_cbranch_execnz .LBB6_1637
.LBB6_1638:
	s_or_b32 exec_lo, exec_lo, s10
	v_mov_b32_e32 v3, 0
	s_mov_b32 s11, exec_lo
	s_mov_b32 s10, exec_lo
	v_mbcnt_lo_u32_b32 v2, s11, 0
	global_load_dwordx2 v[0:1], v3, s[26:27] offset:16
	v_cmpx_eq_u32_e32 0, v2
	s_cbranch_execz .LBB6_1640
; %bb.1639:
	s_bcnt1_i32_b32 s11, s11
	v_mov_b32_e32 v2, s11
	s_waitcnt vmcnt(0)
	global_atomic_add_x2 v[0:1], v[2:3], off offset:8
.LBB6_1640:
	s_or_b32 exec_lo, exec_lo, s10
	s_waitcnt vmcnt(0)
	global_load_dwordx2 v[2:3], v[0:1], off offset:16
	s_waitcnt vmcnt(0)
	v_cmp_eq_u64_e32 vcc_lo, 0, v[2:3]
	s_cbranch_vccnz .LBB6_1642
; %bb.1641:
	global_load_dword v0, v[0:1], off offset:24
	v_mov_b32_e32 v1, 0
	s_waitcnt vmcnt(0)
	v_and_b32_e32 v4, 0x7fffff, v0
	s_waitcnt_vscnt null, 0x0
	global_store_dwordx2 v[2:3], v[0:1], off
	v_readfirstlane_b32 m0, v4
	s_sendmsg sendmsg(MSG_INTERRUPT)
.LBB6_1642:
	s_or_b32 exec_lo, exec_lo, s5
	s_branch .LBB6_1646
	.p2align	6
.LBB6_1643:                             ;   in Loop: Header=BB6_1646 Depth=1
	s_or_b32 exec_lo, exec_lo, s5
	v_readfirstlane_b32 s5, v0
	s_cmp_eq_u32 s5, 0
	s_cbranch_scc1 .LBB6_1645
; %bb.1644:                             ;   in Loop: Header=BB6_1646 Depth=1
	s_sleep 1
	s_cbranch_execnz .LBB6_1646
	s_branch .LBB6_1648
	.p2align	6
.LBB6_1645:
	s_branch .LBB6_1648
.LBB6_1646:                             ; =>This Inner Loop Header: Depth=1
	v_mov_b32_e32 v0, 1
	s_and_saveexec_b32 s5, s4
	s_cbranch_execz .LBB6_1643
; %bb.1647:                             ;   in Loop: Header=BB6_1646 Depth=1
	global_load_dword v0, v[8:9], off offset:20 glc dlc
	s_waitcnt vmcnt(0)
	buffer_gl1_inv
	buffer_gl0_inv
	v_and_b32_e32 v0, 1, v0
	s_branch .LBB6_1643
.LBB6_1648:
	global_load_dwordx2 v[2:3], v[6:7], off
	s_and_saveexec_b32 s5, s4
	s_cbranch_execz .LBB6_1652
; %bb.1649:
	v_mov_b32_e32 v8, 0
	s_clause 0x2
	global_load_dwordx2 v[0:1], v8, s[26:27] offset:40
	global_load_dwordx2 v[9:10], v8, s[26:27] offset:24 glc dlc
	global_load_dwordx2 v[6:7], v8, s[26:27]
	s_waitcnt vmcnt(2)
	v_add_co_u32 v11, vcc_lo, v0, 1
	v_add_co_ci_u32_e32 v12, vcc_lo, 0, v1, vcc_lo
	v_add_co_u32 v4, vcc_lo, v11, s6
	v_add_co_ci_u32_e32 v5, vcc_lo, s7, v12, vcc_lo
	v_cmp_eq_u64_e32 vcc_lo, 0, v[4:5]
	v_cndmask_b32_e32 v5, v5, v12, vcc_lo
	v_cndmask_b32_e32 v4, v4, v11, vcc_lo
	v_and_b32_e32 v1, v5, v1
	v_and_b32_e32 v0, v4, v0
	v_mul_lo_u32 v1, v1, 24
	v_mul_hi_u32 v11, v0, 24
	v_mul_lo_u32 v0, v0, 24
	v_add_nc_u32_e32 v1, v11, v1
	s_waitcnt vmcnt(0)
	v_add_co_u32 v0, vcc_lo, v6, v0
	v_mov_b32_e32 v6, v9
	v_add_co_ci_u32_e32 v1, vcc_lo, v7, v1, vcc_lo
	v_mov_b32_e32 v7, v10
	global_store_dwordx2 v[0:1], v[9:10], off
	s_waitcnt_vscnt null, 0x0
	global_atomic_cmpswap_x2 v[6:7], v8, v[4:7], s[26:27] offset:24 glc
	s_waitcnt vmcnt(0)
	v_cmp_ne_u64_e32 vcc_lo, v[6:7], v[9:10]
	s_and_b32 exec_lo, exec_lo, vcc_lo
	s_cbranch_execz .LBB6_1652
; %bb.1650:
	s_mov_b32 s4, 0
.LBB6_1651:                             ; =>This Inner Loop Header: Depth=1
	s_sleep 1
	global_store_dwordx2 v[0:1], v[6:7], off
	s_waitcnt_vscnt null, 0x0
	global_atomic_cmpswap_x2 v[9:10], v8, v[4:7], s[26:27] offset:24 glc
	s_waitcnt vmcnt(0)
	v_cmp_eq_u64_e32 vcc_lo, v[9:10], v[6:7]
	v_mov_b32_e32 v6, v9
	v_mov_b32_e32 v7, v10
	s_or_b32 s4, vcc_lo, s4
	s_andn2_b32 exec_lo, exec_lo, s4
	s_cbranch_execnz .LBB6_1651
.LBB6_1652:
	s_or_b32 exec_lo, exec_lo, s5
.LBB6_1653:
	v_readfirstlane_b32 s4, v49
	s_waitcnt vmcnt(0)
	v_mov_b32_e32 v0, 0
	v_mov_b32_e32 v1, 0
	v_cmp_eq_u32_e64 s4, s4, v49
	s_and_saveexec_b32 s5, s4
	s_cbranch_execz .LBB6_1659
; %bb.1654:
	v_mov_b32_e32 v4, 0
	s_mov_b32 s6, exec_lo
	global_load_dwordx2 v[7:8], v4, s[26:27] offset:24 glc dlc
	s_waitcnt vmcnt(0)
	buffer_gl1_inv
	buffer_gl0_inv
	s_clause 0x1
	global_load_dwordx2 v[0:1], v4, s[26:27] offset:40
	global_load_dwordx2 v[5:6], v4, s[26:27]
	s_waitcnt vmcnt(1)
	v_and_b32_e32 v1, v1, v8
	v_and_b32_e32 v0, v0, v7
	v_mul_lo_u32 v1, v1, 24
	v_mul_hi_u32 v9, v0, 24
	v_mul_lo_u32 v0, v0, 24
	v_add_nc_u32_e32 v1, v9, v1
	s_waitcnt vmcnt(0)
	v_add_co_u32 v0, vcc_lo, v5, v0
	v_add_co_ci_u32_e32 v1, vcc_lo, v6, v1, vcc_lo
	global_load_dwordx2 v[5:6], v[0:1], off glc dlc
	s_waitcnt vmcnt(0)
	global_atomic_cmpswap_x2 v[0:1], v4, v[5:8], s[26:27] offset:24 glc
	s_waitcnt vmcnt(0)
	buffer_gl1_inv
	buffer_gl0_inv
	v_cmpx_ne_u64_e64 v[0:1], v[7:8]
	s_cbranch_execz .LBB6_1658
; %bb.1655:
	s_mov_b32 s7, 0
	.p2align	6
.LBB6_1656:                             ; =>This Inner Loop Header: Depth=1
	s_sleep 1
	s_clause 0x1
	global_load_dwordx2 v[5:6], v4, s[26:27] offset:40
	global_load_dwordx2 v[9:10], v4, s[26:27]
	v_mov_b32_e32 v8, v1
	v_mov_b32_e32 v7, v0
	s_waitcnt vmcnt(1)
	v_and_b32_e32 v0, v5, v7
	v_and_b32_e32 v5, v6, v8
	s_waitcnt vmcnt(0)
	v_mad_u64_u32 v[0:1], null, v0, 24, v[9:10]
	v_mad_u64_u32 v[5:6], null, v5, 24, v[1:2]
	v_mov_b32_e32 v1, v5
	global_load_dwordx2 v[5:6], v[0:1], off glc dlc
	s_waitcnt vmcnt(0)
	global_atomic_cmpswap_x2 v[0:1], v4, v[5:8], s[26:27] offset:24 glc
	s_waitcnt vmcnt(0)
	buffer_gl1_inv
	buffer_gl0_inv
	v_cmp_eq_u64_e32 vcc_lo, v[0:1], v[7:8]
	s_or_b32 s7, vcc_lo, s7
	s_andn2_b32 exec_lo, exec_lo, s7
	s_cbranch_execnz .LBB6_1656
; %bb.1657:
	s_or_b32 exec_lo, exec_lo, s7
.LBB6_1658:
	s_or_b32 exec_lo, exec_lo, s6
.LBB6_1659:
	s_or_b32 exec_lo, exec_lo, s5
	v_mov_b32_e32 v5, 0
	v_readfirstlane_b32 s6, v0
	v_readfirstlane_b32 s7, v1
	s_mov_b32 s5, exec_lo
	s_clause 0x1
	global_load_dwordx2 v[10:11], v5, s[26:27] offset:40
	global_load_dwordx4 v[6:9], v5, s[26:27]
	s_waitcnt vmcnt(1)
	v_readfirstlane_b32 s10, v10
	v_readfirstlane_b32 s11, v11
	s_and_b64 s[10:11], s[6:7], s[10:11]
	s_mul_i32 s15, s11, 24
	s_mul_hi_u32 s16, s10, 24
	s_mul_i32 s17, s10, 24
	s_add_i32 s16, s16, s15
	s_waitcnt vmcnt(0)
	v_add_co_u32 v10, vcc_lo, v6, s17
	v_add_co_ci_u32_e32 v11, vcc_lo, s16, v7, vcc_lo
	s_and_saveexec_b32 s15, s4
	s_cbranch_execz .LBB6_1661
; %bb.1660:
	v_mov_b32_e32 v4, s5
	v_mov_b32_e32 v13, v5
	;; [unrolled: 1-line block ×5, first 2 shown]
	global_store_dwordx4 v[10:11], v[12:15], off offset:8
.LBB6_1661:
	s_or_b32 exec_lo, exec_lo, s15
	s_lshl_b64 s[10:11], s[10:11], 12
	s_mov_b32 s16, 0
	v_add_co_u32 v0, vcc_lo, v8, s10
	v_add_co_ci_u32_e32 v1, vcc_lo, s11, v9, vcc_lo
	s_mov_b32 s17, s16
	s_mov_b32 s18, s16
	;; [unrolled: 1-line block ×3, first 2 shown]
	v_and_or_b32 v2, 0xffffff1d, v2, 34
	v_mov_b32_e32 v4, 10
	v_readfirstlane_b32 s10, v0
	v_readfirstlane_b32 s11, v1
	v_mov_b32_e32 v12, s16
	v_mov_b32_e32 v13, s17
	;; [unrolled: 1-line block ×4, first 2 shown]
	global_store_dwordx4 v48, v[2:5], s[10:11]
	global_store_dwordx4 v48, v[12:15], s[10:11] offset:16
	global_store_dwordx4 v48, v[12:15], s[10:11] offset:32
	;; [unrolled: 1-line block ×3, first 2 shown]
	s_and_saveexec_b32 s5, s4
	s_cbranch_execz .LBB6_1669
; %bb.1662:
	v_mov_b32_e32 v8, 0
	v_mov_b32_e32 v12, s6
	v_mov_b32_e32 v13, s7
	s_clause 0x1
	global_load_dwordx2 v[14:15], v8, s[26:27] offset:32 glc dlc
	global_load_dwordx2 v[0:1], v8, s[26:27] offset:40
	s_waitcnt vmcnt(0)
	v_readfirstlane_b32 s10, v0
	v_readfirstlane_b32 s11, v1
	s_and_b64 s[10:11], s[10:11], s[6:7]
	s_mul_i32 s11, s11, 24
	s_mul_hi_u32 s15, s10, 24
	s_mul_i32 s10, s10, 24
	s_add_i32 s15, s15, s11
	v_add_co_u32 v4, vcc_lo, v6, s10
	v_add_co_ci_u32_e32 v5, vcc_lo, s15, v7, vcc_lo
	s_mov_b32 s10, exec_lo
	global_store_dwordx2 v[4:5], v[14:15], off
	s_waitcnt_vscnt null, 0x0
	global_atomic_cmpswap_x2 v[2:3], v8, v[12:15], s[26:27] offset:32 glc
	s_waitcnt vmcnt(0)
	v_cmpx_ne_u64_e64 v[2:3], v[14:15]
	s_cbranch_execz .LBB6_1665
; %bb.1663:
	s_mov_b32 s11, 0
.LBB6_1664:                             ; =>This Inner Loop Header: Depth=1
	v_mov_b32_e32 v0, s6
	v_mov_b32_e32 v1, s7
	s_sleep 1
	global_store_dwordx2 v[4:5], v[2:3], off
	s_waitcnt_vscnt null, 0x0
	global_atomic_cmpswap_x2 v[0:1], v8, v[0:3], s[26:27] offset:32 glc
	s_waitcnt vmcnt(0)
	v_cmp_eq_u64_e32 vcc_lo, v[0:1], v[2:3]
	v_mov_b32_e32 v3, v1
	v_mov_b32_e32 v2, v0
	s_or_b32 s11, vcc_lo, s11
	s_andn2_b32 exec_lo, exec_lo, s11
	s_cbranch_execnz .LBB6_1664
.LBB6_1665:
	s_or_b32 exec_lo, exec_lo, s10
	v_mov_b32_e32 v3, 0
	s_mov_b32 s11, exec_lo
	s_mov_b32 s10, exec_lo
	v_mbcnt_lo_u32_b32 v2, s11, 0
	global_load_dwordx2 v[0:1], v3, s[26:27] offset:16
	v_cmpx_eq_u32_e32 0, v2
	s_cbranch_execz .LBB6_1667
; %bb.1666:
	s_bcnt1_i32_b32 s11, s11
	v_mov_b32_e32 v2, s11
	s_waitcnt vmcnt(0)
	global_atomic_add_x2 v[0:1], v[2:3], off offset:8
.LBB6_1667:
	s_or_b32 exec_lo, exec_lo, s10
	s_waitcnt vmcnt(0)
	global_load_dwordx2 v[2:3], v[0:1], off offset:16
	s_waitcnt vmcnt(0)
	v_cmp_eq_u64_e32 vcc_lo, 0, v[2:3]
	s_cbranch_vccnz .LBB6_1669
; %bb.1668:
	global_load_dword v0, v[0:1], off offset:24
	v_mov_b32_e32 v1, 0
	s_waitcnt vmcnt(0)
	v_and_b32_e32 v4, 0x7fffff, v0
	s_waitcnt_vscnt null, 0x0
	global_store_dwordx2 v[2:3], v[0:1], off
	v_readfirstlane_b32 m0, v4
	s_sendmsg sendmsg(MSG_INTERRUPT)
.LBB6_1669:
	s_or_b32 exec_lo, exec_lo, s5
	s_branch .LBB6_1673
	.p2align	6
.LBB6_1670:                             ;   in Loop: Header=BB6_1673 Depth=1
	s_or_b32 exec_lo, exec_lo, s5
	v_readfirstlane_b32 s5, v0
	s_cmp_eq_u32 s5, 0
	s_cbranch_scc1 .LBB6_1672
; %bb.1671:                             ;   in Loop: Header=BB6_1673 Depth=1
	s_sleep 1
	s_cbranch_execnz .LBB6_1673
	s_branch .LBB6_1675
	.p2align	6
.LBB6_1672:
	s_branch .LBB6_1675
.LBB6_1673:                             ; =>This Inner Loop Header: Depth=1
	v_mov_b32_e32 v0, 1
	s_and_saveexec_b32 s5, s4
	s_cbranch_execz .LBB6_1670
; %bb.1674:                             ;   in Loop: Header=BB6_1673 Depth=1
	global_load_dword v0, v[10:11], off offset:20 glc dlc
	s_waitcnt vmcnt(0)
	buffer_gl1_inv
	buffer_gl0_inv
	v_and_b32_e32 v0, 1, v0
	s_branch .LBB6_1670
.LBB6_1675:
	s_and_saveexec_b32 s5, s4
	s_cbranch_execz .LBB6_1679
; %bb.1676:
	v_mov_b32_e32 v6, 0
	s_clause 0x2
	global_load_dwordx2 v[2:3], v6, s[26:27] offset:40
	global_load_dwordx2 v[7:8], v6, s[26:27] offset:24 glc dlc
	global_load_dwordx2 v[4:5], v6, s[26:27]
	s_waitcnt vmcnt(2)
	v_add_co_u32 v9, vcc_lo, v2, 1
	v_add_co_ci_u32_e32 v10, vcc_lo, 0, v3, vcc_lo
	v_add_co_u32 v0, vcc_lo, v9, s6
	v_add_co_ci_u32_e32 v1, vcc_lo, s7, v10, vcc_lo
	v_cmp_eq_u64_e32 vcc_lo, 0, v[0:1]
	v_cndmask_b32_e32 v1, v1, v10, vcc_lo
	v_cndmask_b32_e32 v0, v0, v9, vcc_lo
	v_and_b32_e32 v3, v1, v3
	v_and_b32_e32 v2, v0, v2
	v_mul_lo_u32 v3, v3, 24
	v_mul_hi_u32 v9, v2, 24
	v_mul_lo_u32 v2, v2, 24
	v_add_nc_u32_e32 v3, v9, v3
	s_waitcnt vmcnt(0)
	v_add_co_u32 v4, vcc_lo, v4, v2
	v_mov_b32_e32 v2, v7
	v_add_co_ci_u32_e32 v5, vcc_lo, v5, v3, vcc_lo
	v_mov_b32_e32 v3, v8
	global_store_dwordx2 v[4:5], v[7:8], off
	s_waitcnt_vscnt null, 0x0
	global_atomic_cmpswap_x2 v[2:3], v6, v[0:3], s[26:27] offset:24 glc
	s_waitcnt vmcnt(0)
	v_cmp_ne_u64_e32 vcc_lo, v[2:3], v[7:8]
	s_and_b32 exec_lo, exec_lo, vcc_lo
	s_cbranch_execz .LBB6_1679
; %bb.1677:
	s_mov_b32 s4, 0
.LBB6_1678:                             ; =>This Inner Loop Header: Depth=1
	s_sleep 1
	global_store_dwordx2 v[4:5], v[2:3], off
	s_waitcnt_vscnt null, 0x0
	global_atomic_cmpswap_x2 v[7:8], v6, v[0:3], s[26:27] offset:24 glc
	s_waitcnt vmcnt(0)
	v_cmp_eq_u64_e32 vcc_lo, v[7:8], v[2:3]
	v_mov_b32_e32 v2, v7
	v_mov_b32_e32 v3, v8
	s_or_b32 s4, vcc_lo, s4
	s_andn2_b32 exec_lo, exec_lo, s4
	s_cbranch_execnz .LBB6_1678
.LBB6_1679:
	s_or_b32 exec_lo, exec_lo, s5
	flat_load_dwordx2 v[0:1], v[36:37]
	s_waitcnt vmcnt(0) lgkmcnt(0)
	flat_load_dword v2, v[0:1]
	s_waitcnt vmcnt(0) lgkmcnt(0)
	v_add_nc_u32_e32 v2, 1, v2
	flat_store_dword v[0:1], v2
.LBB6_1680:
	s_or_b32 exec_lo, exec_lo, s29
	s_getpc_b64 s[4:5]
	s_add_u32 s4, s4, _ZN8migraphx4test4failEv@rel32@lo+4
	s_addc_u32 s5, s5, _ZN8migraphx4test4failEv@rel32@hi+12
	s_swappc_b64 s[30:31], s[4:5]
	; divergent unreachable
.LBB6_1681:
	s_andn2_saveexec_b32 s4, s28
	s_or_b32 exec_lo, exec_lo, s4
	v_readlane_b32 s30, v40, 0
	v_readlane_b32 s31, v40, 1
	;; [unrolled: 1-line block ×3, first 2 shown]
	s_or_saveexec_b32 s5, -1
	buffer_load_dword v40, off, s[0:3], s33 offset:20 ; 4-byte Folded Reload
	s_mov_b32 exec_lo, s5
	s_addk_i32 s32, 0xfc00
	s_mov_b32 s33, s4
	s_waitcnt vmcnt(0)
	s_setpc_b64 s[30:31]
.Lfunc_end6:
	.size	_ZL22upper_bound_all_largerRN8migraphx4test12test_managerE, .Lfunc_end6-_ZL22upper_bound_all_largerRN8migraphx4test12test_managerE
                                        ; -- End function
	.section	.AMDGPU.csdata,"",@progbits
; Function info:
; codeLenInByte = 60752
; NumSgprs: 46
; NumVgprs: 50
; ScratchSize: 32
; MemoryBound: 0
	.text
	.protected	gpu_test_kernel         ; -- Begin function gpu_test_kernel
	.globl	gpu_test_kernel
	.p2align	8
	.type	gpu_test_kernel,@function
gpu_test_kernel:                        ; @gpu_test_kernel
; %bb.0:
	s_add_u32 s8, s8, s13
	s_movk_i32 s32, 0x400
	s_addc_u32 s9, s9, 0
	s_setreg_b32 hwreg(HW_REG_FLAT_SCR_LO), s8
	s_setreg_b32 hwreg(HW_REG_FLAT_SCR_HI), s9
	s_mov_b64 s[44:45], s[6:7]
	s_load_dwordx2 s[4:5], s[4:5], 0x4
	s_load_dwordx2 s[6:7], s[6:7], 0x8
	s_add_u32 s0, s0, s13
	v_mov_b32_e32 v42, v0
	s_addc_u32 s1, s1, 0
	s_load_dword s49, s[44:45], 0x0
	s_mov_b32 s46, s12
	s_mov_b32 s47, s11
	;; [unrolled: 1-line block ×3, first 2 shown]
	s_mov_b64 s[50:51], src_shared_base
	s_waitcnt lgkmcnt(0)
	s_lshr_b32 s4, s4, 16
	s_mul_i32 s4, s4, s5
	v_mul_lo_u32 v0, s4, v42
	s_cmp_lt_i32 s49, 3
	s_mov_b32 s4, -1
	v_mad_u32_u24 v0, v1, s5, v0
	v_add_lshl_u32 v41, v0, v2, 3
	v_mov_b32_e32 v0, s6
	v_mov_b32_e32 v1, s7
	ds_write_b64 v41, v[0:1]
	s_cbranch_scc1 .LBB7_12
; %bb.1:
	s_cmp_lt_i32 s49, 4
	s_cbranch_scc1 .LBB7_9
; %bb.2:
	s_cmp_lt_i32 s49, 5
	s_cbranch_scc1 .LBB7_6
; %bb.3:
	s_cmp_eq_u32 s49, 5
	s_cbranch_scc0 .LBB7_5
; %bb.4:
	v_mov_b32_e32 v1, s51
	v_mov_b32_e32 v31, v42
	;; [unrolled: 1-line block ×3, first 2 shown]
	s_add_u32 s8, s44, 16
	s_addc_u32 s9, s45, 0
	s_mov_b32 s12, s48
	s_mov_b32 s13, s47
	;; [unrolled: 1-line block ×3, first 2 shown]
	s_getpc_b64 s[4:5]
	s_add_u32 s4, s4, _ZL22upper_bound_all_largerRN8migraphx4test12test_managerE@rel32@lo+4
	s_addc_u32 s5, s5, _ZL22upper_bound_all_largerRN8migraphx4test12test_managerE@rel32@hi+12
	s_swappc_b64 s[30:31], s[4:5]
.LBB7_5:
	s_mov_b32 s4, 0
.LBB7_6:
	s_andn2_b32 vcc_lo, exec_lo, s4
	s_cbranch_vccnz .LBB7_8
; %bb.7:
	v_mov_b32_e32 v1, s51
	v_mov_b32_e32 v31, v42
	v_mov_b32_e32 v0, v41
	s_add_u32 s8, s44, 16
	s_addc_u32 s9, s45, 0
	s_mov_b32 s12, s48
	s_mov_b32 s13, s47
	;; [unrolled: 1-line block ×3, first 2 shown]
	s_getpc_b64 s[4:5]
	s_add_u32 s4, s4, _ZL23upper_bound_all_smallerRN8migraphx4test12test_managerE@rel32@lo+4
	s_addc_u32 s5, s5, _ZL23upper_bound_all_smallerRN8migraphx4test12test_managerE@rel32@hi+12
	s_swappc_b64 s[30:31], s[4:5]
.LBB7_8:
	s_mov_b32 s4, 0
.LBB7_9:
	s_andn2_b32 vcc_lo, exec_lo, s4
	s_cbranch_vccnz .LBB7_11
; %bb.10:
	v_mov_b32_e32 v1, s51
	v_mov_b32_e32 v31, v42
	v_mov_b32_e32 v0, v41
	s_add_u32 s8, s44, 16
	s_addc_u32 s9, s45, 0
	s_mov_b32 s12, s48
	s_mov_b32 s13, s47
	;; [unrolled: 1-line block ×3, first 2 shown]
	s_getpc_b64 s[4:5]
	s_add_u32 s4, s4, _ZL31upper_bound_multiple_duplicatesRN8migraphx4test12test_managerE@rel32@lo+4
	s_addc_u32 s5, s5, _ZL31upper_bound_multiple_duplicatesRN8migraphx4test12test_managerE@rel32@hi+12
	s_swappc_b64 s[30:31], s[4:5]
.LBB7_11:
	s_mov_b32 s4, 0
.LBB7_12:
	s_andn2_b32 vcc_lo, exec_lo, s4
	s_cbranch_vccnz .LBB7_17
; %bb.13:
	s_cmp_gt_i32 s49, 1
	s_mov_b32 s4, -1
	s_cbranch_scc0 .LBB7_15
; %bb.14:
	v_mov_b32_e32 v1, s51
	v_mov_b32_e32 v31, v42
	;; [unrolled: 1-line block ×3, first 2 shown]
	s_add_u32 s8, s44, 16
	s_addc_u32 s9, s45, 0
	s_mov_b32 s12, s48
	s_mov_b32 s13, s47
	;; [unrolled: 1-line block ×3, first 2 shown]
	s_getpc_b64 s[4:5]
	s_add_u32 s4, s4, _ZL21upper_bound_all_equalRN8migraphx4test12test_managerE@rel32@lo+4
	s_addc_u32 s5, s5, _ZL21upper_bound_all_equalRN8migraphx4test12test_managerE@rel32@hi+12
	s_swappc_b64 s[30:31], s[4:5]
	s_mov_b32 s4, 0
.LBB7_15:
	s_andn2_b32 vcc_lo, exec_lo, s4
	s_cbranch_vccnz .LBB7_17
; %bb.16:
	s_cmp_lg_u32 s49, 0
	s_mov_b32 s5, 0
	s_cbranch_scc0 .LBB7_18
.LBB7_17:
	s_endpgm
.LBB7_18:
	v_mov_b32_e32 v0, 4
	v_mov_b32_e32 v2, 1
	;; [unrolled: 1-line block ×7, first 2 shown]
	buffer_store_dword v2, off, s[0:3], 0
	buffer_store_dword v3, off, s[0:3], 0 offset:4
	buffer_store_dword v4, off, s[0:3], 0 offset:8
	;; [unrolled: 1-line block ×3, first 2 shown]
	.p2align	6
.LBB7_19:                               ; =>This Inner Loop Header: Depth=1
	v_alignbit_b32 v2, v1, v0, 1
	v_lshl_add_u32 v4, v2, 2, v36
	v_lshrrev_b64 v[2:3], 1, v[0:1]
	buffer_load_dword v5, v4, s[0:3], 0 offen
	v_not_b32_e32 v6, v2
	v_not_b32_e32 v7, v3
	v_add_co_u32 v0, vcc_lo, v0, v6
	v_add_co_ci_u32_e32 v1, vcc_lo, v1, v7, vcc_lo
	s_waitcnt vmcnt(0)
	v_cmp_lt_i32_e32 vcc_lo, 0, v5
	v_cndmask_b32_e32 v1, v1, v3, vcc_lo
	v_cndmask_b32_e32 v0, v0, v2, vcc_lo
	v_add_nc_u32_e32 v2, 4, v4
	v_cmp_gt_i64_e64 s4, 1, v[0:1]
	v_cndmask_b32_e32 v36, v2, v36, vcc_lo
	s_or_b32 s5, s4, s5
	s_andn2_b32 exec_lo, exec_lo, s5
	s_cbranch_execnz .LBB7_19
; %bb.20:
	s_or_b32 exec_lo, exec_lo, s5
	s_mov_b32 s4, exec_lo
	v_cmpx_ne_u32_e32 0, v36
	s_xor_b32 s28, exec_lo, s4
	s_cbranch_execz .LBB7_1710
; %bb.21:
	s_mov_b32 s29, exec_lo
	v_cmpx_eq_u32_e32 0, v42
	s_cbranch_execz .LBB7_1709
; %bb.22:
	s_load_dwordx2 s[26:27], s[44:45], 0x60
	v_mbcnt_lo_u32_b32 v38, -1, 0
	v_mov_b32_e32 v6, 0
	v_mov_b32_e32 v7, 0
	v_readfirstlane_b32 s4, v38
	v_cmp_eq_u32_e64 s4, s4, v38
	s_and_saveexec_b32 s5, s4
	s_cbranch_execz .LBB7_28
; %bb.23:
	v_mov_b32_e32 v0, 0
	s_mov_b32 s6, exec_lo
	s_waitcnt lgkmcnt(0)
	global_load_dwordx2 v[3:4], v0, s[26:27] offset:24 glc dlc
	s_waitcnt vmcnt(0)
	buffer_gl1_inv
	buffer_gl0_inv
	s_clause 0x1
	global_load_dwordx2 v[1:2], v0, s[26:27] offset:40
	global_load_dwordx2 v[5:6], v0, s[26:27]
	s_waitcnt vmcnt(1)
	v_and_b32_e32 v2, v2, v4
	v_and_b32_e32 v1, v1, v3
	v_mul_lo_u32 v2, v2, 24
	v_mul_hi_u32 v7, v1, 24
	v_mul_lo_u32 v1, v1, 24
	v_add_nc_u32_e32 v2, v7, v2
	s_waitcnt vmcnt(0)
	v_add_co_u32 v1, vcc_lo, v5, v1
	v_add_co_ci_u32_e32 v2, vcc_lo, v6, v2, vcc_lo
	global_load_dwordx2 v[1:2], v[1:2], off glc dlc
	s_waitcnt vmcnt(0)
	global_atomic_cmpswap_x2 v[6:7], v0, v[1:4], s[26:27] offset:24 glc
	s_waitcnt vmcnt(0)
	buffer_gl1_inv
	buffer_gl0_inv
	v_cmpx_ne_u64_e64 v[6:7], v[3:4]
	s_cbranch_execz .LBB7_27
; %bb.24:
	s_mov_b32 s7, 0
.LBB7_25:                               ; =>This Inner Loop Header: Depth=1
	s_sleep 1
	s_clause 0x1
	global_load_dwordx2 v[1:2], v0, s[26:27] offset:40
	global_load_dwordx2 v[8:9], v0, s[26:27]
	v_mov_b32_e32 v3, v6
	v_mov_b32_e32 v4, v7
	s_waitcnt vmcnt(1)
	v_and_b32_e32 v1, v1, v3
	v_and_b32_e32 v2, v2, v4
	s_waitcnt vmcnt(0)
	v_mad_u64_u32 v[5:6], null, v1, 24, v[8:9]
	v_mov_b32_e32 v1, v6
	v_mad_u64_u32 v[1:2], null, v2, 24, v[1:2]
	v_mov_b32_e32 v6, v1
	global_load_dwordx2 v[1:2], v[5:6], off glc dlc
	s_waitcnt vmcnt(0)
	global_atomic_cmpswap_x2 v[6:7], v0, v[1:4], s[26:27] offset:24 glc
	s_waitcnt vmcnt(0)
	buffer_gl1_inv
	buffer_gl0_inv
	v_cmp_eq_u64_e32 vcc_lo, v[6:7], v[3:4]
	s_or_b32 s7, vcc_lo, s7
	s_andn2_b32 exec_lo, exec_lo, s7
	s_cbranch_execnz .LBB7_25
; %bb.26:
	s_or_b32 exec_lo, exec_lo, s7
.LBB7_27:
	s_or_b32 exec_lo, exec_lo, s6
.LBB7_28:
	s_or_b32 exec_lo, exec_lo, s5
	v_mov_b32_e32 v5, 0
	v_readfirstlane_b32 s6, v6
	v_readfirstlane_b32 s7, v7
	s_mov_b32 s5, exec_lo
	s_waitcnt lgkmcnt(0)
	s_clause 0x1
	global_load_dwordx2 v[8:9], v5, s[26:27] offset:40
	global_load_dwordx4 v[0:3], v5, s[26:27]
	s_waitcnt vmcnt(1)
	v_readfirstlane_b32 s8, v8
	v_readfirstlane_b32 s9, v9
	s_and_b64 s[8:9], s[6:7], s[8:9]
	s_mul_i32 s10, s9, 24
	s_mul_hi_u32 s11, s8, 24
	s_mul_i32 s12, s8, 24
	s_add_i32 s11, s11, s10
	s_waitcnt vmcnt(0)
	v_add_co_u32 v8, vcc_lo, v0, s12
	v_add_co_ci_u32_e32 v9, vcc_lo, s11, v1, vcc_lo
	s_and_saveexec_b32 s10, s4
	s_cbranch_execz .LBB7_30
; %bb.29:
	v_mov_b32_e32 v4, s5
	v_mov_b32_e32 v6, 2
	;; [unrolled: 1-line block ×3, first 2 shown]
	global_store_dwordx4 v[8:9], v[4:7], off offset:8
.LBB7_30:
	s_or_b32 exec_lo, exec_lo, s10
	s_lshl_b64 s[8:9], s[8:9], 12
	v_lshlrev_b32_e32 v37, 6, v38
	v_add_co_u32 v2, vcc_lo, v2, s8
	v_add_co_ci_u32_e32 v3, vcc_lo, s9, v3, vcc_lo
	s_mov_b32 s8, 0
	v_add_co_u32 v10, vcc_lo, v2, v37
	s_mov_b32 s11, s8
	s_mov_b32 s9, s8
	;; [unrolled: 1-line block ×3, first 2 shown]
	v_mov_b32_e32 v4, 33
	v_mov_b32_e32 v6, v5
	;; [unrolled: 1-line block ×3, first 2 shown]
	v_readfirstlane_b32 s12, v2
	v_readfirstlane_b32 s13, v3
	v_mov_b32_e32 v15, s11
	v_add_co_ci_u32_e32 v11, vcc_lo, 0, v3, vcc_lo
	v_mov_b32_e32 v14, s10
	v_mov_b32_e32 v13, s9
	;; [unrolled: 1-line block ×3, first 2 shown]
	global_store_dwordx4 v37, v[4:7], s[12:13]
	global_store_dwordx4 v37, v[12:15], s[12:13] offset:16
	global_store_dwordx4 v37, v[12:15], s[12:13] offset:32
	;; [unrolled: 1-line block ×3, first 2 shown]
	s_and_saveexec_b32 s5, s4
	s_cbranch_execz .LBB7_38
; %bb.31:
	v_mov_b32_e32 v6, 0
	v_mov_b32_e32 v12, s6
	;; [unrolled: 1-line block ×3, first 2 shown]
	s_mov_b32 s8, exec_lo
	s_clause 0x1
	global_load_dwordx2 v[14:15], v6, s[26:27] offset:32 glc dlc
	global_load_dwordx2 v[2:3], v6, s[26:27] offset:40
	s_waitcnt vmcnt(0)
	v_and_b32_e32 v3, s7, v3
	v_and_b32_e32 v2, s6, v2
	v_mul_lo_u32 v3, v3, 24
	v_mul_hi_u32 v4, v2, 24
	v_mul_lo_u32 v2, v2, 24
	v_add_nc_u32_e32 v3, v4, v3
	v_add_co_u32 v4, vcc_lo, v0, v2
	v_add_co_ci_u32_e32 v5, vcc_lo, v1, v3, vcc_lo
	global_store_dwordx2 v[4:5], v[14:15], off
	s_waitcnt_vscnt null, 0x0
	global_atomic_cmpswap_x2 v[2:3], v6, v[12:15], s[26:27] offset:32 glc
	s_waitcnt vmcnt(0)
	v_cmpx_ne_u64_e64 v[2:3], v[14:15]
	s_cbranch_execz .LBB7_34
; %bb.32:
	s_mov_b32 s9, 0
.LBB7_33:                               ; =>This Inner Loop Header: Depth=1
	v_mov_b32_e32 v0, s6
	v_mov_b32_e32 v1, s7
	s_sleep 1
	global_store_dwordx2 v[4:5], v[2:3], off
	s_waitcnt_vscnt null, 0x0
	global_atomic_cmpswap_x2 v[0:1], v6, v[0:3], s[26:27] offset:32 glc
	s_waitcnt vmcnt(0)
	v_cmp_eq_u64_e32 vcc_lo, v[0:1], v[2:3]
	v_mov_b32_e32 v3, v1
	v_mov_b32_e32 v2, v0
	s_or_b32 s9, vcc_lo, s9
	s_andn2_b32 exec_lo, exec_lo, s9
	s_cbranch_execnz .LBB7_33
.LBB7_34:
	s_or_b32 exec_lo, exec_lo, s8
	v_mov_b32_e32 v3, 0
	s_mov_b32 s9, exec_lo
	s_mov_b32 s8, exec_lo
	v_mbcnt_lo_u32_b32 v2, s9, 0
	global_load_dwordx2 v[0:1], v3, s[26:27] offset:16
	v_cmpx_eq_u32_e32 0, v2
	s_cbranch_execz .LBB7_36
; %bb.35:
	s_bcnt1_i32_b32 s9, s9
	v_mov_b32_e32 v2, s9
	s_waitcnt vmcnt(0)
	global_atomic_add_x2 v[0:1], v[2:3], off offset:8
.LBB7_36:
	s_or_b32 exec_lo, exec_lo, s8
	s_waitcnt vmcnt(0)
	global_load_dwordx2 v[2:3], v[0:1], off offset:16
	s_waitcnt vmcnt(0)
	v_cmp_eq_u64_e32 vcc_lo, 0, v[2:3]
	s_cbranch_vccnz .LBB7_38
; %bb.37:
	global_load_dword v0, v[0:1], off offset:24
	v_mov_b32_e32 v1, 0
	s_waitcnt vmcnt(0)
	v_and_b32_e32 v4, 0x7fffff, v0
	s_waitcnt_vscnt null, 0x0
	global_store_dwordx2 v[2:3], v[0:1], off
	v_readfirstlane_b32 m0, v4
	s_sendmsg sendmsg(MSG_INTERRUPT)
.LBB7_38:
	s_or_b32 exec_lo, exec_lo, s5
	s_branch .LBB7_42
	.p2align	6
.LBB7_39:                               ;   in Loop: Header=BB7_42 Depth=1
	s_or_b32 exec_lo, exec_lo, s5
	v_readfirstlane_b32 s5, v0
	s_cmp_eq_u32 s5, 0
	s_cbranch_scc1 .LBB7_41
; %bb.40:                               ;   in Loop: Header=BB7_42 Depth=1
	s_sleep 1
	s_cbranch_execnz .LBB7_42
	s_branch .LBB7_44
	.p2align	6
.LBB7_41:
	s_branch .LBB7_44
.LBB7_42:                               ; =>This Inner Loop Header: Depth=1
	v_mov_b32_e32 v0, 1
	s_and_saveexec_b32 s5, s4
	s_cbranch_execz .LBB7_39
; %bb.43:                               ;   in Loop: Header=BB7_42 Depth=1
	global_load_dword v0, v[8:9], off offset:20 glc dlc
	s_waitcnt vmcnt(0)
	buffer_gl1_inv
	buffer_gl0_inv
	v_and_b32_e32 v0, 1, v0
	s_branch .LBB7_39
.LBB7_44:
	global_load_dwordx2 v[4:5], v[10:11], off
	s_and_saveexec_b32 s5, s4
	s_cbranch_execz .LBB7_48
; %bb.45:
	v_mov_b32_e32 v8, 0
	s_clause 0x2
	global_load_dwordx2 v[2:3], v8, s[26:27] offset:40
	global_load_dwordx2 v[9:10], v8, s[26:27] offset:24 glc dlc
	global_load_dwordx2 v[6:7], v8, s[26:27]
	s_waitcnt vmcnt(2)
	v_add_co_u32 v11, vcc_lo, v2, 1
	v_add_co_ci_u32_e32 v12, vcc_lo, 0, v3, vcc_lo
	v_add_co_u32 v0, vcc_lo, v11, s6
	v_add_co_ci_u32_e32 v1, vcc_lo, s7, v12, vcc_lo
	v_cmp_eq_u64_e32 vcc_lo, 0, v[0:1]
	v_cndmask_b32_e32 v1, v1, v12, vcc_lo
	v_cndmask_b32_e32 v0, v0, v11, vcc_lo
	v_and_b32_e32 v3, v1, v3
	v_and_b32_e32 v2, v0, v2
	v_mul_lo_u32 v3, v3, 24
	v_mul_hi_u32 v11, v2, 24
	v_mul_lo_u32 v2, v2, 24
	v_add_nc_u32_e32 v3, v11, v3
	s_waitcnt vmcnt(0)
	v_add_co_u32 v6, vcc_lo, v6, v2
	v_mov_b32_e32 v2, v9
	v_add_co_ci_u32_e32 v7, vcc_lo, v7, v3, vcc_lo
	v_mov_b32_e32 v3, v10
	global_store_dwordx2 v[6:7], v[9:10], off
	s_waitcnt_vscnt null, 0x0
	global_atomic_cmpswap_x2 v[2:3], v8, v[0:3], s[26:27] offset:24 glc
	s_waitcnt vmcnt(0)
	v_cmp_ne_u64_e32 vcc_lo, v[2:3], v[9:10]
	s_and_b32 exec_lo, exec_lo, vcc_lo
	s_cbranch_execz .LBB7_48
; %bb.46:
	s_mov_b32 s4, 0
.LBB7_47:                               ; =>This Inner Loop Header: Depth=1
	s_sleep 1
	global_store_dwordx2 v[6:7], v[2:3], off
	s_waitcnt_vscnt null, 0x0
	global_atomic_cmpswap_x2 v[9:10], v8, v[0:3], s[26:27] offset:24 glc
	s_waitcnt vmcnt(0)
	v_cmp_eq_u64_e32 vcc_lo, v[9:10], v[2:3]
	v_mov_b32_e32 v2, v9
	v_mov_b32_e32 v3, v10
	s_or_b32 s4, vcc_lo, s4
	s_andn2_b32 exec_lo, exec_lo, s4
	s_cbranch_execnz .LBB7_47
.LBB7_48:
	s_or_b32 exec_lo, exec_lo, s5
	s_getpc_b64 s[6:7]
	s_add_u32 s6, s6, .str.5@rel32@lo+4
	s_addc_u32 s7, s7, .str.5@rel32@hi+12
	s_cmp_lg_u64 s[6:7], 0
	s_cselect_b32 s16, -1, 0
	s_and_b32 vcc_lo, exec_lo, s16
	s_cbranch_vccz .LBB7_127
; %bb.49:
	s_waitcnt vmcnt(0)
	v_and_b32_e32 v28, 2, v4
	v_mov_b32_e32 v7, 0
	v_and_b32_e32 v0, -3, v4
	v_mov_b32_e32 v1, v5
	v_mov_b32_e32 v8, 2
	v_mov_b32_e32 v9, 1
	s_mov_b64 s[8:9], 3
	s_branch .LBB7_51
.LBB7_50:                               ;   in Loop: Header=BB7_51 Depth=1
	s_or_b32 exec_lo, exec_lo, s5
	s_sub_u32 s8, s8, s10
	s_subb_u32 s9, s9, s11
	s_add_u32 s6, s6, s10
	s_addc_u32 s7, s7, s11
	s_cmp_lg_u64 s[8:9], 0
	s_cbranch_scc0 .LBB7_126
.LBB7_51:                               ; =>This Loop Header: Depth=1
                                        ;     Child Loop BB7_60 Depth 2
                                        ;     Child Loop BB7_56 Depth 2
	;; [unrolled: 1-line block ×11, first 2 shown]
	v_cmp_lt_u64_e64 s4, s[8:9], 56
	v_cmp_gt_u64_e64 s5, s[8:9], 7
                                        ; implicit-def: $vgpr2_vgpr3
                                        ; implicit-def: $sgpr17
	s_and_b32 s4, s4, exec_lo
	s_cselect_b32 s11, s9, 0
	s_cselect_b32 s10, s8, 56
	s_and_b32 vcc_lo, exec_lo, s5
	s_mov_b32 s4, -1
	s_cbranch_vccz .LBB7_58
; %bb.52:                               ;   in Loop: Header=BB7_51 Depth=1
	s_andn2_b32 vcc_lo, exec_lo, s4
	s_mov_b64 s[4:5], s[6:7]
	s_cbranch_vccz .LBB7_62
.LBB7_53:                               ;   in Loop: Header=BB7_51 Depth=1
	s_cmp_gt_u32 s17, 7
	s_cbranch_scc1 .LBB7_63
.LBB7_54:                               ;   in Loop: Header=BB7_51 Depth=1
	v_mov_b32_e32 v10, 0
	v_mov_b32_e32 v11, 0
	s_cmp_eq_u32 s17, 0
	s_cbranch_scc1 .LBB7_57
; %bb.55:                               ;   in Loop: Header=BB7_51 Depth=1
	s_mov_b64 s[12:13], 0
	s_mov_b64 s[14:15], 0
.LBB7_56:                               ;   Parent Loop BB7_51 Depth=1
                                        ; =>  This Inner Loop Header: Depth=2
	s_add_u32 s18, s4, s14
	s_addc_u32 s19, s5, s15
	s_add_u32 s14, s14, 1
	global_load_ubyte v6, v7, s[18:19]
	s_addc_u32 s15, s15, 0
	s_waitcnt vmcnt(0)
	v_and_b32_e32 v6, 0xffff, v6
	v_lshlrev_b64 v[12:13], s12, v[6:7]
	s_add_u32 s12, s12, 8
	s_addc_u32 s13, s13, 0
	s_cmp_lg_u32 s17, s14
	v_or_b32_e32 v10, v12, v10
	v_or_b32_e32 v11, v13, v11
	s_cbranch_scc1 .LBB7_56
.LBB7_57:                               ;   in Loop: Header=BB7_51 Depth=1
	s_mov_b32 s18, 0
	s_cbranch_execz .LBB7_64
	s_branch .LBB7_65
.LBB7_58:                               ;   in Loop: Header=BB7_51 Depth=1
	s_waitcnt vmcnt(0)
	v_mov_b32_e32 v2, 0
	v_mov_b32_e32 v3, 0
	s_cmp_eq_u64 s[8:9], 0
	s_mov_b64 s[4:5], 0
	s_cbranch_scc1 .LBB7_61
; %bb.59:                               ;   in Loop: Header=BB7_51 Depth=1
	v_mov_b32_e32 v2, 0
	v_mov_b32_e32 v3, 0
	s_lshl_b64 s[12:13], s[10:11], 3
	s_mov_b64 s[14:15], s[6:7]
.LBB7_60:                               ;   Parent Loop BB7_51 Depth=1
                                        ; =>  This Inner Loop Header: Depth=2
	global_load_ubyte v6, v7, s[14:15]
	s_waitcnt vmcnt(0)
	v_and_b32_e32 v6, 0xffff, v6
	v_lshlrev_b64 v[10:11], s4, v[6:7]
	s_add_u32 s4, s4, 8
	s_addc_u32 s5, s5, 0
	s_add_u32 s14, s14, 1
	s_addc_u32 s15, s15, 0
	s_cmp_lg_u32 s12, s4
	v_or_b32_e32 v2, v10, v2
	v_or_b32_e32 v3, v11, v3
	s_cbranch_scc1 .LBB7_60
.LBB7_61:                               ;   in Loop: Header=BB7_51 Depth=1
	s_mov_b32 s17, 0
	s_mov_b64 s[4:5], s[6:7]
	s_cbranch_execnz .LBB7_53
.LBB7_62:                               ;   in Loop: Header=BB7_51 Depth=1
	global_load_dwordx2 v[2:3], v7, s[6:7]
	s_add_i32 s17, s10, -8
	s_add_u32 s4, s6, 8
	s_addc_u32 s5, s7, 0
	s_cmp_gt_u32 s17, 7
	s_cbranch_scc0 .LBB7_54
.LBB7_63:                               ;   in Loop: Header=BB7_51 Depth=1
                                        ; implicit-def: $vgpr10_vgpr11
                                        ; implicit-def: $sgpr18
.LBB7_64:                               ;   in Loop: Header=BB7_51 Depth=1
	global_load_dwordx2 v[10:11], v7, s[4:5]
	s_add_i32 s18, s17, -8
	s_add_u32 s4, s4, 8
	s_addc_u32 s5, s5, 0
.LBB7_65:                               ;   in Loop: Header=BB7_51 Depth=1
	s_cmp_gt_u32 s18, 7
	s_cbranch_scc1 .LBB7_70
; %bb.66:                               ;   in Loop: Header=BB7_51 Depth=1
	v_mov_b32_e32 v12, 0
	v_mov_b32_e32 v13, 0
	s_cmp_eq_u32 s18, 0
	s_cbranch_scc1 .LBB7_69
; %bb.67:                               ;   in Loop: Header=BB7_51 Depth=1
	s_mov_b64 s[12:13], 0
	s_mov_b64 s[14:15], 0
.LBB7_68:                               ;   Parent Loop BB7_51 Depth=1
                                        ; =>  This Inner Loop Header: Depth=2
	s_add_u32 s20, s4, s14
	s_addc_u32 s21, s5, s15
	s_add_u32 s14, s14, 1
	global_load_ubyte v6, v7, s[20:21]
	s_addc_u32 s15, s15, 0
	s_waitcnt vmcnt(0)
	v_and_b32_e32 v6, 0xffff, v6
	v_lshlrev_b64 v[14:15], s12, v[6:7]
	s_add_u32 s12, s12, 8
	s_addc_u32 s13, s13, 0
	s_cmp_lg_u32 s18, s14
	v_or_b32_e32 v12, v14, v12
	v_or_b32_e32 v13, v15, v13
	s_cbranch_scc1 .LBB7_68
.LBB7_69:                               ;   in Loop: Header=BB7_51 Depth=1
	s_mov_b32 s17, 0
	s_cbranch_execz .LBB7_71
	s_branch .LBB7_72
.LBB7_70:                               ;   in Loop: Header=BB7_51 Depth=1
                                        ; implicit-def: $sgpr17
.LBB7_71:                               ;   in Loop: Header=BB7_51 Depth=1
	global_load_dwordx2 v[12:13], v7, s[4:5]
	s_add_i32 s17, s18, -8
	s_add_u32 s4, s4, 8
	s_addc_u32 s5, s5, 0
.LBB7_72:                               ;   in Loop: Header=BB7_51 Depth=1
	s_cmp_gt_u32 s17, 7
	s_cbranch_scc1 .LBB7_77
; %bb.73:                               ;   in Loop: Header=BB7_51 Depth=1
	v_mov_b32_e32 v14, 0
	v_mov_b32_e32 v15, 0
	s_cmp_eq_u32 s17, 0
	s_cbranch_scc1 .LBB7_76
; %bb.74:                               ;   in Loop: Header=BB7_51 Depth=1
	s_mov_b64 s[12:13], 0
	s_mov_b64 s[14:15], 0
.LBB7_75:                               ;   Parent Loop BB7_51 Depth=1
                                        ; =>  This Inner Loop Header: Depth=2
	s_add_u32 s18, s4, s14
	s_addc_u32 s19, s5, s15
	s_add_u32 s14, s14, 1
	global_load_ubyte v6, v7, s[18:19]
	s_addc_u32 s15, s15, 0
	s_waitcnt vmcnt(0)
	v_and_b32_e32 v6, 0xffff, v6
	v_lshlrev_b64 v[16:17], s12, v[6:7]
	s_add_u32 s12, s12, 8
	s_addc_u32 s13, s13, 0
	s_cmp_lg_u32 s17, s14
	v_or_b32_e32 v14, v16, v14
	v_or_b32_e32 v15, v17, v15
	s_cbranch_scc1 .LBB7_75
.LBB7_76:                               ;   in Loop: Header=BB7_51 Depth=1
	s_mov_b32 s18, 0
	s_cbranch_execz .LBB7_78
	s_branch .LBB7_79
.LBB7_77:                               ;   in Loop: Header=BB7_51 Depth=1
                                        ; implicit-def: $vgpr14_vgpr15
                                        ; implicit-def: $sgpr18
.LBB7_78:                               ;   in Loop: Header=BB7_51 Depth=1
	global_load_dwordx2 v[14:15], v7, s[4:5]
	s_add_i32 s18, s17, -8
	s_add_u32 s4, s4, 8
	s_addc_u32 s5, s5, 0
.LBB7_79:                               ;   in Loop: Header=BB7_51 Depth=1
	s_cmp_gt_u32 s18, 7
	s_cbranch_scc1 .LBB7_84
; %bb.80:                               ;   in Loop: Header=BB7_51 Depth=1
	v_mov_b32_e32 v16, 0
	v_mov_b32_e32 v17, 0
	s_cmp_eq_u32 s18, 0
	s_cbranch_scc1 .LBB7_83
; %bb.81:                               ;   in Loop: Header=BB7_51 Depth=1
	s_mov_b64 s[12:13], 0
	s_mov_b64 s[14:15], 0
.LBB7_82:                               ;   Parent Loop BB7_51 Depth=1
                                        ; =>  This Inner Loop Header: Depth=2
	s_add_u32 s20, s4, s14
	s_addc_u32 s21, s5, s15
	s_add_u32 s14, s14, 1
	global_load_ubyte v6, v7, s[20:21]
	s_addc_u32 s15, s15, 0
	s_waitcnt vmcnt(0)
	v_and_b32_e32 v6, 0xffff, v6
	v_lshlrev_b64 v[18:19], s12, v[6:7]
	s_add_u32 s12, s12, 8
	s_addc_u32 s13, s13, 0
	s_cmp_lg_u32 s18, s14
	v_or_b32_e32 v16, v18, v16
	v_or_b32_e32 v17, v19, v17
	s_cbranch_scc1 .LBB7_82
.LBB7_83:                               ;   in Loop: Header=BB7_51 Depth=1
	s_mov_b32 s17, 0
	s_cbranch_execz .LBB7_85
	s_branch .LBB7_86
.LBB7_84:                               ;   in Loop: Header=BB7_51 Depth=1
                                        ; implicit-def: $sgpr17
.LBB7_85:                               ;   in Loop: Header=BB7_51 Depth=1
	global_load_dwordx2 v[16:17], v7, s[4:5]
	s_add_i32 s17, s18, -8
	s_add_u32 s4, s4, 8
	s_addc_u32 s5, s5, 0
.LBB7_86:                               ;   in Loop: Header=BB7_51 Depth=1
	s_cmp_gt_u32 s17, 7
	s_cbranch_scc1 .LBB7_91
; %bb.87:                               ;   in Loop: Header=BB7_51 Depth=1
	v_mov_b32_e32 v18, 0
	v_mov_b32_e32 v19, 0
	s_cmp_eq_u32 s17, 0
	s_cbranch_scc1 .LBB7_90
; %bb.88:                               ;   in Loop: Header=BB7_51 Depth=1
	s_mov_b64 s[12:13], 0
	s_mov_b64 s[14:15], 0
.LBB7_89:                               ;   Parent Loop BB7_51 Depth=1
                                        ; =>  This Inner Loop Header: Depth=2
	s_add_u32 s18, s4, s14
	s_addc_u32 s19, s5, s15
	s_add_u32 s14, s14, 1
	global_load_ubyte v6, v7, s[18:19]
	s_addc_u32 s15, s15, 0
	s_waitcnt vmcnt(0)
	v_and_b32_e32 v6, 0xffff, v6
	v_lshlrev_b64 v[20:21], s12, v[6:7]
	s_add_u32 s12, s12, 8
	s_addc_u32 s13, s13, 0
	s_cmp_lg_u32 s17, s14
	v_or_b32_e32 v18, v20, v18
	v_or_b32_e32 v19, v21, v19
	s_cbranch_scc1 .LBB7_89
.LBB7_90:                               ;   in Loop: Header=BB7_51 Depth=1
	s_mov_b32 s18, 0
	s_cbranch_execz .LBB7_92
	s_branch .LBB7_93
.LBB7_91:                               ;   in Loop: Header=BB7_51 Depth=1
                                        ; implicit-def: $vgpr18_vgpr19
                                        ; implicit-def: $sgpr18
.LBB7_92:                               ;   in Loop: Header=BB7_51 Depth=1
	global_load_dwordx2 v[18:19], v7, s[4:5]
	s_add_i32 s18, s17, -8
	s_add_u32 s4, s4, 8
	s_addc_u32 s5, s5, 0
.LBB7_93:                               ;   in Loop: Header=BB7_51 Depth=1
	s_cmp_gt_u32 s18, 7
	s_cbranch_scc1 .LBB7_98
; %bb.94:                               ;   in Loop: Header=BB7_51 Depth=1
	v_mov_b32_e32 v20, 0
	v_mov_b32_e32 v21, 0
	s_cmp_eq_u32 s18, 0
	s_cbranch_scc1 .LBB7_97
; %bb.95:                               ;   in Loop: Header=BB7_51 Depth=1
	s_mov_b64 s[12:13], 0
	s_mov_b64 s[14:15], s[4:5]
.LBB7_96:                               ;   Parent Loop BB7_51 Depth=1
                                        ; =>  This Inner Loop Header: Depth=2
	global_load_ubyte v6, v7, s[14:15]
	s_add_i32 s18, s18, -1
	s_waitcnt vmcnt(0)
	v_and_b32_e32 v6, 0xffff, v6
	v_lshlrev_b64 v[22:23], s12, v[6:7]
	s_add_u32 s12, s12, 8
	s_addc_u32 s13, s13, 0
	s_add_u32 s14, s14, 1
	s_addc_u32 s15, s15, 0
	s_cmp_lg_u32 s18, 0
	v_or_b32_e32 v20, v22, v20
	v_or_b32_e32 v21, v23, v21
	s_cbranch_scc1 .LBB7_96
.LBB7_97:                               ;   in Loop: Header=BB7_51 Depth=1
	s_cbranch_execz .LBB7_99
	s_branch .LBB7_100
.LBB7_98:                               ;   in Loop: Header=BB7_51 Depth=1
.LBB7_99:                               ;   in Loop: Header=BB7_51 Depth=1
	global_load_dwordx2 v[20:21], v7, s[4:5]
.LBB7_100:                              ;   in Loop: Header=BB7_51 Depth=1
	v_readfirstlane_b32 s4, v38
	v_mov_b32_e32 v26, 0
	v_mov_b32_e32 v27, 0
	v_cmp_eq_u32_e64 s4, s4, v38
	s_and_saveexec_b32 s5, s4
	s_cbranch_execz .LBB7_106
; %bb.101:                              ;   in Loop: Header=BB7_51 Depth=1
	global_load_dwordx2 v[24:25], v7, s[26:27] offset:24 glc dlc
	s_waitcnt vmcnt(0)
	buffer_gl1_inv
	buffer_gl0_inv
	s_clause 0x1
	global_load_dwordx2 v[22:23], v7, s[26:27] offset:40
	global_load_dwordx2 v[26:27], v7, s[26:27]
	s_mov_b32 s12, exec_lo
	s_waitcnt vmcnt(1)
	v_and_b32_e32 v6, v23, v25
	v_and_b32_e32 v22, v22, v24
	v_mul_lo_u32 v6, v6, 24
	v_mul_hi_u32 v23, v22, 24
	v_mul_lo_u32 v22, v22, 24
	v_add_nc_u32_e32 v6, v23, v6
	s_waitcnt vmcnt(0)
	v_add_co_u32 v22, vcc_lo, v26, v22
	v_add_co_ci_u32_e32 v23, vcc_lo, v27, v6, vcc_lo
	global_load_dwordx2 v[22:23], v[22:23], off glc dlc
	s_waitcnt vmcnt(0)
	global_atomic_cmpswap_x2 v[26:27], v7, v[22:25], s[26:27] offset:24 glc
	s_waitcnt vmcnt(0)
	buffer_gl1_inv
	buffer_gl0_inv
	v_cmpx_ne_u64_e64 v[26:27], v[24:25]
	s_cbranch_execz .LBB7_105
; %bb.102:                              ;   in Loop: Header=BB7_51 Depth=1
	s_mov_b32 s13, 0
	.p2align	6
.LBB7_103:                              ;   Parent Loop BB7_51 Depth=1
                                        ; =>  This Inner Loop Header: Depth=2
	s_sleep 1
	s_clause 0x1
	global_load_dwordx2 v[22:23], v7, s[26:27] offset:40
	global_load_dwordx2 v[29:30], v7, s[26:27]
	v_mov_b32_e32 v24, v26
	v_mov_b32_e32 v25, v27
	s_waitcnt vmcnt(1)
	v_and_b32_e32 v6, v22, v24
	v_and_b32_e32 v22, v23, v25
	s_waitcnt vmcnt(0)
	v_mad_u64_u32 v[26:27], null, v6, 24, v[29:30]
	v_mov_b32_e32 v6, v27
	v_mad_u64_u32 v[22:23], null, v22, 24, v[6:7]
	v_mov_b32_e32 v27, v22
	global_load_dwordx2 v[22:23], v[26:27], off glc dlc
	s_waitcnt vmcnt(0)
	global_atomic_cmpswap_x2 v[26:27], v7, v[22:25], s[26:27] offset:24 glc
	s_waitcnt vmcnt(0)
	buffer_gl1_inv
	buffer_gl0_inv
	v_cmp_eq_u64_e32 vcc_lo, v[26:27], v[24:25]
	s_or_b32 s13, vcc_lo, s13
	s_andn2_b32 exec_lo, exec_lo, s13
	s_cbranch_execnz .LBB7_103
; %bb.104:                              ;   in Loop: Header=BB7_51 Depth=1
	s_or_b32 exec_lo, exec_lo, s13
.LBB7_105:                              ;   in Loop: Header=BB7_51 Depth=1
	s_or_b32 exec_lo, exec_lo, s12
.LBB7_106:                              ;   in Loop: Header=BB7_51 Depth=1
	s_or_b32 exec_lo, exec_lo, s5
	s_clause 0x1
	global_load_dwordx2 v[29:30], v7, s[26:27] offset:40
	global_load_dwordx4 v[22:25], v7, s[26:27]
	v_readfirstlane_b32 s12, v26
	v_readfirstlane_b32 s13, v27
	s_mov_b32 s5, exec_lo
	s_waitcnt vmcnt(1)
	v_readfirstlane_b32 s14, v29
	v_readfirstlane_b32 s15, v30
	s_and_b64 s[14:15], s[12:13], s[14:15]
	s_mul_i32 s17, s15, 24
	s_mul_hi_u32 s18, s14, 24
	s_mul_i32 s19, s14, 24
	s_add_i32 s18, s18, s17
	s_waitcnt vmcnt(0)
	v_add_co_u32 v26, vcc_lo, v22, s19
	v_add_co_ci_u32_e32 v27, vcc_lo, s18, v23, vcc_lo
	s_and_saveexec_b32 s17, s4
	s_cbranch_execz .LBB7_108
; %bb.107:                              ;   in Loop: Header=BB7_51 Depth=1
	v_mov_b32_e32 v6, s5
	global_store_dwordx4 v[26:27], v[6:9], off offset:8
.LBB7_108:                              ;   in Loop: Header=BB7_51 Depth=1
	s_or_b32 exec_lo, exec_lo, s17
	s_lshl_b64 s[14:15], s[14:15], 12
	v_cmp_gt_u64_e64 vcc_lo, s[8:9], 56
	v_or_b32_e32 v29, v0, v28
	v_add_co_u32 v24, s5, v24, s14
	v_add_co_ci_u32_e64 v25, s5, s15, v25, s5
	s_lshl_b32 s5, s10, 2
	v_or_b32_e32 v6, 0, v1
	v_cndmask_b32_e32 v0, v29, v0, vcc_lo
	s_add_i32 s5, s5, 28
	v_readfirstlane_b32 s14, v24
	s_and_b32 s5, s5, 0x1e0
	v_cndmask_b32_e32 v1, v6, v1, vcc_lo
	v_readfirstlane_b32 s15, v25
	v_and_or_b32 v0, 0xffffff1f, v0, s5
	global_store_dwordx4 v37, v[0:3], s[14:15]
	global_store_dwordx4 v37, v[10:13], s[14:15] offset:16
	global_store_dwordx4 v37, v[14:17], s[14:15] offset:32
	;; [unrolled: 1-line block ×3, first 2 shown]
	s_and_saveexec_b32 s5, s4
	s_cbranch_execz .LBB7_116
; %bb.109:                              ;   in Loop: Header=BB7_51 Depth=1
	s_clause 0x1
	global_load_dwordx2 v[14:15], v7, s[26:27] offset:32 glc dlc
	global_load_dwordx2 v[0:1], v7, s[26:27] offset:40
	v_mov_b32_e32 v12, s12
	v_mov_b32_e32 v13, s13
	s_waitcnt vmcnt(0)
	v_readfirstlane_b32 s14, v0
	v_readfirstlane_b32 s15, v1
	s_and_b64 s[14:15], s[14:15], s[12:13]
	s_mul_i32 s15, s15, 24
	s_mul_hi_u32 s17, s14, 24
	s_mul_i32 s14, s14, 24
	s_add_i32 s17, s17, s15
	v_add_co_u32 v10, vcc_lo, v22, s14
	v_add_co_ci_u32_e32 v11, vcc_lo, s17, v23, vcc_lo
	s_mov_b32 s14, exec_lo
	global_store_dwordx2 v[10:11], v[14:15], off
	s_waitcnt_vscnt null, 0x0
	global_atomic_cmpswap_x2 v[2:3], v7, v[12:15], s[26:27] offset:32 glc
	s_waitcnt vmcnt(0)
	v_cmpx_ne_u64_e64 v[2:3], v[14:15]
	s_cbranch_execz .LBB7_112
; %bb.110:                              ;   in Loop: Header=BB7_51 Depth=1
	s_mov_b32 s15, 0
.LBB7_111:                              ;   Parent Loop BB7_51 Depth=1
                                        ; =>  This Inner Loop Header: Depth=2
	v_mov_b32_e32 v0, s12
	v_mov_b32_e32 v1, s13
	s_sleep 1
	global_store_dwordx2 v[10:11], v[2:3], off
	s_waitcnt_vscnt null, 0x0
	global_atomic_cmpswap_x2 v[0:1], v7, v[0:3], s[26:27] offset:32 glc
	s_waitcnt vmcnt(0)
	v_cmp_eq_u64_e32 vcc_lo, v[0:1], v[2:3]
	v_mov_b32_e32 v3, v1
	v_mov_b32_e32 v2, v0
	s_or_b32 s15, vcc_lo, s15
	s_andn2_b32 exec_lo, exec_lo, s15
	s_cbranch_execnz .LBB7_111
.LBB7_112:                              ;   in Loop: Header=BB7_51 Depth=1
	s_or_b32 exec_lo, exec_lo, s14
	global_load_dwordx2 v[0:1], v7, s[26:27] offset:16
	s_mov_b32 s15, exec_lo
	s_mov_b32 s14, exec_lo
	v_mbcnt_lo_u32_b32 v2, s15, 0
	v_cmpx_eq_u32_e32 0, v2
	s_cbranch_execz .LBB7_114
; %bb.113:                              ;   in Loop: Header=BB7_51 Depth=1
	s_bcnt1_i32_b32 s15, s15
	v_mov_b32_e32 v6, s15
	s_waitcnt vmcnt(0)
	global_atomic_add_x2 v[0:1], v[6:7], off offset:8
.LBB7_114:                              ;   in Loop: Header=BB7_51 Depth=1
	s_or_b32 exec_lo, exec_lo, s14
	s_waitcnt vmcnt(0)
	global_load_dwordx2 v[2:3], v[0:1], off offset:16
	s_waitcnt vmcnt(0)
	v_cmp_eq_u64_e32 vcc_lo, 0, v[2:3]
	s_cbranch_vccnz .LBB7_116
; %bb.115:                              ;   in Loop: Header=BB7_51 Depth=1
	global_load_dword v6, v[0:1], off offset:24
	s_waitcnt vmcnt(0)
	v_and_b32_e32 v0, 0x7fffff, v6
	s_waitcnt_vscnt null, 0x0
	global_store_dwordx2 v[2:3], v[6:7], off
	v_readfirstlane_b32 m0, v0
	s_sendmsg sendmsg(MSG_INTERRUPT)
.LBB7_116:                              ;   in Loop: Header=BB7_51 Depth=1
	s_or_b32 exec_lo, exec_lo, s5
	v_add_co_u32 v0, vcc_lo, v24, v37
	v_add_co_ci_u32_e32 v1, vcc_lo, 0, v25, vcc_lo
	s_branch .LBB7_120
	.p2align	6
.LBB7_117:                              ;   in Loop: Header=BB7_120 Depth=2
	s_or_b32 exec_lo, exec_lo, s5
	v_readfirstlane_b32 s5, v2
	s_cmp_eq_u32 s5, 0
	s_cbranch_scc1 .LBB7_119
; %bb.118:                              ;   in Loop: Header=BB7_120 Depth=2
	s_sleep 1
	s_cbranch_execnz .LBB7_120
	s_branch .LBB7_122
	.p2align	6
.LBB7_119:                              ;   in Loop: Header=BB7_51 Depth=1
	s_branch .LBB7_122
.LBB7_120:                              ;   Parent Loop BB7_51 Depth=1
                                        ; =>  This Inner Loop Header: Depth=2
	v_mov_b32_e32 v2, 1
	s_and_saveexec_b32 s5, s4
	s_cbranch_execz .LBB7_117
; %bb.121:                              ;   in Loop: Header=BB7_120 Depth=2
	global_load_dword v2, v[26:27], off offset:20 glc dlc
	s_waitcnt vmcnt(0)
	buffer_gl1_inv
	buffer_gl0_inv
	v_and_b32_e32 v2, 1, v2
	s_branch .LBB7_117
.LBB7_122:                              ;   in Loop: Header=BB7_51 Depth=1
	global_load_dwordx4 v[0:3], v[0:1], off
	s_and_saveexec_b32 s5, s4
	s_cbranch_execz .LBB7_50
; %bb.123:                              ;   in Loop: Header=BB7_51 Depth=1
	s_clause 0x2
	global_load_dwordx2 v[2:3], v7, s[26:27] offset:40
	global_load_dwordx2 v[14:15], v7, s[26:27] offset:24 glc dlc
	global_load_dwordx2 v[12:13], v7, s[26:27]
	s_waitcnt vmcnt(2)
	v_add_co_u32 v6, vcc_lo, v2, 1
	v_add_co_ci_u32_e32 v16, vcc_lo, 0, v3, vcc_lo
	v_add_co_u32 v10, vcc_lo, v6, s12
	v_add_co_ci_u32_e32 v11, vcc_lo, s13, v16, vcc_lo
	v_cmp_eq_u64_e32 vcc_lo, 0, v[10:11]
	v_cndmask_b32_e32 v11, v11, v16, vcc_lo
	v_cndmask_b32_e32 v10, v10, v6, vcc_lo
	v_and_b32_e32 v3, v11, v3
	v_and_b32_e32 v2, v10, v2
	v_mul_lo_u32 v3, v3, 24
	v_mul_hi_u32 v6, v2, 24
	v_mul_lo_u32 v2, v2, 24
	v_add_nc_u32_e32 v3, v6, v3
	s_waitcnt vmcnt(0)
	v_add_co_u32 v2, vcc_lo, v12, v2
	v_mov_b32_e32 v12, v14
	v_add_co_ci_u32_e32 v3, vcc_lo, v13, v3, vcc_lo
	v_mov_b32_e32 v13, v15
	global_store_dwordx2 v[2:3], v[14:15], off
	s_waitcnt_vscnt null, 0x0
	global_atomic_cmpswap_x2 v[12:13], v7, v[10:13], s[26:27] offset:24 glc
	s_waitcnt vmcnt(0)
	v_cmp_ne_u64_e32 vcc_lo, v[12:13], v[14:15]
	s_and_b32 exec_lo, exec_lo, vcc_lo
	s_cbranch_execz .LBB7_50
; %bb.124:                              ;   in Loop: Header=BB7_51 Depth=1
	s_mov_b32 s4, 0
.LBB7_125:                              ;   Parent Loop BB7_51 Depth=1
                                        ; =>  This Inner Loop Header: Depth=2
	s_sleep 1
	global_store_dwordx2 v[2:3], v[12:13], off
	s_waitcnt_vscnt null, 0x0
	global_atomic_cmpswap_x2 v[14:15], v7, v[10:13], s[26:27] offset:24 glc
	s_waitcnt vmcnt(0)
	v_cmp_eq_u64_e32 vcc_lo, v[14:15], v[12:13]
	v_mov_b32_e32 v12, v14
	v_mov_b32_e32 v13, v15
	s_or_b32 s4, vcc_lo, s4
	s_andn2_b32 exec_lo, exec_lo, s4
	s_cbranch_execnz .LBB7_125
	s_branch .LBB7_50
.LBB7_126:
	s_mov_b32 s4, 0
	s_branch .LBB7_128
.LBB7_127:
	s_mov_b32 s4, -1
                                        ; implicit-def: $vgpr0_vgpr1
.LBB7_128:
	s_and_b32 vcc_lo, exec_lo, s4
	s_cbranch_vccz .LBB7_156
; %bb.129:
	v_readfirstlane_b32 s4, v38
	v_mov_b32_e32 v7, 0
	v_mov_b32_e32 v8, 0
	v_cmp_eq_u32_e64 s4, s4, v38
	s_and_saveexec_b32 s5, s4
	s_cbranch_execz .LBB7_135
; %bb.130:
	s_waitcnt vmcnt(0)
	v_mov_b32_e32 v0, 0
	s_mov_b32 s6, exec_lo
	global_load_dwordx2 v[9:10], v0, s[26:27] offset:24 glc dlc
	s_waitcnt vmcnt(0)
	buffer_gl1_inv
	buffer_gl0_inv
	s_clause 0x1
	global_load_dwordx2 v[1:2], v0, s[26:27] offset:40
	global_load_dwordx2 v[6:7], v0, s[26:27]
	s_waitcnt vmcnt(1)
	v_and_b32_e32 v2, v2, v10
	v_and_b32_e32 v1, v1, v9
	v_mul_lo_u32 v2, v2, 24
	v_mul_hi_u32 v3, v1, 24
	v_mul_lo_u32 v1, v1, 24
	v_add_nc_u32_e32 v2, v3, v2
	s_waitcnt vmcnt(0)
	v_add_co_u32 v1, vcc_lo, v6, v1
	v_add_co_ci_u32_e32 v2, vcc_lo, v7, v2, vcc_lo
	global_load_dwordx2 v[7:8], v[1:2], off glc dlc
	s_waitcnt vmcnt(0)
	global_atomic_cmpswap_x2 v[7:8], v0, v[7:10], s[26:27] offset:24 glc
	s_waitcnt vmcnt(0)
	buffer_gl1_inv
	buffer_gl0_inv
	v_cmpx_ne_u64_e64 v[7:8], v[9:10]
	s_cbranch_execz .LBB7_134
; %bb.131:
	s_mov_b32 s7, 0
.LBB7_132:                              ; =>This Inner Loop Header: Depth=1
	s_sleep 1
	s_clause 0x1
	global_load_dwordx2 v[1:2], v0, s[26:27] offset:40
	global_load_dwordx2 v[11:12], v0, s[26:27]
	v_mov_b32_e32 v10, v8
	v_mov_b32_e32 v9, v7
	s_waitcnt vmcnt(1)
	v_and_b32_e32 v1, v1, v9
	v_and_b32_e32 v2, v2, v10
	s_waitcnt vmcnt(0)
	v_mad_u64_u32 v[6:7], null, v1, 24, v[11:12]
	v_mov_b32_e32 v1, v7
	v_mad_u64_u32 v[1:2], null, v2, 24, v[1:2]
	v_mov_b32_e32 v7, v1
	global_load_dwordx2 v[7:8], v[6:7], off glc dlc
	s_waitcnt vmcnt(0)
	global_atomic_cmpswap_x2 v[7:8], v0, v[7:10], s[26:27] offset:24 glc
	s_waitcnt vmcnt(0)
	buffer_gl1_inv
	buffer_gl0_inv
	v_cmp_eq_u64_e32 vcc_lo, v[7:8], v[9:10]
	s_or_b32 s7, vcc_lo, s7
	s_andn2_b32 exec_lo, exec_lo, s7
	s_cbranch_execnz .LBB7_132
; %bb.133:
	s_or_b32 exec_lo, exec_lo, s7
.LBB7_134:
	s_or_b32 exec_lo, exec_lo, s6
.LBB7_135:
	s_or_b32 exec_lo, exec_lo, s5
	v_mov_b32_e32 v6, 0
	v_readfirstlane_b32 s6, v7
	v_readfirstlane_b32 s7, v8
	s_mov_b32 s5, exec_lo
	s_clause 0x1
	global_load_dwordx2 v[9:10], v6, s[26:27] offset:40
	global_load_dwordx4 v[0:3], v6, s[26:27]
	s_waitcnt vmcnt(1)
	v_readfirstlane_b32 s8, v9
	v_readfirstlane_b32 s9, v10
	s_and_b64 s[8:9], s[6:7], s[8:9]
	s_mul_i32 s10, s9, 24
	s_mul_hi_u32 s11, s8, 24
	s_mul_i32 s12, s8, 24
	s_add_i32 s11, s11, s10
	s_waitcnt vmcnt(0)
	v_add_co_u32 v8, vcc_lo, v0, s12
	v_add_co_ci_u32_e32 v9, vcc_lo, s11, v1, vcc_lo
	s_and_saveexec_b32 s10, s4
	s_cbranch_execz .LBB7_137
; %bb.136:
	v_mov_b32_e32 v10, s5
	v_mov_b32_e32 v11, v6
	;; [unrolled: 1-line block ×4, first 2 shown]
	global_store_dwordx4 v[8:9], v[10:13], off offset:8
.LBB7_137:
	s_or_b32 exec_lo, exec_lo, s10
	s_lshl_b64 s[8:9], s[8:9], 12
	v_and_or_b32 v4, 0xffffff1f, v4, 32
	v_add_co_u32 v2, vcc_lo, v2, s8
	v_add_co_ci_u32_e32 v3, vcc_lo, s9, v3, vcc_lo
	s_mov_b32 s8, 0
	v_add_co_u32 v10, vcc_lo, v2, v37
	s_mov_b32 s11, s8
	s_mov_b32 s9, s8
	;; [unrolled: 1-line block ×3, first 2 shown]
	v_mov_b32_e32 v7, v6
	v_readfirstlane_b32 s12, v2
	v_readfirstlane_b32 s13, v3
	v_mov_b32_e32 v15, s11
	v_add_co_ci_u32_e32 v11, vcc_lo, 0, v3, vcc_lo
	v_mov_b32_e32 v14, s10
	v_mov_b32_e32 v13, s9
	;; [unrolled: 1-line block ×3, first 2 shown]
	global_store_dwordx4 v37, v[4:7], s[12:13]
	global_store_dwordx4 v37, v[12:15], s[12:13] offset:16
	global_store_dwordx4 v37, v[12:15], s[12:13] offset:32
	;; [unrolled: 1-line block ×3, first 2 shown]
	s_and_saveexec_b32 s5, s4
	s_cbranch_execz .LBB7_145
; %bb.138:
	v_mov_b32_e32 v6, 0
	v_mov_b32_e32 v12, s6
	;; [unrolled: 1-line block ×3, first 2 shown]
	s_clause 0x1
	global_load_dwordx2 v[14:15], v6, s[26:27] offset:32 glc dlc
	global_load_dwordx2 v[2:3], v6, s[26:27] offset:40
	s_waitcnt vmcnt(0)
	v_readfirstlane_b32 s8, v2
	v_readfirstlane_b32 s9, v3
	s_and_b64 s[8:9], s[8:9], s[6:7]
	s_mul_i32 s9, s9, 24
	s_mul_hi_u32 s10, s8, 24
	s_mul_i32 s8, s8, 24
	s_add_i32 s10, s10, s9
	v_add_co_u32 v4, vcc_lo, v0, s8
	v_add_co_ci_u32_e32 v5, vcc_lo, s10, v1, vcc_lo
	s_mov_b32 s8, exec_lo
	global_store_dwordx2 v[4:5], v[14:15], off
	s_waitcnt_vscnt null, 0x0
	global_atomic_cmpswap_x2 v[2:3], v6, v[12:15], s[26:27] offset:32 glc
	s_waitcnt vmcnt(0)
	v_cmpx_ne_u64_e64 v[2:3], v[14:15]
	s_cbranch_execz .LBB7_141
; %bb.139:
	s_mov_b32 s9, 0
.LBB7_140:                              ; =>This Inner Loop Header: Depth=1
	v_mov_b32_e32 v0, s6
	v_mov_b32_e32 v1, s7
	s_sleep 1
	global_store_dwordx2 v[4:5], v[2:3], off
	s_waitcnt_vscnt null, 0x0
	global_atomic_cmpswap_x2 v[0:1], v6, v[0:3], s[26:27] offset:32 glc
	s_waitcnt vmcnt(0)
	v_cmp_eq_u64_e32 vcc_lo, v[0:1], v[2:3]
	v_mov_b32_e32 v3, v1
	v_mov_b32_e32 v2, v0
	s_or_b32 s9, vcc_lo, s9
	s_andn2_b32 exec_lo, exec_lo, s9
	s_cbranch_execnz .LBB7_140
.LBB7_141:
	s_or_b32 exec_lo, exec_lo, s8
	v_mov_b32_e32 v3, 0
	s_mov_b32 s9, exec_lo
	s_mov_b32 s8, exec_lo
	v_mbcnt_lo_u32_b32 v2, s9, 0
	global_load_dwordx2 v[0:1], v3, s[26:27] offset:16
	v_cmpx_eq_u32_e32 0, v2
	s_cbranch_execz .LBB7_143
; %bb.142:
	s_bcnt1_i32_b32 s9, s9
	v_mov_b32_e32 v2, s9
	s_waitcnt vmcnt(0)
	global_atomic_add_x2 v[0:1], v[2:3], off offset:8
.LBB7_143:
	s_or_b32 exec_lo, exec_lo, s8
	s_waitcnt vmcnt(0)
	global_load_dwordx2 v[2:3], v[0:1], off offset:16
	s_waitcnt vmcnt(0)
	v_cmp_eq_u64_e32 vcc_lo, 0, v[2:3]
	s_cbranch_vccnz .LBB7_145
; %bb.144:
	global_load_dword v0, v[0:1], off offset:24
	v_mov_b32_e32 v1, 0
	s_waitcnt vmcnt(0)
	v_and_b32_e32 v4, 0x7fffff, v0
	s_waitcnt_vscnt null, 0x0
	global_store_dwordx2 v[2:3], v[0:1], off
	v_readfirstlane_b32 m0, v4
	s_sendmsg sendmsg(MSG_INTERRUPT)
.LBB7_145:
	s_or_b32 exec_lo, exec_lo, s5
	s_branch .LBB7_149
	.p2align	6
.LBB7_146:                              ;   in Loop: Header=BB7_149 Depth=1
	s_or_b32 exec_lo, exec_lo, s5
	v_readfirstlane_b32 s5, v0
	s_cmp_eq_u32 s5, 0
	s_cbranch_scc1 .LBB7_148
; %bb.147:                              ;   in Loop: Header=BB7_149 Depth=1
	s_sleep 1
	s_cbranch_execnz .LBB7_149
	s_branch .LBB7_151
.LBB7_148:
	s_branch .LBB7_151
.LBB7_149:                              ; =>This Inner Loop Header: Depth=1
	v_mov_b32_e32 v0, 1
	s_and_saveexec_b32 s5, s4
	s_cbranch_execz .LBB7_146
; %bb.150:                              ;   in Loop: Header=BB7_149 Depth=1
	global_load_dword v0, v[8:9], off offset:20 glc dlc
	s_waitcnt vmcnt(0)
	buffer_gl1_inv
	buffer_gl0_inv
	v_and_b32_e32 v0, 1, v0
	s_branch .LBB7_146
.LBB7_151:
	global_load_dwordx2 v[0:1], v[10:11], off
	s_and_saveexec_b32 s5, s4
	s_cbranch_execz .LBB7_155
; %bb.152:
	v_mov_b32_e32 v8, 0
	s_clause 0x2
	global_load_dwordx2 v[4:5], v8, s[26:27] offset:40
	global_load_dwordx2 v[9:10], v8, s[26:27] offset:24 glc dlc
	global_load_dwordx2 v[6:7], v8, s[26:27]
	s_waitcnt vmcnt(2)
	v_add_co_u32 v11, vcc_lo, v4, 1
	v_add_co_ci_u32_e32 v12, vcc_lo, 0, v5, vcc_lo
	v_add_co_u32 v2, vcc_lo, v11, s6
	v_add_co_ci_u32_e32 v3, vcc_lo, s7, v12, vcc_lo
	v_cmp_eq_u64_e32 vcc_lo, 0, v[2:3]
	v_cndmask_b32_e32 v3, v3, v12, vcc_lo
	v_cndmask_b32_e32 v2, v2, v11, vcc_lo
	v_and_b32_e32 v5, v3, v5
	v_and_b32_e32 v4, v2, v4
	v_mul_lo_u32 v5, v5, 24
	v_mul_hi_u32 v11, v4, 24
	v_mul_lo_u32 v4, v4, 24
	v_add_nc_u32_e32 v5, v11, v5
	s_waitcnt vmcnt(0)
	v_add_co_u32 v6, vcc_lo, v6, v4
	v_mov_b32_e32 v4, v9
	v_add_co_ci_u32_e32 v7, vcc_lo, v7, v5, vcc_lo
	v_mov_b32_e32 v5, v10
	global_store_dwordx2 v[6:7], v[9:10], off
	s_waitcnt_vscnt null, 0x0
	global_atomic_cmpswap_x2 v[4:5], v8, v[2:5], s[26:27] offset:24 glc
	s_waitcnt vmcnt(0)
	v_cmp_ne_u64_e32 vcc_lo, v[4:5], v[9:10]
	s_and_b32 exec_lo, exec_lo, vcc_lo
	s_cbranch_execz .LBB7_155
; %bb.153:
	s_mov_b32 s4, 0
.LBB7_154:                              ; =>This Inner Loop Header: Depth=1
	s_sleep 1
	global_store_dwordx2 v[6:7], v[4:5], off
	s_waitcnt_vscnt null, 0x0
	global_atomic_cmpswap_x2 v[9:10], v8, v[2:5], s[26:27] offset:24 glc
	s_waitcnt vmcnt(0)
	v_cmp_eq_u64_e32 vcc_lo, v[9:10], v[4:5]
	v_mov_b32_e32 v4, v9
	v_mov_b32_e32 v5, v10
	s_or_b32 s4, vcc_lo, s4
	s_andn2_b32 exec_lo, exec_lo, s4
	s_cbranch_execnz .LBB7_154
.LBB7_155:
	s_or_b32 exec_lo, exec_lo, s5
.LBB7_156:
	s_getpc_b64 s[6:7]
	s_add_u32 s6, s6, __PRETTY_FUNCTION__._ZL25upper_bound_first_elementRN8migraphx4test12test_managerE@rel32@lo+4
	s_addc_u32 s7, s7, __PRETTY_FUNCTION__._ZL25upper_bound_first_elementRN8migraphx4test12test_managerE@rel32@hi+12
	s_cmp_lg_u64 s[6:7], 0
	s_cbranch_scc0 .LBB7_235
; %bb.157:
	s_waitcnt vmcnt(0)
	v_and_b32_e32 v6, -3, v0
	v_mov_b32_e32 v7, v1
	v_mov_b32_e32 v3, 0
	;; [unrolled: 1-line block ×4, first 2 shown]
	s_mov_b64 s[8:9], 63
	s_branch .LBB7_159
.LBB7_158:                              ;   in Loop: Header=BB7_159 Depth=1
	s_or_b32 exec_lo, exec_lo, s5
	s_sub_u32 s8, s8, s10
	s_subb_u32 s9, s9, s11
	s_add_u32 s6, s6, s10
	s_addc_u32 s7, s7, s11
	s_cmp_lg_u64 s[8:9], 0
	s_cbranch_scc0 .LBB7_234
.LBB7_159:                              ; =>This Loop Header: Depth=1
                                        ;     Child Loop BB7_168 Depth 2
                                        ;     Child Loop BB7_164 Depth 2
                                        ;     Child Loop BB7_176 Depth 2
                                        ;     Child Loop BB7_183 Depth 2
                                        ;     Child Loop BB7_190 Depth 2
                                        ;     Child Loop BB7_197 Depth 2
                                        ;     Child Loop BB7_204 Depth 2
                                        ;     Child Loop BB7_211 Depth 2
                                        ;     Child Loop BB7_219 Depth 2
                                        ;     Child Loop BB7_228 Depth 2
                                        ;     Child Loop BB7_233 Depth 2
	v_cmp_lt_u64_e64 s4, s[8:9], 56
	v_cmp_gt_u64_e64 s5, s[8:9], 7
                                        ; implicit-def: $sgpr17
	s_and_b32 s4, s4, exec_lo
	s_cselect_b32 s11, s9, 0
	s_cselect_b32 s10, s8, 56
	s_and_b32 vcc_lo, exec_lo, s5
	s_mov_b32 s4, -1
	s_cbranch_vccz .LBB7_166
; %bb.160:                              ;   in Loop: Header=BB7_159 Depth=1
	s_andn2_b32 vcc_lo, exec_lo, s4
	s_mov_b64 s[4:5], s[6:7]
	s_cbranch_vccz .LBB7_170
.LBB7_161:                              ;   in Loop: Header=BB7_159 Depth=1
	s_cmp_gt_u32 s17, 7
	s_cbranch_scc1 .LBB7_171
.LBB7_162:                              ;   in Loop: Header=BB7_159 Depth=1
	v_mov_b32_e32 v10, 0
	v_mov_b32_e32 v11, 0
	s_cmp_eq_u32 s17, 0
	s_cbranch_scc1 .LBB7_165
; %bb.163:                              ;   in Loop: Header=BB7_159 Depth=1
	s_mov_b64 s[12:13], 0
	s_mov_b64 s[14:15], 0
.LBB7_164:                              ;   Parent Loop BB7_159 Depth=1
                                        ; =>  This Inner Loop Header: Depth=2
	s_add_u32 s18, s4, s14
	s_addc_u32 s19, s5, s15
	s_add_u32 s14, s14, 1
	global_load_ubyte v2, v3, s[18:19]
	s_addc_u32 s15, s15, 0
	s_waitcnt vmcnt(0)
	v_and_b32_e32 v2, 0xffff, v2
	v_lshlrev_b64 v[12:13], s12, v[2:3]
	s_add_u32 s12, s12, 8
	s_addc_u32 s13, s13, 0
	s_cmp_lg_u32 s17, s14
	v_or_b32_e32 v10, v12, v10
	v_or_b32_e32 v11, v13, v11
	s_cbranch_scc1 .LBB7_164
.LBB7_165:                              ;   in Loop: Header=BB7_159 Depth=1
	s_mov_b32 s18, 0
	s_cbranch_execz .LBB7_172
	s_branch .LBB7_173
.LBB7_166:                              ;   in Loop: Header=BB7_159 Depth=1
	s_waitcnt vmcnt(0)
	v_mov_b32_e32 v8, 0
	v_mov_b32_e32 v9, 0
	s_cmp_eq_u64 s[8:9], 0
	s_mov_b64 s[4:5], 0
	s_cbranch_scc1 .LBB7_169
; %bb.167:                              ;   in Loop: Header=BB7_159 Depth=1
	v_mov_b32_e32 v8, 0
	v_mov_b32_e32 v9, 0
	s_lshl_b64 s[12:13], s[10:11], 3
	s_mov_b64 s[14:15], s[6:7]
.LBB7_168:                              ;   Parent Loop BB7_159 Depth=1
                                        ; =>  This Inner Loop Header: Depth=2
	global_load_ubyte v2, v3, s[14:15]
	s_waitcnt vmcnt(0)
	v_and_b32_e32 v2, 0xffff, v2
	v_lshlrev_b64 v[10:11], s4, v[2:3]
	s_add_u32 s4, s4, 8
	s_addc_u32 s5, s5, 0
	s_add_u32 s14, s14, 1
	s_addc_u32 s15, s15, 0
	s_cmp_lg_u32 s12, s4
	v_or_b32_e32 v8, v10, v8
	v_or_b32_e32 v9, v11, v9
	s_cbranch_scc1 .LBB7_168
.LBB7_169:                              ;   in Loop: Header=BB7_159 Depth=1
	s_mov_b32 s17, 0
	s_mov_b64 s[4:5], s[6:7]
	s_cbranch_execnz .LBB7_161
.LBB7_170:                              ;   in Loop: Header=BB7_159 Depth=1
	global_load_dwordx2 v[8:9], v3, s[6:7]
	s_add_i32 s17, s10, -8
	s_add_u32 s4, s6, 8
	s_addc_u32 s5, s7, 0
	s_cmp_gt_u32 s17, 7
	s_cbranch_scc0 .LBB7_162
.LBB7_171:                              ;   in Loop: Header=BB7_159 Depth=1
                                        ; implicit-def: $vgpr10_vgpr11
                                        ; implicit-def: $sgpr18
.LBB7_172:                              ;   in Loop: Header=BB7_159 Depth=1
	global_load_dwordx2 v[10:11], v3, s[4:5]
	s_add_i32 s18, s17, -8
	s_add_u32 s4, s4, 8
	s_addc_u32 s5, s5, 0
.LBB7_173:                              ;   in Loop: Header=BB7_159 Depth=1
	s_cmp_gt_u32 s18, 7
	s_cbranch_scc1 .LBB7_178
; %bb.174:                              ;   in Loop: Header=BB7_159 Depth=1
	v_mov_b32_e32 v12, 0
	v_mov_b32_e32 v13, 0
	s_cmp_eq_u32 s18, 0
	s_cbranch_scc1 .LBB7_177
; %bb.175:                              ;   in Loop: Header=BB7_159 Depth=1
	s_mov_b64 s[12:13], 0
	s_mov_b64 s[14:15], 0
.LBB7_176:                              ;   Parent Loop BB7_159 Depth=1
                                        ; =>  This Inner Loop Header: Depth=2
	s_add_u32 s20, s4, s14
	s_addc_u32 s21, s5, s15
	s_add_u32 s14, s14, 1
	global_load_ubyte v2, v3, s[20:21]
	s_addc_u32 s15, s15, 0
	s_waitcnt vmcnt(0)
	v_and_b32_e32 v2, 0xffff, v2
	v_lshlrev_b64 v[14:15], s12, v[2:3]
	s_add_u32 s12, s12, 8
	s_addc_u32 s13, s13, 0
	s_cmp_lg_u32 s18, s14
	v_or_b32_e32 v12, v14, v12
	v_or_b32_e32 v13, v15, v13
	s_cbranch_scc1 .LBB7_176
.LBB7_177:                              ;   in Loop: Header=BB7_159 Depth=1
	s_mov_b32 s17, 0
	s_cbranch_execz .LBB7_179
	s_branch .LBB7_180
.LBB7_178:                              ;   in Loop: Header=BB7_159 Depth=1
                                        ; implicit-def: $sgpr17
.LBB7_179:                              ;   in Loop: Header=BB7_159 Depth=1
	global_load_dwordx2 v[12:13], v3, s[4:5]
	s_add_i32 s17, s18, -8
	s_add_u32 s4, s4, 8
	s_addc_u32 s5, s5, 0
.LBB7_180:                              ;   in Loop: Header=BB7_159 Depth=1
	s_cmp_gt_u32 s17, 7
	s_cbranch_scc1 .LBB7_185
; %bb.181:                              ;   in Loop: Header=BB7_159 Depth=1
	v_mov_b32_e32 v14, 0
	v_mov_b32_e32 v15, 0
	s_cmp_eq_u32 s17, 0
	s_cbranch_scc1 .LBB7_184
; %bb.182:                              ;   in Loop: Header=BB7_159 Depth=1
	s_mov_b64 s[12:13], 0
	s_mov_b64 s[14:15], 0
.LBB7_183:                              ;   Parent Loop BB7_159 Depth=1
                                        ; =>  This Inner Loop Header: Depth=2
	s_add_u32 s18, s4, s14
	s_addc_u32 s19, s5, s15
	s_add_u32 s14, s14, 1
	global_load_ubyte v2, v3, s[18:19]
	s_addc_u32 s15, s15, 0
	s_waitcnt vmcnt(0)
	v_and_b32_e32 v2, 0xffff, v2
	v_lshlrev_b64 v[16:17], s12, v[2:3]
	s_add_u32 s12, s12, 8
	s_addc_u32 s13, s13, 0
	s_cmp_lg_u32 s17, s14
	v_or_b32_e32 v14, v16, v14
	v_or_b32_e32 v15, v17, v15
	s_cbranch_scc1 .LBB7_183
.LBB7_184:                              ;   in Loop: Header=BB7_159 Depth=1
	s_mov_b32 s18, 0
	s_cbranch_execz .LBB7_186
	s_branch .LBB7_187
.LBB7_185:                              ;   in Loop: Header=BB7_159 Depth=1
                                        ; implicit-def: $vgpr14_vgpr15
                                        ; implicit-def: $sgpr18
.LBB7_186:                              ;   in Loop: Header=BB7_159 Depth=1
	global_load_dwordx2 v[14:15], v3, s[4:5]
	s_add_i32 s18, s17, -8
	s_add_u32 s4, s4, 8
	s_addc_u32 s5, s5, 0
.LBB7_187:                              ;   in Loop: Header=BB7_159 Depth=1
	s_cmp_gt_u32 s18, 7
	s_cbranch_scc1 .LBB7_192
; %bb.188:                              ;   in Loop: Header=BB7_159 Depth=1
	v_mov_b32_e32 v16, 0
	v_mov_b32_e32 v17, 0
	s_cmp_eq_u32 s18, 0
	s_cbranch_scc1 .LBB7_191
; %bb.189:                              ;   in Loop: Header=BB7_159 Depth=1
	s_mov_b64 s[12:13], 0
	s_mov_b64 s[14:15], 0
.LBB7_190:                              ;   Parent Loop BB7_159 Depth=1
                                        ; =>  This Inner Loop Header: Depth=2
	s_add_u32 s20, s4, s14
	s_addc_u32 s21, s5, s15
	s_add_u32 s14, s14, 1
	global_load_ubyte v2, v3, s[20:21]
	s_addc_u32 s15, s15, 0
	s_waitcnt vmcnt(0)
	v_and_b32_e32 v2, 0xffff, v2
	v_lshlrev_b64 v[18:19], s12, v[2:3]
	s_add_u32 s12, s12, 8
	s_addc_u32 s13, s13, 0
	s_cmp_lg_u32 s18, s14
	v_or_b32_e32 v16, v18, v16
	v_or_b32_e32 v17, v19, v17
	s_cbranch_scc1 .LBB7_190
.LBB7_191:                              ;   in Loop: Header=BB7_159 Depth=1
	s_mov_b32 s17, 0
	s_cbranch_execz .LBB7_193
	s_branch .LBB7_194
.LBB7_192:                              ;   in Loop: Header=BB7_159 Depth=1
                                        ; implicit-def: $sgpr17
.LBB7_193:                              ;   in Loop: Header=BB7_159 Depth=1
	global_load_dwordx2 v[16:17], v3, s[4:5]
	s_add_i32 s17, s18, -8
	s_add_u32 s4, s4, 8
	s_addc_u32 s5, s5, 0
.LBB7_194:                              ;   in Loop: Header=BB7_159 Depth=1
	s_cmp_gt_u32 s17, 7
	s_cbranch_scc1 .LBB7_199
; %bb.195:                              ;   in Loop: Header=BB7_159 Depth=1
	v_mov_b32_e32 v18, 0
	v_mov_b32_e32 v19, 0
	s_cmp_eq_u32 s17, 0
	s_cbranch_scc1 .LBB7_198
; %bb.196:                              ;   in Loop: Header=BB7_159 Depth=1
	s_mov_b64 s[12:13], 0
	s_mov_b64 s[14:15], 0
.LBB7_197:                              ;   Parent Loop BB7_159 Depth=1
                                        ; =>  This Inner Loop Header: Depth=2
	s_add_u32 s18, s4, s14
	s_addc_u32 s19, s5, s15
	s_add_u32 s14, s14, 1
	global_load_ubyte v2, v3, s[18:19]
	s_addc_u32 s15, s15, 0
	s_waitcnt vmcnt(0)
	v_and_b32_e32 v2, 0xffff, v2
	v_lshlrev_b64 v[20:21], s12, v[2:3]
	s_add_u32 s12, s12, 8
	s_addc_u32 s13, s13, 0
	s_cmp_lg_u32 s17, s14
	v_or_b32_e32 v18, v20, v18
	v_or_b32_e32 v19, v21, v19
	s_cbranch_scc1 .LBB7_197
.LBB7_198:                              ;   in Loop: Header=BB7_159 Depth=1
	s_mov_b32 s18, 0
	s_cbranch_execz .LBB7_200
	s_branch .LBB7_201
.LBB7_199:                              ;   in Loop: Header=BB7_159 Depth=1
                                        ; implicit-def: $vgpr18_vgpr19
                                        ; implicit-def: $sgpr18
.LBB7_200:                              ;   in Loop: Header=BB7_159 Depth=1
	global_load_dwordx2 v[18:19], v3, s[4:5]
	s_add_i32 s18, s17, -8
	s_add_u32 s4, s4, 8
	s_addc_u32 s5, s5, 0
.LBB7_201:                              ;   in Loop: Header=BB7_159 Depth=1
	s_cmp_gt_u32 s18, 7
	s_cbranch_scc1 .LBB7_206
; %bb.202:                              ;   in Loop: Header=BB7_159 Depth=1
	v_mov_b32_e32 v20, 0
	v_mov_b32_e32 v21, 0
	s_cmp_eq_u32 s18, 0
	s_cbranch_scc1 .LBB7_205
; %bb.203:                              ;   in Loop: Header=BB7_159 Depth=1
	s_mov_b64 s[12:13], 0
	s_mov_b64 s[14:15], s[4:5]
.LBB7_204:                              ;   Parent Loop BB7_159 Depth=1
                                        ; =>  This Inner Loop Header: Depth=2
	global_load_ubyte v2, v3, s[14:15]
	s_add_i32 s18, s18, -1
	s_waitcnt vmcnt(0)
	v_and_b32_e32 v2, 0xffff, v2
	v_lshlrev_b64 v[22:23], s12, v[2:3]
	s_add_u32 s12, s12, 8
	s_addc_u32 s13, s13, 0
	s_add_u32 s14, s14, 1
	s_addc_u32 s15, s15, 0
	s_cmp_lg_u32 s18, 0
	v_or_b32_e32 v20, v22, v20
	v_or_b32_e32 v21, v23, v21
	s_cbranch_scc1 .LBB7_204
.LBB7_205:                              ;   in Loop: Header=BB7_159 Depth=1
	s_cbranch_execz .LBB7_207
	s_branch .LBB7_208
.LBB7_206:                              ;   in Loop: Header=BB7_159 Depth=1
.LBB7_207:                              ;   in Loop: Header=BB7_159 Depth=1
	global_load_dwordx2 v[20:21], v3, s[4:5]
.LBB7_208:                              ;   in Loop: Header=BB7_159 Depth=1
	v_readfirstlane_b32 s4, v38
	v_mov_b32_e32 v26, 0
	v_mov_b32_e32 v27, 0
	v_cmp_eq_u32_e64 s4, s4, v38
	s_and_saveexec_b32 s5, s4
	s_cbranch_execz .LBB7_214
; %bb.209:                              ;   in Loop: Header=BB7_159 Depth=1
	global_load_dwordx2 v[24:25], v3, s[26:27] offset:24 glc dlc
	s_waitcnt vmcnt(0)
	buffer_gl1_inv
	buffer_gl0_inv
	s_clause 0x1
	global_load_dwordx2 v[22:23], v3, s[26:27] offset:40
	global_load_dwordx2 v[26:27], v3, s[26:27]
	s_mov_b32 s12, exec_lo
	s_waitcnt vmcnt(1)
	v_and_b32_e32 v2, v23, v25
	v_and_b32_e32 v22, v22, v24
	v_mul_lo_u32 v2, v2, 24
	v_mul_hi_u32 v23, v22, 24
	v_mul_lo_u32 v22, v22, 24
	v_add_nc_u32_e32 v2, v23, v2
	s_waitcnt vmcnt(0)
	v_add_co_u32 v22, vcc_lo, v26, v22
	v_add_co_ci_u32_e32 v23, vcc_lo, v27, v2, vcc_lo
	global_load_dwordx2 v[22:23], v[22:23], off glc dlc
	s_waitcnt vmcnt(0)
	global_atomic_cmpswap_x2 v[26:27], v3, v[22:25], s[26:27] offset:24 glc
	s_waitcnt vmcnt(0)
	buffer_gl1_inv
	buffer_gl0_inv
	v_cmpx_ne_u64_e64 v[26:27], v[24:25]
	s_cbranch_execz .LBB7_213
; %bb.210:                              ;   in Loop: Header=BB7_159 Depth=1
	s_mov_b32 s13, 0
	.p2align	6
.LBB7_211:                              ;   Parent Loop BB7_159 Depth=1
                                        ; =>  This Inner Loop Header: Depth=2
	s_sleep 1
	s_clause 0x1
	global_load_dwordx2 v[22:23], v3, s[26:27] offset:40
	global_load_dwordx2 v[28:29], v3, s[26:27]
	v_mov_b32_e32 v24, v26
	v_mov_b32_e32 v25, v27
	s_waitcnt vmcnt(1)
	v_and_b32_e32 v2, v22, v24
	v_and_b32_e32 v22, v23, v25
	s_waitcnt vmcnt(0)
	v_mad_u64_u32 v[26:27], null, v2, 24, v[28:29]
	v_mov_b32_e32 v2, v27
	v_mad_u64_u32 v[22:23], null, v22, 24, v[2:3]
	v_mov_b32_e32 v27, v22
	global_load_dwordx2 v[22:23], v[26:27], off glc dlc
	s_waitcnt vmcnt(0)
	global_atomic_cmpswap_x2 v[26:27], v3, v[22:25], s[26:27] offset:24 glc
	s_waitcnt vmcnt(0)
	buffer_gl1_inv
	buffer_gl0_inv
	v_cmp_eq_u64_e32 vcc_lo, v[26:27], v[24:25]
	s_or_b32 s13, vcc_lo, s13
	s_andn2_b32 exec_lo, exec_lo, s13
	s_cbranch_execnz .LBB7_211
; %bb.212:                              ;   in Loop: Header=BB7_159 Depth=1
	s_or_b32 exec_lo, exec_lo, s13
.LBB7_213:                              ;   in Loop: Header=BB7_159 Depth=1
	s_or_b32 exec_lo, exec_lo, s12
.LBB7_214:                              ;   in Loop: Header=BB7_159 Depth=1
	s_or_b32 exec_lo, exec_lo, s5
	s_clause 0x1
	global_load_dwordx2 v[28:29], v3, s[26:27] offset:40
	global_load_dwordx4 v[22:25], v3, s[26:27]
	v_readfirstlane_b32 s12, v26
	v_readfirstlane_b32 s13, v27
	s_mov_b32 s5, exec_lo
	s_waitcnt vmcnt(1)
	v_readfirstlane_b32 s14, v28
	v_readfirstlane_b32 s15, v29
	s_and_b64 s[14:15], s[12:13], s[14:15]
	s_mul_i32 s17, s15, 24
	s_mul_hi_u32 s18, s14, 24
	s_mul_i32 s19, s14, 24
	s_add_i32 s18, s18, s17
	s_waitcnt vmcnt(0)
	v_add_co_u32 v26, vcc_lo, v22, s19
	v_add_co_ci_u32_e32 v27, vcc_lo, s18, v23, vcc_lo
	s_and_saveexec_b32 s17, s4
	s_cbranch_execz .LBB7_216
; %bb.215:                              ;   in Loop: Header=BB7_159 Depth=1
	v_mov_b32_e32 v2, s5
	global_store_dwordx4 v[26:27], v[2:5], off offset:8
.LBB7_216:                              ;   in Loop: Header=BB7_159 Depth=1
	s_or_b32 exec_lo, exec_lo, s17
	s_lshl_b64 s[14:15], s[14:15], 12
	v_or_b32_e32 v2, 2, v6
	v_add_co_u32 v24, vcc_lo, v24, s14
	v_add_co_ci_u32_e32 v25, vcc_lo, s15, v25, vcc_lo
	v_cmp_gt_u64_e64 vcc_lo, s[8:9], 56
	s_lshl_b32 s5, s10, 2
	v_readfirstlane_b32 s14, v24
	s_add_i32 s5, s5, 28
	v_readfirstlane_b32 s15, v25
	s_and_b32 s5, s5, 0x1e0
	v_cndmask_b32_e32 v2, v2, v6, vcc_lo
	v_and_or_b32 v6, 0xffffff1f, v2, s5
	global_store_dwordx4 v37, v[10:13], s[14:15] offset:16
	global_store_dwordx4 v37, v[6:9], s[14:15]
	global_store_dwordx4 v37, v[14:17], s[14:15] offset:32
	global_store_dwordx4 v37, v[18:21], s[14:15] offset:48
	s_and_saveexec_b32 s5, s4
	s_cbranch_execz .LBB7_224
; %bb.217:                              ;   in Loop: Header=BB7_159 Depth=1
	s_clause 0x1
	global_load_dwordx2 v[14:15], v3, s[26:27] offset:32 glc dlc
	global_load_dwordx2 v[6:7], v3, s[26:27] offset:40
	v_mov_b32_e32 v12, s12
	v_mov_b32_e32 v13, s13
	s_waitcnt vmcnt(0)
	v_readfirstlane_b32 s14, v6
	v_readfirstlane_b32 s15, v7
	s_and_b64 s[14:15], s[14:15], s[12:13]
	s_mul_i32 s15, s15, 24
	s_mul_hi_u32 s17, s14, 24
	s_mul_i32 s14, s14, 24
	s_add_i32 s17, s17, s15
	v_add_co_u32 v10, vcc_lo, v22, s14
	v_add_co_ci_u32_e32 v11, vcc_lo, s17, v23, vcc_lo
	s_mov_b32 s14, exec_lo
	global_store_dwordx2 v[10:11], v[14:15], off
	s_waitcnt_vscnt null, 0x0
	global_atomic_cmpswap_x2 v[8:9], v3, v[12:15], s[26:27] offset:32 glc
	s_waitcnt vmcnt(0)
	v_cmpx_ne_u64_e64 v[8:9], v[14:15]
	s_cbranch_execz .LBB7_220
; %bb.218:                              ;   in Loop: Header=BB7_159 Depth=1
	s_mov_b32 s15, 0
.LBB7_219:                              ;   Parent Loop BB7_159 Depth=1
                                        ; =>  This Inner Loop Header: Depth=2
	v_mov_b32_e32 v6, s12
	v_mov_b32_e32 v7, s13
	s_sleep 1
	global_store_dwordx2 v[10:11], v[8:9], off
	s_waitcnt_vscnt null, 0x0
	global_atomic_cmpswap_x2 v[6:7], v3, v[6:9], s[26:27] offset:32 glc
	s_waitcnt vmcnt(0)
	v_cmp_eq_u64_e32 vcc_lo, v[6:7], v[8:9]
	v_mov_b32_e32 v9, v7
	v_mov_b32_e32 v8, v6
	s_or_b32 s15, vcc_lo, s15
	s_andn2_b32 exec_lo, exec_lo, s15
	s_cbranch_execnz .LBB7_219
.LBB7_220:                              ;   in Loop: Header=BB7_159 Depth=1
	s_or_b32 exec_lo, exec_lo, s14
	global_load_dwordx2 v[6:7], v3, s[26:27] offset:16
	s_mov_b32 s15, exec_lo
	s_mov_b32 s14, exec_lo
	v_mbcnt_lo_u32_b32 v2, s15, 0
	v_cmpx_eq_u32_e32 0, v2
	s_cbranch_execz .LBB7_222
; %bb.221:                              ;   in Loop: Header=BB7_159 Depth=1
	s_bcnt1_i32_b32 s15, s15
	v_mov_b32_e32 v2, s15
	s_waitcnt vmcnt(0)
	global_atomic_add_x2 v[6:7], v[2:3], off offset:8
.LBB7_222:                              ;   in Loop: Header=BB7_159 Depth=1
	s_or_b32 exec_lo, exec_lo, s14
	s_waitcnt vmcnt(0)
	global_load_dwordx2 v[8:9], v[6:7], off offset:16
	s_waitcnt vmcnt(0)
	v_cmp_eq_u64_e32 vcc_lo, 0, v[8:9]
	s_cbranch_vccnz .LBB7_224
; %bb.223:                              ;   in Loop: Header=BB7_159 Depth=1
	global_load_dword v2, v[6:7], off offset:24
	s_waitcnt vmcnt(0)
	v_and_b32_e32 v6, 0x7fffff, v2
	s_waitcnt_vscnt null, 0x0
	global_store_dwordx2 v[8:9], v[2:3], off
	v_readfirstlane_b32 m0, v6
	s_sendmsg sendmsg(MSG_INTERRUPT)
.LBB7_224:                              ;   in Loop: Header=BB7_159 Depth=1
	s_or_b32 exec_lo, exec_lo, s5
	v_add_co_u32 v6, vcc_lo, v24, v37
	v_add_co_ci_u32_e32 v7, vcc_lo, 0, v25, vcc_lo
	s_branch .LBB7_228
	.p2align	6
.LBB7_225:                              ;   in Loop: Header=BB7_228 Depth=2
	s_or_b32 exec_lo, exec_lo, s5
	v_readfirstlane_b32 s5, v2
	s_cmp_eq_u32 s5, 0
	s_cbranch_scc1 .LBB7_227
; %bb.226:                              ;   in Loop: Header=BB7_228 Depth=2
	s_sleep 1
	s_cbranch_execnz .LBB7_228
	s_branch .LBB7_230
	.p2align	6
.LBB7_227:                              ;   in Loop: Header=BB7_159 Depth=1
	s_branch .LBB7_230
.LBB7_228:                              ;   Parent Loop BB7_159 Depth=1
                                        ; =>  This Inner Loop Header: Depth=2
	v_mov_b32_e32 v2, 1
	s_and_saveexec_b32 s5, s4
	s_cbranch_execz .LBB7_225
; %bb.229:                              ;   in Loop: Header=BB7_228 Depth=2
	global_load_dword v2, v[26:27], off offset:20 glc dlc
	s_waitcnt vmcnt(0)
	buffer_gl1_inv
	buffer_gl0_inv
	v_and_b32_e32 v2, 1, v2
	s_branch .LBB7_225
.LBB7_230:                              ;   in Loop: Header=BB7_159 Depth=1
	global_load_dwordx4 v[6:9], v[6:7], off
	s_and_saveexec_b32 s5, s4
	s_cbranch_execz .LBB7_158
; %bb.231:                              ;   in Loop: Header=BB7_159 Depth=1
	s_clause 0x2
	global_load_dwordx2 v[10:11], v3, s[26:27] offset:40
	global_load_dwordx2 v[14:15], v3, s[26:27] offset:24 glc dlc
	global_load_dwordx2 v[12:13], v3, s[26:27]
	s_waitcnt vmcnt(2)
	v_add_co_u32 v2, vcc_lo, v10, 1
	v_add_co_ci_u32_e32 v16, vcc_lo, 0, v11, vcc_lo
	v_add_co_u32 v8, vcc_lo, v2, s12
	v_add_co_ci_u32_e32 v9, vcc_lo, s13, v16, vcc_lo
	v_cmp_eq_u64_e32 vcc_lo, 0, v[8:9]
	v_cndmask_b32_e32 v9, v9, v16, vcc_lo
	v_cndmask_b32_e32 v8, v8, v2, vcc_lo
	v_and_b32_e32 v2, v9, v11
	v_and_b32_e32 v10, v8, v10
	v_mul_lo_u32 v2, v2, 24
	v_mul_hi_u32 v11, v10, 24
	v_mul_lo_u32 v10, v10, 24
	v_add_nc_u32_e32 v2, v11, v2
	s_waitcnt vmcnt(0)
	v_add_co_u32 v12, vcc_lo, v12, v10
	v_mov_b32_e32 v10, v14
	v_mov_b32_e32 v11, v15
	v_add_co_ci_u32_e32 v13, vcc_lo, v13, v2, vcc_lo
	global_store_dwordx2 v[12:13], v[14:15], off
	s_waitcnt_vscnt null, 0x0
	global_atomic_cmpswap_x2 v[10:11], v3, v[8:11], s[26:27] offset:24 glc
	s_waitcnt vmcnt(0)
	v_cmp_ne_u64_e32 vcc_lo, v[10:11], v[14:15]
	s_and_b32 exec_lo, exec_lo, vcc_lo
	s_cbranch_execz .LBB7_158
; %bb.232:                              ;   in Loop: Header=BB7_159 Depth=1
	s_mov_b32 s4, 0
.LBB7_233:                              ;   Parent Loop BB7_159 Depth=1
                                        ; =>  This Inner Loop Header: Depth=2
	s_sleep 1
	global_store_dwordx2 v[12:13], v[10:11], off
	s_waitcnt_vscnt null, 0x0
	global_atomic_cmpswap_x2 v[14:15], v3, v[8:11], s[26:27] offset:24 glc
	s_waitcnt vmcnt(0)
	v_cmp_eq_u64_e32 vcc_lo, v[14:15], v[10:11]
	v_mov_b32_e32 v10, v14
	v_mov_b32_e32 v11, v15
	s_or_b32 s4, vcc_lo, s4
	s_andn2_b32 exec_lo, exec_lo, s4
	s_cbranch_execnz .LBB7_233
	s_branch .LBB7_158
.LBB7_234:
	s_mov_b32 s4, 0
	s_branch .LBB7_236
.LBB7_235:
	s_mov_b32 s4, -1
.LBB7_236:
	s_and_b32 vcc_lo, exec_lo, s4
	s_cbranch_vccz .LBB7_264
; %bb.237:
	v_readfirstlane_b32 s4, v38
	s_waitcnt vmcnt(0)
	v_mov_b32_e32 v8, 0
	v_mov_b32_e32 v9, 0
	v_cmp_eq_u32_e64 s4, s4, v38
	s_and_saveexec_b32 s5, s4
	s_cbranch_execz .LBB7_243
; %bb.238:
	v_mov_b32_e32 v2, 0
	s_mov_b32 s6, exec_lo
	global_load_dwordx2 v[5:6], v2, s[26:27] offset:24 glc dlc
	s_waitcnt vmcnt(0)
	buffer_gl1_inv
	buffer_gl0_inv
	s_clause 0x1
	global_load_dwordx2 v[3:4], v2, s[26:27] offset:40
	global_load_dwordx2 v[7:8], v2, s[26:27]
	s_waitcnt vmcnt(1)
	v_and_b32_e32 v4, v4, v6
	v_and_b32_e32 v3, v3, v5
	v_mul_lo_u32 v4, v4, 24
	v_mul_hi_u32 v9, v3, 24
	v_mul_lo_u32 v3, v3, 24
	v_add_nc_u32_e32 v4, v9, v4
	s_waitcnt vmcnt(0)
	v_add_co_u32 v3, vcc_lo, v7, v3
	v_add_co_ci_u32_e32 v4, vcc_lo, v8, v4, vcc_lo
	global_load_dwordx2 v[3:4], v[3:4], off glc dlc
	s_waitcnt vmcnt(0)
	global_atomic_cmpswap_x2 v[8:9], v2, v[3:6], s[26:27] offset:24 glc
	s_waitcnt vmcnt(0)
	buffer_gl1_inv
	buffer_gl0_inv
	v_cmpx_ne_u64_e64 v[8:9], v[5:6]
	s_cbranch_execz .LBB7_242
; %bb.239:
	s_mov_b32 s7, 0
.LBB7_240:                              ; =>This Inner Loop Header: Depth=1
	s_sleep 1
	s_clause 0x1
	global_load_dwordx2 v[3:4], v2, s[26:27] offset:40
	global_load_dwordx2 v[10:11], v2, s[26:27]
	v_mov_b32_e32 v5, v8
	v_mov_b32_e32 v6, v9
	s_waitcnt vmcnt(1)
	v_and_b32_e32 v3, v3, v5
	v_and_b32_e32 v4, v4, v6
	s_waitcnt vmcnt(0)
	v_mad_u64_u32 v[7:8], null, v3, 24, v[10:11]
	v_mov_b32_e32 v3, v8
	v_mad_u64_u32 v[3:4], null, v4, 24, v[3:4]
	v_mov_b32_e32 v8, v3
	global_load_dwordx2 v[3:4], v[7:8], off glc dlc
	s_waitcnt vmcnt(0)
	global_atomic_cmpswap_x2 v[8:9], v2, v[3:6], s[26:27] offset:24 glc
	s_waitcnt vmcnt(0)
	buffer_gl1_inv
	buffer_gl0_inv
	v_cmp_eq_u64_e32 vcc_lo, v[8:9], v[5:6]
	s_or_b32 s7, vcc_lo, s7
	s_andn2_b32 exec_lo, exec_lo, s7
	s_cbranch_execnz .LBB7_240
; %bb.241:
	s_or_b32 exec_lo, exec_lo, s7
.LBB7_242:
	s_or_b32 exec_lo, exec_lo, s6
.LBB7_243:
	s_or_b32 exec_lo, exec_lo, s5
	v_mov_b32_e32 v2, 0
	v_readfirstlane_b32 s6, v8
	v_readfirstlane_b32 s7, v9
	s_mov_b32 s5, exec_lo
	s_clause 0x1
	global_load_dwordx2 v[10:11], v2, s[26:27] offset:40
	global_load_dwordx4 v[4:7], v2, s[26:27]
	s_waitcnt vmcnt(1)
	v_readfirstlane_b32 s8, v10
	v_readfirstlane_b32 s9, v11
	s_and_b64 s[8:9], s[6:7], s[8:9]
	s_mul_i32 s10, s9, 24
	s_mul_hi_u32 s11, s8, 24
	s_mul_i32 s12, s8, 24
	s_add_i32 s11, s11, s10
	s_waitcnt vmcnt(0)
	v_add_co_u32 v8, vcc_lo, v4, s12
	v_add_co_ci_u32_e32 v9, vcc_lo, s11, v5, vcc_lo
	s_and_saveexec_b32 s10, s4
	s_cbranch_execz .LBB7_245
; %bb.244:
	v_mov_b32_e32 v10, s5
	v_mov_b32_e32 v11, v2
	;; [unrolled: 1-line block ×4, first 2 shown]
	global_store_dwordx4 v[8:9], v[10:13], off offset:8
.LBB7_245:
	s_or_b32 exec_lo, exec_lo, s10
	s_lshl_b64 s[8:9], s[8:9], 12
	v_and_or_b32 v0, 0xffffff1d, v0, 34
	v_add_co_u32 v6, vcc_lo, v6, s8
	v_add_co_ci_u32_e32 v7, vcc_lo, s9, v7, vcc_lo
	s_mov_b32 s8, 0
	v_mov_b32_e32 v3, v2
	s_mov_b32 s11, s8
	s_mov_b32 s9, s8
	;; [unrolled: 1-line block ×3, first 2 shown]
	v_readfirstlane_b32 s12, v6
	v_readfirstlane_b32 s13, v7
	v_mov_b32_e32 v13, s11
	v_mov_b32_e32 v12, s10
	;; [unrolled: 1-line block ×4, first 2 shown]
	global_store_dwordx4 v37, v[0:3], s[12:13]
	global_store_dwordx4 v37, v[10:13], s[12:13] offset:16
	global_store_dwordx4 v37, v[10:13], s[12:13] offset:32
	;; [unrolled: 1-line block ×3, first 2 shown]
	s_and_saveexec_b32 s5, s4
	s_cbranch_execz .LBB7_253
; %bb.246:
	v_mov_b32_e32 v6, 0
	v_mov_b32_e32 v10, s6
	;; [unrolled: 1-line block ×3, first 2 shown]
	s_clause 0x1
	global_load_dwordx2 v[12:13], v6, s[26:27] offset:32 glc dlc
	global_load_dwordx2 v[0:1], v6, s[26:27] offset:40
	s_waitcnt vmcnt(0)
	v_readfirstlane_b32 s8, v0
	v_readfirstlane_b32 s9, v1
	s_and_b64 s[8:9], s[8:9], s[6:7]
	s_mul_i32 s9, s9, 24
	s_mul_hi_u32 s10, s8, 24
	s_mul_i32 s8, s8, 24
	s_add_i32 s10, s10, s9
	v_add_co_u32 v4, vcc_lo, v4, s8
	v_add_co_ci_u32_e32 v5, vcc_lo, s10, v5, vcc_lo
	s_mov_b32 s8, exec_lo
	global_store_dwordx2 v[4:5], v[12:13], off
	s_waitcnt_vscnt null, 0x0
	global_atomic_cmpswap_x2 v[2:3], v6, v[10:13], s[26:27] offset:32 glc
	s_waitcnt vmcnt(0)
	v_cmpx_ne_u64_e64 v[2:3], v[12:13]
	s_cbranch_execz .LBB7_249
; %bb.247:
	s_mov_b32 s9, 0
.LBB7_248:                              ; =>This Inner Loop Header: Depth=1
	v_mov_b32_e32 v0, s6
	v_mov_b32_e32 v1, s7
	s_sleep 1
	global_store_dwordx2 v[4:5], v[2:3], off
	s_waitcnt_vscnt null, 0x0
	global_atomic_cmpswap_x2 v[0:1], v6, v[0:3], s[26:27] offset:32 glc
	s_waitcnt vmcnt(0)
	v_cmp_eq_u64_e32 vcc_lo, v[0:1], v[2:3]
	v_mov_b32_e32 v3, v1
	v_mov_b32_e32 v2, v0
	s_or_b32 s9, vcc_lo, s9
	s_andn2_b32 exec_lo, exec_lo, s9
	s_cbranch_execnz .LBB7_248
.LBB7_249:
	s_or_b32 exec_lo, exec_lo, s8
	v_mov_b32_e32 v3, 0
	s_mov_b32 s9, exec_lo
	s_mov_b32 s8, exec_lo
	v_mbcnt_lo_u32_b32 v2, s9, 0
	global_load_dwordx2 v[0:1], v3, s[26:27] offset:16
	v_cmpx_eq_u32_e32 0, v2
	s_cbranch_execz .LBB7_251
; %bb.250:
	s_bcnt1_i32_b32 s9, s9
	v_mov_b32_e32 v2, s9
	s_waitcnt vmcnt(0)
	global_atomic_add_x2 v[0:1], v[2:3], off offset:8
.LBB7_251:
	s_or_b32 exec_lo, exec_lo, s8
	s_waitcnt vmcnt(0)
	global_load_dwordx2 v[2:3], v[0:1], off offset:16
	s_waitcnt vmcnt(0)
	v_cmp_eq_u64_e32 vcc_lo, 0, v[2:3]
	s_cbranch_vccnz .LBB7_253
; %bb.252:
	global_load_dword v0, v[0:1], off offset:24
	v_mov_b32_e32 v1, 0
	s_waitcnt vmcnt(0)
	v_and_b32_e32 v4, 0x7fffff, v0
	s_waitcnt_vscnt null, 0x0
	global_store_dwordx2 v[2:3], v[0:1], off
	v_readfirstlane_b32 m0, v4
	s_sendmsg sendmsg(MSG_INTERRUPT)
.LBB7_253:
	s_or_b32 exec_lo, exec_lo, s5
	s_branch .LBB7_257
	.p2align	6
.LBB7_254:                              ;   in Loop: Header=BB7_257 Depth=1
	s_or_b32 exec_lo, exec_lo, s5
	v_readfirstlane_b32 s5, v0
	s_cmp_eq_u32 s5, 0
	s_cbranch_scc1 .LBB7_256
; %bb.255:                              ;   in Loop: Header=BB7_257 Depth=1
	s_sleep 1
	s_cbranch_execnz .LBB7_257
	s_branch .LBB7_259
.LBB7_256:
	s_branch .LBB7_259
.LBB7_257:                              ; =>This Inner Loop Header: Depth=1
	v_mov_b32_e32 v0, 1
	s_and_saveexec_b32 s5, s4
	s_cbranch_execz .LBB7_254
; %bb.258:                              ;   in Loop: Header=BB7_257 Depth=1
	global_load_dword v0, v[8:9], off offset:20 glc dlc
	s_waitcnt vmcnt(0)
	buffer_gl1_inv
	buffer_gl0_inv
	v_and_b32_e32 v0, 1, v0
	s_branch .LBB7_254
.LBB7_259:
	s_and_saveexec_b32 s5, s4
	s_cbranch_execz .LBB7_263
; %bb.260:
	v_mov_b32_e32 v6, 0
	s_clause 0x2
	global_load_dwordx2 v[2:3], v6, s[26:27] offset:40
	global_load_dwordx2 v[7:8], v6, s[26:27] offset:24 glc dlc
	global_load_dwordx2 v[4:5], v6, s[26:27]
	s_waitcnt vmcnt(2)
	v_add_co_u32 v9, vcc_lo, v2, 1
	v_add_co_ci_u32_e32 v10, vcc_lo, 0, v3, vcc_lo
	v_add_co_u32 v0, vcc_lo, v9, s6
	v_add_co_ci_u32_e32 v1, vcc_lo, s7, v10, vcc_lo
	v_cmp_eq_u64_e32 vcc_lo, 0, v[0:1]
	v_cndmask_b32_e32 v1, v1, v10, vcc_lo
	v_cndmask_b32_e32 v0, v0, v9, vcc_lo
	v_and_b32_e32 v3, v1, v3
	v_and_b32_e32 v2, v0, v2
	v_mul_lo_u32 v3, v3, 24
	v_mul_hi_u32 v9, v2, 24
	v_mul_lo_u32 v2, v2, 24
	v_add_nc_u32_e32 v3, v9, v3
	s_waitcnt vmcnt(0)
	v_add_co_u32 v4, vcc_lo, v4, v2
	v_mov_b32_e32 v2, v7
	v_add_co_ci_u32_e32 v5, vcc_lo, v5, v3, vcc_lo
	v_mov_b32_e32 v3, v8
	global_store_dwordx2 v[4:5], v[7:8], off
	s_waitcnt_vscnt null, 0x0
	global_atomic_cmpswap_x2 v[2:3], v6, v[0:3], s[26:27] offset:24 glc
	s_waitcnt vmcnt(0)
	v_cmp_ne_u64_e32 vcc_lo, v[2:3], v[7:8]
	s_and_b32 exec_lo, exec_lo, vcc_lo
	s_cbranch_execz .LBB7_263
; %bb.261:
	s_mov_b32 s4, 0
.LBB7_262:                              ; =>This Inner Loop Header: Depth=1
	s_sleep 1
	global_store_dwordx2 v[4:5], v[2:3], off
	s_waitcnt_vscnt null, 0x0
	global_atomic_cmpswap_x2 v[7:8], v6, v[0:3], s[26:27] offset:24 glc
	s_waitcnt vmcnt(0)
	v_cmp_eq_u64_e32 vcc_lo, v[7:8], v[2:3]
	v_mov_b32_e32 v2, v7
	v_mov_b32_e32 v3, v8
	s_or_b32 s4, vcc_lo, s4
	s_andn2_b32 exec_lo, exec_lo, s4
	s_cbranch_execnz .LBB7_262
.LBB7_263:
	s_or_b32 exec_lo, exec_lo, s5
.LBB7_264:
	v_readfirstlane_b32 s4, v38
	s_waitcnt vmcnt(0)
	v_mov_b32_e32 v6, 0
	v_mov_b32_e32 v7, 0
	v_cmp_eq_u32_e64 s4, s4, v38
	s_and_saveexec_b32 s5, s4
	s_cbranch_execz .LBB7_270
; %bb.265:
	v_mov_b32_e32 v0, 0
	s_mov_b32 s6, exec_lo
	global_load_dwordx2 v[3:4], v0, s[26:27] offset:24 glc dlc
	s_waitcnt vmcnt(0)
	buffer_gl1_inv
	buffer_gl0_inv
	s_clause 0x1
	global_load_dwordx2 v[1:2], v0, s[26:27] offset:40
	global_load_dwordx2 v[5:6], v0, s[26:27]
	s_waitcnt vmcnt(1)
	v_and_b32_e32 v2, v2, v4
	v_and_b32_e32 v1, v1, v3
	v_mul_lo_u32 v2, v2, 24
	v_mul_hi_u32 v7, v1, 24
	v_mul_lo_u32 v1, v1, 24
	v_add_nc_u32_e32 v2, v7, v2
	s_waitcnt vmcnt(0)
	v_add_co_u32 v1, vcc_lo, v5, v1
	v_add_co_ci_u32_e32 v2, vcc_lo, v6, v2, vcc_lo
	global_load_dwordx2 v[1:2], v[1:2], off glc dlc
	s_waitcnt vmcnt(0)
	global_atomic_cmpswap_x2 v[6:7], v0, v[1:4], s[26:27] offset:24 glc
	s_waitcnt vmcnt(0)
	buffer_gl1_inv
	buffer_gl0_inv
	v_cmpx_ne_u64_e64 v[6:7], v[3:4]
	s_cbranch_execz .LBB7_269
; %bb.266:
	s_mov_b32 s7, 0
.LBB7_267:                              ; =>This Inner Loop Header: Depth=1
	s_sleep 1
	s_clause 0x1
	global_load_dwordx2 v[1:2], v0, s[26:27] offset:40
	global_load_dwordx2 v[8:9], v0, s[26:27]
	v_mov_b32_e32 v3, v6
	v_mov_b32_e32 v4, v7
	s_waitcnt vmcnt(1)
	v_and_b32_e32 v1, v1, v3
	v_and_b32_e32 v2, v2, v4
	s_waitcnt vmcnt(0)
	v_mad_u64_u32 v[5:6], null, v1, 24, v[8:9]
	v_mov_b32_e32 v1, v6
	v_mad_u64_u32 v[1:2], null, v2, 24, v[1:2]
	v_mov_b32_e32 v6, v1
	global_load_dwordx2 v[1:2], v[5:6], off glc dlc
	s_waitcnt vmcnt(0)
	global_atomic_cmpswap_x2 v[6:7], v0, v[1:4], s[26:27] offset:24 glc
	s_waitcnt vmcnt(0)
	buffer_gl1_inv
	buffer_gl0_inv
	v_cmp_eq_u64_e32 vcc_lo, v[6:7], v[3:4]
	s_or_b32 s7, vcc_lo, s7
	s_andn2_b32 exec_lo, exec_lo, s7
	s_cbranch_execnz .LBB7_267
; %bb.268:
	s_or_b32 exec_lo, exec_lo, s7
.LBB7_269:
	s_or_b32 exec_lo, exec_lo, s6
.LBB7_270:
	s_or_b32 exec_lo, exec_lo, s5
	v_mov_b32_e32 v5, 0
	v_readfirstlane_b32 s6, v6
	v_readfirstlane_b32 s7, v7
	s_mov_b32 s5, exec_lo
	s_clause 0x1
	global_load_dwordx2 v[8:9], v5, s[26:27] offset:40
	global_load_dwordx4 v[0:3], v5, s[26:27]
	s_waitcnt vmcnt(1)
	v_readfirstlane_b32 s8, v8
	v_readfirstlane_b32 s9, v9
	s_and_b64 s[8:9], s[6:7], s[8:9]
	s_mul_i32 s10, s9, 24
	s_mul_hi_u32 s11, s8, 24
	s_mul_i32 s12, s8, 24
	s_add_i32 s11, s11, s10
	s_waitcnt vmcnt(0)
	v_add_co_u32 v8, vcc_lo, v0, s12
	v_add_co_ci_u32_e32 v9, vcc_lo, s11, v1, vcc_lo
	s_and_saveexec_b32 s10, s4
	s_cbranch_execz .LBB7_272
; %bb.271:
	v_mov_b32_e32 v4, s5
	v_mov_b32_e32 v6, 2
	;; [unrolled: 1-line block ×3, first 2 shown]
	global_store_dwordx4 v[8:9], v[4:7], off offset:8
.LBB7_272:
	s_or_b32 exec_lo, exec_lo, s10
	s_lshl_b64 s[8:9], s[8:9], 12
	v_mov_b32_e32 v4, 33
	v_add_co_u32 v2, vcc_lo, v2, s8
	v_add_co_ci_u32_e32 v3, vcc_lo, s9, v3, vcc_lo
	s_mov_b32 s8, 0
	v_add_co_u32 v10, vcc_lo, v2, v37
	s_mov_b32 s11, s8
	s_mov_b32 s9, s8
	;; [unrolled: 1-line block ×3, first 2 shown]
	v_mov_b32_e32 v6, v5
	v_mov_b32_e32 v7, v5
	v_readfirstlane_b32 s12, v2
	v_readfirstlane_b32 s13, v3
	v_mov_b32_e32 v15, s11
	v_add_co_ci_u32_e32 v11, vcc_lo, 0, v3, vcc_lo
	v_mov_b32_e32 v14, s10
	v_mov_b32_e32 v13, s9
	;; [unrolled: 1-line block ×3, first 2 shown]
	global_store_dwordx4 v37, v[4:7], s[12:13]
	global_store_dwordx4 v37, v[12:15], s[12:13] offset:16
	global_store_dwordx4 v37, v[12:15], s[12:13] offset:32
	;; [unrolled: 1-line block ×3, first 2 shown]
	s_and_saveexec_b32 s5, s4
	s_cbranch_execz .LBB7_280
; %bb.273:
	v_mov_b32_e32 v6, 0
	v_mov_b32_e32 v12, s6
	;; [unrolled: 1-line block ×3, first 2 shown]
	s_clause 0x1
	global_load_dwordx2 v[14:15], v6, s[26:27] offset:32 glc dlc
	global_load_dwordx2 v[2:3], v6, s[26:27] offset:40
	s_waitcnt vmcnt(0)
	v_readfirstlane_b32 s8, v2
	v_readfirstlane_b32 s9, v3
	s_and_b64 s[8:9], s[8:9], s[6:7]
	s_mul_i32 s9, s9, 24
	s_mul_hi_u32 s10, s8, 24
	s_mul_i32 s8, s8, 24
	s_add_i32 s10, s10, s9
	v_add_co_u32 v4, vcc_lo, v0, s8
	v_add_co_ci_u32_e32 v5, vcc_lo, s10, v1, vcc_lo
	s_mov_b32 s8, exec_lo
	global_store_dwordx2 v[4:5], v[14:15], off
	s_waitcnt_vscnt null, 0x0
	global_atomic_cmpswap_x2 v[2:3], v6, v[12:15], s[26:27] offset:32 glc
	s_waitcnt vmcnt(0)
	v_cmpx_ne_u64_e64 v[2:3], v[14:15]
	s_cbranch_execz .LBB7_276
; %bb.274:
	s_mov_b32 s9, 0
.LBB7_275:                              ; =>This Inner Loop Header: Depth=1
	v_mov_b32_e32 v0, s6
	v_mov_b32_e32 v1, s7
	s_sleep 1
	global_store_dwordx2 v[4:5], v[2:3], off
	s_waitcnt_vscnt null, 0x0
	global_atomic_cmpswap_x2 v[0:1], v6, v[0:3], s[26:27] offset:32 glc
	s_waitcnt vmcnt(0)
	v_cmp_eq_u64_e32 vcc_lo, v[0:1], v[2:3]
	v_mov_b32_e32 v3, v1
	v_mov_b32_e32 v2, v0
	s_or_b32 s9, vcc_lo, s9
	s_andn2_b32 exec_lo, exec_lo, s9
	s_cbranch_execnz .LBB7_275
.LBB7_276:
	s_or_b32 exec_lo, exec_lo, s8
	v_mov_b32_e32 v3, 0
	s_mov_b32 s9, exec_lo
	s_mov_b32 s8, exec_lo
	v_mbcnt_lo_u32_b32 v2, s9, 0
	global_load_dwordx2 v[0:1], v3, s[26:27] offset:16
	v_cmpx_eq_u32_e32 0, v2
	s_cbranch_execz .LBB7_278
; %bb.277:
	s_bcnt1_i32_b32 s9, s9
	v_mov_b32_e32 v2, s9
	s_waitcnt vmcnt(0)
	global_atomic_add_x2 v[0:1], v[2:3], off offset:8
.LBB7_278:
	s_or_b32 exec_lo, exec_lo, s8
	s_waitcnt vmcnt(0)
	global_load_dwordx2 v[2:3], v[0:1], off offset:16
	s_waitcnt vmcnt(0)
	v_cmp_eq_u64_e32 vcc_lo, 0, v[2:3]
	s_cbranch_vccnz .LBB7_280
; %bb.279:
	global_load_dword v0, v[0:1], off offset:24
	v_mov_b32_e32 v1, 0
	s_waitcnt vmcnt(0)
	v_and_b32_e32 v4, 0x7fffff, v0
	s_waitcnt_vscnt null, 0x0
	global_store_dwordx2 v[2:3], v[0:1], off
	v_readfirstlane_b32 m0, v4
	s_sendmsg sendmsg(MSG_INTERRUPT)
.LBB7_280:
	s_or_b32 exec_lo, exec_lo, s5
	s_branch .LBB7_284
	.p2align	6
.LBB7_281:                              ;   in Loop: Header=BB7_284 Depth=1
	s_or_b32 exec_lo, exec_lo, s5
	v_readfirstlane_b32 s5, v0
	s_cmp_eq_u32 s5, 0
	s_cbranch_scc1 .LBB7_283
; %bb.282:                              ;   in Loop: Header=BB7_284 Depth=1
	s_sleep 1
	s_cbranch_execnz .LBB7_284
	s_branch .LBB7_286
	.p2align	6
.LBB7_283:
	s_branch .LBB7_286
.LBB7_284:                              ; =>This Inner Loop Header: Depth=1
	v_mov_b32_e32 v0, 1
	s_and_saveexec_b32 s5, s4
	s_cbranch_execz .LBB7_281
; %bb.285:                              ;   in Loop: Header=BB7_284 Depth=1
	global_load_dword v0, v[8:9], off offset:20 glc dlc
	s_waitcnt vmcnt(0)
	buffer_gl1_inv
	buffer_gl0_inv
	v_and_b32_e32 v0, 1, v0
	s_branch .LBB7_281
.LBB7_286:
	global_load_dwordx2 v[0:1], v[10:11], off
	s_and_saveexec_b32 s5, s4
	s_cbranch_execz .LBB7_290
; %bb.287:
	v_mov_b32_e32 v8, 0
	s_clause 0x2
	global_load_dwordx2 v[4:5], v8, s[26:27] offset:40
	global_load_dwordx2 v[9:10], v8, s[26:27] offset:24 glc dlc
	global_load_dwordx2 v[6:7], v8, s[26:27]
	s_waitcnt vmcnt(2)
	v_add_co_u32 v11, vcc_lo, v4, 1
	v_add_co_ci_u32_e32 v12, vcc_lo, 0, v5, vcc_lo
	v_add_co_u32 v2, vcc_lo, v11, s6
	v_add_co_ci_u32_e32 v3, vcc_lo, s7, v12, vcc_lo
	v_cmp_eq_u64_e32 vcc_lo, 0, v[2:3]
	v_cndmask_b32_e32 v3, v3, v12, vcc_lo
	v_cndmask_b32_e32 v2, v2, v11, vcc_lo
	v_and_b32_e32 v5, v3, v5
	v_and_b32_e32 v4, v2, v4
	v_mul_lo_u32 v5, v5, 24
	v_mul_hi_u32 v11, v4, 24
	v_mul_lo_u32 v4, v4, 24
	v_add_nc_u32_e32 v5, v11, v5
	s_waitcnt vmcnt(0)
	v_add_co_u32 v6, vcc_lo, v6, v4
	v_mov_b32_e32 v4, v9
	v_add_co_ci_u32_e32 v7, vcc_lo, v7, v5, vcc_lo
	v_mov_b32_e32 v5, v10
	global_store_dwordx2 v[6:7], v[9:10], off
	s_waitcnt_vscnt null, 0x0
	global_atomic_cmpswap_x2 v[4:5], v8, v[2:5], s[26:27] offset:24 glc
	s_waitcnt vmcnt(0)
	v_cmp_ne_u64_e32 vcc_lo, v[4:5], v[9:10]
	s_and_b32 exec_lo, exec_lo, vcc_lo
	s_cbranch_execz .LBB7_290
; %bb.288:
	s_mov_b32 s4, 0
.LBB7_289:                              ; =>This Inner Loop Header: Depth=1
	s_sleep 1
	global_store_dwordx2 v[6:7], v[4:5], off
	s_waitcnt_vscnt null, 0x0
	global_atomic_cmpswap_x2 v[9:10], v8, v[2:5], s[26:27] offset:24 glc
	s_waitcnt vmcnt(0)
	v_cmp_eq_u64_e32 vcc_lo, v[9:10], v[4:5]
	v_mov_b32_e32 v4, v9
	v_mov_b32_e32 v5, v10
	s_or_b32 s4, vcc_lo, s4
	s_andn2_b32 exec_lo, exec_lo, s4
	s_cbranch_execnz .LBB7_289
.LBB7_290:
	s_or_b32 exec_lo, exec_lo, s5
	s_getpc_b64 s[6:7]
	s_add_u32 s6, s6, .str.6@rel32@lo+4
	s_addc_u32 s7, s7, .str.6@rel32@hi+12
	s_cmp_lg_u64 s[6:7], 0
	s_cselect_b32 s33, -1, 0
	s_and_b32 vcc_lo, exec_lo, s33
	s_cbranch_vccz .LBB7_369
; %bb.291:
	s_waitcnt vmcnt(0)
	v_and_b32_e32 v31, 2, v0
	v_mov_b32_e32 v6, 0
	v_and_b32_e32 v2, -3, v0
	v_mov_b32_e32 v3, v1
	v_mov_b32_e32 v7, 2
	;; [unrolled: 1-line block ×3, first 2 shown]
	s_mov_b64 s[8:9], 3
	s_branch .LBB7_293
.LBB7_292:                              ;   in Loop: Header=BB7_293 Depth=1
	s_or_b32 exec_lo, exec_lo, s5
	s_sub_u32 s8, s8, s10
	s_subb_u32 s9, s9, s11
	s_add_u32 s6, s6, s10
	s_addc_u32 s7, s7, s11
	s_cmp_lg_u64 s[8:9], 0
	s_cbranch_scc0 .LBB7_368
.LBB7_293:                              ; =>This Loop Header: Depth=1
                                        ;     Child Loop BB7_302 Depth 2
                                        ;     Child Loop BB7_298 Depth 2
	;; [unrolled: 1-line block ×11, first 2 shown]
	v_cmp_lt_u64_e64 s4, s[8:9], 56
	v_cmp_gt_u64_e64 s5, s[8:9], 7
                                        ; implicit-def: $vgpr11_vgpr12
                                        ; implicit-def: $sgpr17
	s_and_b32 s4, s4, exec_lo
	s_cselect_b32 s11, s9, 0
	s_cselect_b32 s10, s8, 56
	s_and_b32 vcc_lo, exec_lo, s5
	s_mov_b32 s4, -1
	s_cbranch_vccz .LBB7_300
; %bb.294:                              ;   in Loop: Header=BB7_293 Depth=1
	s_andn2_b32 vcc_lo, exec_lo, s4
	s_mov_b64 s[4:5], s[6:7]
	s_cbranch_vccz .LBB7_304
.LBB7_295:                              ;   in Loop: Header=BB7_293 Depth=1
	s_cmp_gt_u32 s17, 7
	s_cbranch_scc1 .LBB7_305
.LBB7_296:                              ;   in Loop: Header=BB7_293 Depth=1
	v_mov_b32_e32 v13, 0
	v_mov_b32_e32 v14, 0
	s_cmp_eq_u32 s17, 0
	s_cbranch_scc1 .LBB7_299
; %bb.297:                              ;   in Loop: Header=BB7_293 Depth=1
	s_mov_b64 s[12:13], 0
	s_mov_b64 s[14:15], 0
.LBB7_298:                              ;   Parent Loop BB7_293 Depth=1
                                        ; =>  This Inner Loop Header: Depth=2
	s_add_u32 s18, s4, s14
	s_addc_u32 s19, s5, s15
	s_add_u32 s14, s14, 1
	global_load_ubyte v4, v6, s[18:19]
	s_addc_u32 s15, s15, 0
	s_waitcnt vmcnt(0)
	v_and_b32_e32 v5, 0xffff, v4
	v_lshlrev_b64 v[4:5], s12, v[5:6]
	s_add_u32 s12, s12, 8
	s_addc_u32 s13, s13, 0
	s_cmp_lg_u32 s17, s14
	v_or_b32_e32 v13, v4, v13
	v_or_b32_e32 v14, v5, v14
	s_cbranch_scc1 .LBB7_298
.LBB7_299:                              ;   in Loop: Header=BB7_293 Depth=1
	s_mov_b32 s18, 0
	s_cbranch_execz .LBB7_306
	s_branch .LBB7_307
.LBB7_300:                              ;   in Loop: Header=BB7_293 Depth=1
	v_mov_b32_e32 v11, 0
	v_mov_b32_e32 v12, 0
	s_cmp_eq_u64 s[8:9], 0
	s_mov_b64 s[4:5], 0
	s_cbranch_scc1 .LBB7_303
; %bb.301:                              ;   in Loop: Header=BB7_293 Depth=1
	v_mov_b32_e32 v11, 0
	v_mov_b32_e32 v12, 0
	s_lshl_b64 s[12:13], s[10:11], 3
	s_mov_b64 s[14:15], s[6:7]
.LBB7_302:                              ;   Parent Loop BB7_293 Depth=1
                                        ; =>  This Inner Loop Header: Depth=2
	global_load_ubyte v4, v6, s[14:15]
	s_waitcnt vmcnt(0)
	v_and_b32_e32 v5, 0xffff, v4
	v_lshlrev_b64 v[4:5], s4, v[5:6]
	s_add_u32 s4, s4, 8
	s_addc_u32 s5, s5, 0
	s_add_u32 s14, s14, 1
	s_addc_u32 s15, s15, 0
	s_cmp_lg_u32 s12, s4
	v_or_b32_e32 v11, v4, v11
	v_or_b32_e32 v12, v5, v12
	s_cbranch_scc1 .LBB7_302
.LBB7_303:                              ;   in Loop: Header=BB7_293 Depth=1
	s_mov_b32 s17, 0
	s_mov_b64 s[4:5], s[6:7]
	s_cbranch_execnz .LBB7_295
.LBB7_304:                              ;   in Loop: Header=BB7_293 Depth=1
	global_load_dwordx2 v[11:12], v6, s[6:7]
	s_add_i32 s17, s10, -8
	s_add_u32 s4, s6, 8
	s_addc_u32 s5, s7, 0
	s_cmp_gt_u32 s17, 7
	s_cbranch_scc0 .LBB7_296
.LBB7_305:                              ;   in Loop: Header=BB7_293 Depth=1
                                        ; implicit-def: $vgpr13_vgpr14
                                        ; implicit-def: $sgpr18
.LBB7_306:                              ;   in Loop: Header=BB7_293 Depth=1
	global_load_dwordx2 v[13:14], v6, s[4:5]
	s_add_i32 s18, s17, -8
	s_add_u32 s4, s4, 8
	s_addc_u32 s5, s5, 0
.LBB7_307:                              ;   in Loop: Header=BB7_293 Depth=1
	s_cmp_gt_u32 s18, 7
	s_cbranch_scc1 .LBB7_312
; %bb.308:                              ;   in Loop: Header=BB7_293 Depth=1
	v_mov_b32_e32 v15, 0
	v_mov_b32_e32 v16, 0
	s_cmp_eq_u32 s18, 0
	s_cbranch_scc1 .LBB7_311
; %bb.309:                              ;   in Loop: Header=BB7_293 Depth=1
	s_mov_b64 s[12:13], 0
	s_mov_b64 s[14:15], 0
.LBB7_310:                              ;   Parent Loop BB7_293 Depth=1
                                        ; =>  This Inner Loop Header: Depth=2
	s_add_u32 s20, s4, s14
	s_addc_u32 s21, s5, s15
	s_add_u32 s14, s14, 1
	global_load_ubyte v4, v6, s[20:21]
	s_addc_u32 s15, s15, 0
	s_waitcnt vmcnt(0)
	v_and_b32_e32 v5, 0xffff, v4
	v_lshlrev_b64 v[4:5], s12, v[5:6]
	s_add_u32 s12, s12, 8
	s_addc_u32 s13, s13, 0
	s_cmp_lg_u32 s18, s14
	v_or_b32_e32 v15, v4, v15
	v_or_b32_e32 v16, v5, v16
	s_cbranch_scc1 .LBB7_310
.LBB7_311:                              ;   in Loop: Header=BB7_293 Depth=1
	s_mov_b32 s17, 0
	s_cbranch_execz .LBB7_313
	s_branch .LBB7_314
.LBB7_312:                              ;   in Loop: Header=BB7_293 Depth=1
                                        ; implicit-def: $sgpr17
.LBB7_313:                              ;   in Loop: Header=BB7_293 Depth=1
	global_load_dwordx2 v[15:16], v6, s[4:5]
	s_add_i32 s17, s18, -8
	s_add_u32 s4, s4, 8
	s_addc_u32 s5, s5, 0
.LBB7_314:                              ;   in Loop: Header=BB7_293 Depth=1
	s_cmp_gt_u32 s17, 7
	s_cbranch_scc1 .LBB7_319
; %bb.315:                              ;   in Loop: Header=BB7_293 Depth=1
	v_mov_b32_e32 v17, 0
	v_mov_b32_e32 v18, 0
	s_cmp_eq_u32 s17, 0
	s_cbranch_scc1 .LBB7_318
; %bb.316:                              ;   in Loop: Header=BB7_293 Depth=1
	s_mov_b64 s[12:13], 0
	s_mov_b64 s[14:15], 0
.LBB7_317:                              ;   Parent Loop BB7_293 Depth=1
                                        ; =>  This Inner Loop Header: Depth=2
	s_add_u32 s18, s4, s14
	s_addc_u32 s19, s5, s15
	s_add_u32 s14, s14, 1
	global_load_ubyte v4, v6, s[18:19]
	s_addc_u32 s15, s15, 0
	s_waitcnt vmcnt(0)
	v_and_b32_e32 v5, 0xffff, v4
	v_lshlrev_b64 v[4:5], s12, v[5:6]
	s_add_u32 s12, s12, 8
	s_addc_u32 s13, s13, 0
	s_cmp_lg_u32 s17, s14
	v_or_b32_e32 v17, v4, v17
	v_or_b32_e32 v18, v5, v18
	s_cbranch_scc1 .LBB7_317
.LBB7_318:                              ;   in Loop: Header=BB7_293 Depth=1
	s_mov_b32 s18, 0
	s_cbranch_execz .LBB7_320
	s_branch .LBB7_321
.LBB7_319:                              ;   in Loop: Header=BB7_293 Depth=1
                                        ; implicit-def: $vgpr17_vgpr18
                                        ; implicit-def: $sgpr18
.LBB7_320:                              ;   in Loop: Header=BB7_293 Depth=1
	global_load_dwordx2 v[17:18], v6, s[4:5]
	s_add_i32 s18, s17, -8
	s_add_u32 s4, s4, 8
	s_addc_u32 s5, s5, 0
.LBB7_321:                              ;   in Loop: Header=BB7_293 Depth=1
	s_cmp_gt_u32 s18, 7
	s_cbranch_scc1 .LBB7_326
; %bb.322:                              ;   in Loop: Header=BB7_293 Depth=1
	v_mov_b32_e32 v19, 0
	v_mov_b32_e32 v20, 0
	s_cmp_eq_u32 s18, 0
	s_cbranch_scc1 .LBB7_325
; %bb.323:                              ;   in Loop: Header=BB7_293 Depth=1
	s_mov_b64 s[12:13], 0
	s_mov_b64 s[14:15], 0
.LBB7_324:                              ;   Parent Loop BB7_293 Depth=1
                                        ; =>  This Inner Loop Header: Depth=2
	s_add_u32 s20, s4, s14
	s_addc_u32 s21, s5, s15
	s_add_u32 s14, s14, 1
	global_load_ubyte v4, v6, s[20:21]
	s_addc_u32 s15, s15, 0
	s_waitcnt vmcnt(0)
	v_and_b32_e32 v5, 0xffff, v4
	v_lshlrev_b64 v[4:5], s12, v[5:6]
	s_add_u32 s12, s12, 8
	s_addc_u32 s13, s13, 0
	s_cmp_lg_u32 s18, s14
	v_or_b32_e32 v19, v4, v19
	v_or_b32_e32 v20, v5, v20
	s_cbranch_scc1 .LBB7_324
.LBB7_325:                              ;   in Loop: Header=BB7_293 Depth=1
	s_mov_b32 s17, 0
	s_cbranch_execz .LBB7_327
	s_branch .LBB7_328
.LBB7_326:                              ;   in Loop: Header=BB7_293 Depth=1
                                        ; implicit-def: $sgpr17
.LBB7_327:                              ;   in Loop: Header=BB7_293 Depth=1
	global_load_dwordx2 v[19:20], v6, s[4:5]
	s_add_i32 s17, s18, -8
	s_add_u32 s4, s4, 8
	s_addc_u32 s5, s5, 0
.LBB7_328:                              ;   in Loop: Header=BB7_293 Depth=1
	s_cmp_gt_u32 s17, 7
	s_cbranch_scc1 .LBB7_333
; %bb.329:                              ;   in Loop: Header=BB7_293 Depth=1
	v_mov_b32_e32 v21, 0
	v_mov_b32_e32 v22, 0
	s_cmp_eq_u32 s17, 0
	s_cbranch_scc1 .LBB7_332
; %bb.330:                              ;   in Loop: Header=BB7_293 Depth=1
	s_mov_b64 s[12:13], 0
	s_mov_b64 s[14:15], 0
.LBB7_331:                              ;   Parent Loop BB7_293 Depth=1
                                        ; =>  This Inner Loop Header: Depth=2
	s_add_u32 s18, s4, s14
	s_addc_u32 s19, s5, s15
	s_add_u32 s14, s14, 1
	global_load_ubyte v4, v6, s[18:19]
	s_addc_u32 s15, s15, 0
	s_waitcnt vmcnt(0)
	v_and_b32_e32 v5, 0xffff, v4
	v_lshlrev_b64 v[4:5], s12, v[5:6]
	s_add_u32 s12, s12, 8
	s_addc_u32 s13, s13, 0
	s_cmp_lg_u32 s17, s14
	v_or_b32_e32 v21, v4, v21
	v_or_b32_e32 v22, v5, v22
	s_cbranch_scc1 .LBB7_331
.LBB7_332:                              ;   in Loop: Header=BB7_293 Depth=1
	s_mov_b32 s18, 0
	s_cbranch_execz .LBB7_334
	s_branch .LBB7_335
.LBB7_333:                              ;   in Loop: Header=BB7_293 Depth=1
                                        ; implicit-def: $vgpr21_vgpr22
                                        ; implicit-def: $sgpr18
.LBB7_334:                              ;   in Loop: Header=BB7_293 Depth=1
	global_load_dwordx2 v[21:22], v6, s[4:5]
	s_add_i32 s18, s17, -8
	s_add_u32 s4, s4, 8
	s_addc_u32 s5, s5, 0
.LBB7_335:                              ;   in Loop: Header=BB7_293 Depth=1
	s_cmp_gt_u32 s18, 7
	s_cbranch_scc1 .LBB7_340
; %bb.336:                              ;   in Loop: Header=BB7_293 Depth=1
	v_mov_b32_e32 v23, 0
	v_mov_b32_e32 v24, 0
	s_cmp_eq_u32 s18, 0
	s_cbranch_scc1 .LBB7_339
; %bb.337:                              ;   in Loop: Header=BB7_293 Depth=1
	s_mov_b64 s[12:13], 0
	s_mov_b64 s[14:15], s[4:5]
.LBB7_338:                              ;   Parent Loop BB7_293 Depth=1
                                        ; =>  This Inner Loop Header: Depth=2
	global_load_ubyte v4, v6, s[14:15]
	s_add_i32 s18, s18, -1
	s_waitcnt vmcnt(0)
	v_and_b32_e32 v5, 0xffff, v4
	v_lshlrev_b64 v[4:5], s12, v[5:6]
	s_add_u32 s12, s12, 8
	s_addc_u32 s13, s13, 0
	s_add_u32 s14, s14, 1
	s_addc_u32 s15, s15, 0
	s_cmp_lg_u32 s18, 0
	v_or_b32_e32 v23, v4, v23
	v_or_b32_e32 v24, v5, v24
	s_cbranch_scc1 .LBB7_338
.LBB7_339:                              ;   in Loop: Header=BB7_293 Depth=1
	s_cbranch_execz .LBB7_341
	s_branch .LBB7_342
.LBB7_340:                              ;   in Loop: Header=BB7_293 Depth=1
.LBB7_341:                              ;   in Loop: Header=BB7_293 Depth=1
	global_load_dwordx2 v[23:24], v6, s[4:5]
.LBB7_342:                              ;   in Loop: Header=BB7_293 Depth=1
	v_readfirstlane_b32 s4, v38
	s_waitcnt vmcnt(0)
	v_mov_b32_e32 v4, 0
	v_mov_b32_e32 v5, 0
	v_cmp_eq_u32_e64 s4, s4, v38
	s_and_saveexec_b32 s5, s4
	s_cbranch_execz .LBB7_348
; %bb.343:                              ;   in Loop: Header=BB7_293 Depth=1
	global_load_dwordx2 v[27:28], v6, s[26:27] offset:24 glc dlc
	s_waitcnt vmcnt(0)
	buffer_gl1_inv
	buffer_gl0_inv
	s_clause 0x1
	global_load_dwordx2 v[4:5], v6, s[26:27] offset:40
	global_load_dwordx2 v[9:10], v6, s[26:27]
	s_mov_b32 s12, exec_lo
	s_waitcnt vmcnt(1)
	v_and_b32_e32 v5, v5, v28
	v_and_b32_e32 v4, v4, v27
	v_mul_lo_u32 v5, v5, 24
	v_mul_hi_u32 v25, v4, 24
	v_mul_lo_u32 v4, v4, 24
	v_add_nc_u32_e32 v5, v25, v5
	s_waitcnt vmcnt(0)
	v_add_co_u32 v4, vcc_lo, v9, v4
	v_add_co_ci_u32_e32 v5, vcc_lo, v10, v5, vcc_lo
	global_load_dwordx2 v[25:26], v[4:5], off glc dlc
	s_waitcnt vmcnt(0)
	global_atomic_cmpswap_x2 v[4:5], v6, v[25:28], s[26:27] offset:24 glc
	s_waitcnt vmcnt(0)
	buffer_gl1_inv
	buffer_gl0_inv
	v_cmpx_ne_u64_e64 v[4:5], v[27:28]
	s_cbranch_execz .LBB7_347
; %bb.344:                              ;   in Loop: Header=BB7_293 Depth=1
	s_mov_b32 s13, 0
	.p2align	6
.LBB7_345:                              ;   Parent Loop BB7_293 Depth=1
                                        ; =>  This Inner Loop Header: Depth=2
	s_sleep 1
	s_clause 0x1
	global_load_dwordx2 v[9:10], v6, s[26:27] offset:40
	global_load_dwordx2 v[25:26], v6, s[26:27]
	v_mov_b32_e32 v28, v5
	v_mov_b32_e32 v27, v4
	s_waitcnt vmcnt(1)
	v_and_b32_e32 v4, v9, v27
	v_and_b32_e32 v9, v10, v28
	s_waitcnt vmcnt(0)
	v_mad_u64_u32 v[4:5], null, v4, 24, v[25:26]
	v_mad_u64_u32 v[9:10], null, v9, 24, v[5:6]
	v_mov_b32_e32 v5, v9
	global_load_dwordx2 v[25:26], v[4:5], off glc dlc
	s_waitcnt vmcnt(0)
	global_atomic_cmpswap_x2 v[4:5], v6, v[25:28], s[26:27] offset:24 glc
	s_waitcnt vmcnt(0)
	buffer_gl1_inv
	buffer_gl0_inv
	v_cmp_eq_u64_e32 vcc_lo, v[4:5], v[27:28]
	s_or_b32 s13, vcc_lo, s13
	s_andn2_b32 exec_lo, exec_lo, s13
	s_cbranch_execnz .LBB7_345
; %bb.346:                              ;   in Loop: Header=BB7_293 Depth=1
	s_or_b32 exec_lo, exec_lo, s13
.LBB7_347:                              ;   in Loop: Header=BB7_293 Depth=1
	s_or_b32 exec_lo, exec_lo, s12
.LBB7_348:                              ;   in Loop: Header=BB7_293 Depth=1
	s_or_b32 exec_lo, exec_lo, s5
	s_clause 0x1
	global_load_dwordx2 v[9:10], v6, s[26:27] offset:40
	global_load_dwordx4 v[25:28], v6, s[26:27]
	v_readfirstlane_b32 s12, v4
	v_readfirstlane_b32 s13, v5
	s_mov_b32 s5, exec_lo
	s_waitcnt vmcnt(1)
	v_readfirstlane_b32 s14, v9
	v_readfirstlane_b32 s15, v10
	s_and_b64 s[14:15], s[12:13], s[14:15]
	s_mul_i32 s17, s15, 24
	s_mul_hi_u32 s18, s14, 24
	s_mul_i32 s19, s14, 24
	s_add_i32 s18, s18, s17
	s_waitcnt vmcnt(0)
	v_add_co_u32 v29, vcc_lo, v25, s19
	v_add_co_ci_u32_e32 v30, vcc_lo, s18, v26, vcc_lo
	s_and_saveexec_b32 s17, s4
	s_cbranch_execz .LBB7_350
; %bb.349:                              ;   in Loop: Header=BB7_293 Depth=1
	v_mov_b32_e32 v5, s5
	global_store_dwordx4 v[29:30], v[5:8], off offset:8
.LBB7_350:                              ;   in Loop: Header=BB7_293 Depth=1
	s_or_b32 exec_lo, exec_lo, s17
	s_lshl_b64 s[14:15], s[14:15], 12
	v_cmp_gt_u64_e64 vcc_lo, s[8:9], 56
	v_or_b32_e32 v5, v2, v31
	v_add_co_u32 v27, s5, v27, s14
	v_add_co_ci_u32_e64 v28, s5, s15, v28, s5
	s_lshl_b32 s5, s10, 2
	v_or_b32_e32 v4, 0, v3
	v_cndmask_b32_e32 v2, v5, v2, vcc_lo
	s_add_i32 s5, s5, 28
	v_readfirstlane_b32 s14, v27
	s_and_b32 s5, s5, 0x1e0
	v_cndmask_b32_e32 v10, v4, v3, vcc_lo
	v_readfirstlane_b32 s15, v28
	v_and_or_b32 v9, 0xffffff1f, v2, s5
	global_store_dwordx4 v37, v[9:12], s[14:15]
	global_store_dwordx4 v37, v[13:16], s[14:15] offset:16
	global_store_dwordx4 v37, v[17:20], s[14:15] offset:32
	;; [unrolled: 1-line block ×3, first 2 shown]
	s_and_saveexec_b32 s5, s4
	s_cbranch_execz .LBB7_358
; %bb.351:                              ;   in Loop: Header=BB7_293 Depth=1
	s_clause 0x1
	global_load_dwordx2 v[13:14], v6, s[26:27] offset:32 glc dlc
	global_load_dwordx2 v[2:3], v6, s[26:27] offset:40
	v_mov_b32_e32 v11, s12
	v_mov_b32_e32 v12, s13
	s_waitcnt vmcnt(0)
	v_readfirstlane_b32 s14, v2
	v_readfirstlane_b32 s15, v3
	s_and_b64 s[14:15], s[14:15], s[12:13]
	s_mul_i32 s15, s15, 24
	s_mul_hi_u32 s17, s14, 24
	s_mul_i32 s14, s14, 24
	s_add_i32 s17, s17, s15
	v_add_co_u32 v9, vcc_lo, v25, s14
	v_add_co_ci_u32_e32 v10, vcc_lo, s17, v26, vcc_lo
	s_mov_b32 s14, exec_lo
	global_store_dwordx2 v[9:10], v[13:14], off
	s_waitcnt_vscnt null, 0x0
	global_atomic_cmpswap_x2 v[4:5], v6, v[11:14], s[26:27] offset:32 glc
	s_waitcnt vmcnt(0)
	v_cmpx_ne_u64_e64 v[4:5], v[13:14]
	s_cbranch_execz .LBB7_354
; %bb.352:                              ;   in Loop: Header=BB7_293 Depth=1
	s_mov_b32 s15, 0
.LBB7_353:                              ;   Parent Loop BB7_293 Depth=1
                                        ; =>  This Inner Loop Header: Depth=2
	v_mov_b32_e32 v2, s12
	v_mov_b32_e32 v3, s13
	s_sleep 1
	global_store_dwordx2 v[9:10], v[4:5], off
	s_waitcnt_vscnt null, 0x0
	global_atomic_cmpswap_x2 v[2:3], v6, v[2:5], s[26:27] offset:32 glc
	s_waitcnt vmcnt(0)
	v_cmp_eq_u64_e32 vcc_lo, v[2:3], v[4:5]
	v_mov_b32_e32 v5, v3
	v_mov_b32_e32 v4, v2
	s_or_b32 s15, vcc_lo, s15
	s_andn2_b32 exec_lo, exec_lo, s15
	s_cbranch_execnz .LBB7_353
.LBB7_354:                              ;   in Loop: Header=BB7_293 Depth=1
	s_or_b32 exec_lo, exec_lo, s14
	global_load_dwordx2 v[2:3], v6, s[26:27] offset:16
	s_mov_b32 s15, exec_lo
	s_mov_b32 s14, exec_lo
	v_mbcnt_lo_u32_b32 v4, s15, 0
	v_cmpx_eq_u32_e32 0, v4
	s_cbranch_execz .LBB7_356
; %bb.355:                              ;   in Loop: Header=BB7_293 Depth=1
	s_bcnt1_i32_b32 s15, s15
	v_mov_b32_e32 v5, s15
	s_waitcnt vmcnt(0)
	global_atomic_add_x2 v[2:3], v[5:6], off offset:8
.LBB7_356:                              ;   in Loop: Header=BB7_293 Depth=1
	s_or_b32 exec_lo, exec_lo, s14
	s_waitcnt vmcnt(0)
	global_load_dwordx2 v[9:10], v[2:3], off offset:16
	s_waitcnt vmcnt(0)
	v_cmp_eq_u64_e32 vcc_lo, 0, v[9:10]
	s_cbranch_vccnz .LBB7_358
; %bb.357:                              ;   in Loop: Header=BB7_293 Depth=1
	global_load_dword v5, v[2:3], off offset:24
	s_waitcnt vmcnt(0)
	v_and_b32_e32 v2, 0x7fffff, v5
	s_waitcnt_vscnt null, 0x0
	global_store_dwordx2 v[9:10], v[5:6], off
	v_readfirstlane_b32 m0, v2
	s_sendmsg sendmsg(MSG_INTERRUPT)
.LBB7_358:                              ;   in Loop: Header=BB7_293 Depth=1
	s_or_b32 exec_lo, exec_lo, s5
	v_add_co_u32 v2, vcc_lo, v27, v37
	v_add_co_ci_u32_e32 v3, vcc_lo, 0, v28, vcc_lo
	s_branch .LBB7_362
	.p2align	6
.LBB7_359:                              ;   in Loop: Header=BB7_362 Depth=2
	s_or_b32 exec_lo, exec_lo, s5
	v_readfirstlane_b32 s5, v4
	s_cmp_eq_u32 s5, 0
	s_cbranch_scc1 .LBB7_361
; %bb.360:                              ;   in Loop: Header=BB7_362 Depth=2
	s_sleep 1
	s_cbranch_execnz .LBB7_362
	s_branch .LBB7_364
	.p2align	6
.LBB7_361:                              ;   in Loop: Header=BB7_293 Depth=1
	s_branch .LBB7_364
.LBB7_362:                              ;   Parent Loop BB7_293 Depth=1
                                        ; =>  This Inner Loop Header: Depth=2
	v_mov_b32_e32 v4, 1
	s_and_saveexec_b32 s5, s4
	s_cbranch_execz .LBB7_359
; %bb.363:                              ;   in Loop: Header=BB7_362 Depth=2
	global_load_dword v4, v[29:30], off offset:20 glc dlc
	s_waitcnt vmcnt(0)
	buffer_gl1_inv
	buffer_gl0_inv
	v_and_b32_e32 v4, 1, v4
	s_branch .LBB7_359
.LBB7_364:                              ;   in Loop: Header=BB7_293 Depth=1
	global_load_dwordx4 v[2:5], v[2:3], off
	s_and_saveexec_b32 s5, s4
	s_cbranch_execz .LBB7_292
; %bb.365:                              ;   in Loop: Header=BB7_293 Depth=1
	s_clause 0x2
	global_load_dwordx2 v[4:5], v6, s[26:27] offset:40
	global_load_dwordx2 v[13:14], v6, s[26:27] offset:24 glc dlc
	global_load_dwordx2 v[11:12], v6, s[26:27]
	s_waitcnt vmcnt(2)
	v_add_co_u32 v15, vcc_lo, v4, 1
	v_add_co_ci_u32_e32 v16, vcc_lo, 0, v5, vcc_lo
	v_add_co_u32 v9, vcc_lo, v15, s12
	v_add_co_ci_u32_e32 v10, vcc_lo, s13, v16, vcc_lo
	v_cmp_eq_u64_e32 vcc_lo, 0, v[9:10]
	v_cndmask_b32_e32 v10, v10, v16, vcc_lo
	v_cndmask_b32_e32 v9, v9, v15, vcc_lo
	v_and_b32_e32 v5, v10, v5
	v_and_b32_e32 v4, v9, v4
	v_mul_lo_u32 v5, v5, 24
	v_mul_hi_u32 v15, v4, 24
	v_mul_lo_u32 v4, v4, 24
	v_add_nc_u32_e32 v5, v15, v5
	s_waitcnt vmcnt(0)
	v_add_co_u32 v4, vcc_lo, v11, v4
	v_mov_b32_e32 v11, v13
	v_add_co_ci_u32_e32 v5, vcc_lo, v12, v5, vcc_lo
	v_mov_b32_e32 v12, v14
	global_store_dwordx2 v[4:5], v[13:14], off
	s_waitcnt_vscnt null, 0x0
	global_atomic_cmpswap_x2 v[11:12], v6, v[9:12], s[26:27] offset:24 glc
	s_waitcnt vmcnt(0)
	v_cmp_ne_u64_e32 vcc_lo, v[11:12], v[13:14]
	s_and_b32 exec_lo, exec_lo, vcc_lo
	s_cbranch_execz .LBB7_292
; %bb.366:                              ;   in Loop: Header=BB7_293 Depth=1
	s_mov_b32 s4, 0
.LBB7_367:                              ;   Parent Loop BB7_293 Depth=1
                                        ; =>  This Inner Loop Header: Depth=2
	s_sleep 1
	global_store_dwordx2 v[4:5], v[11:12], off
	s_waitcnt_vscnt null, 0x0
	global_atomic_cmpswap_x2 v[13:14], v6, v[9:12], s[26:27] offset:24 glc
	s_waitcnt vmcnt(0)
	v_cmp_eq_u64_e32 vcc_lo, v[13:14], v[11:12]
	v_mov_b32_e32 v11, v13
	v_mov_b32_e32 v12, v14
	s_or_b32 s4, vcc_lo, s4
	s_andn2_b32 exec_lo, exec_lo, s4
	s_cbranch_execnz .LBB7_367
	s_branch .LBB7_292
.LBB7_368:
	s_mov_b32 s4, 0
	s_branch .LBB7_370
.LBB7_369:
	s_mov_b32 s4, -1
                                        ; implicit-def: $vgpr2_vgpr3
.LBB7_370:
	s_and_b32 vcc_lo, exec_lo, s4
	s_cbranch_vccz .LBB7_398
; %bb.371:
	v_readfirstlane_b32 s4, v38
	v_mov_b32_e32 v8, 0
	v_mov_b32_e32 v9, 0
	v_cmp_eq_u32_e64 s4, s4, v38
	s_and_saveexec_b32 s5, s4
	s_cbranch_execz .LBB7_377
; %bb.372:
	s_waitcnt vmcnt(0)
	v_mov_b32_e32 v2, 0
	s_mov_b32 s6, exec_lo
	global_load_dwordx2 v[5:6], v2, s[26:27] offset:24 glc dlc
	s_waitcnt vmcnt(0)
	buffer_gl1_inv
	buffer_gl0_inv
	s_clause 0x1
	global_load_dwordx2 v[3:4], v2, s[26:27] offset:40
	global_load_dwordx2 v[7:8], v2, s[26:27]
	s_waitcnt vmcnt(1)
	v_and_b32_e32 v4, v4, v6
	v_and_b32_e32 v3, v3, v5
	v_mul_lo_u32 v4, v4, 24
	v_mul_hi_u32 v9, v3, 24
	v_mul_lo_u32 v3, v3, 24
	v_add_nc_u32_e32 v4, v9, v4
	s_waitcnt vmcnt(0)
	v_add_co_u32 v3, vcc_lo, v7, v3
	v_add_co_ci_u32_e32 v4, vcc_lo, v8, v4, vcc_lo
	global_load_dwordx2 v[3:4], v[3:4], off glc dlc
	s_waitcnt vmcnt(0)
	global_atomic_cmpswap_x2 v[8:9], v2, v[3:6], s[26:27] offset:24 glc
	s_waitcnt vmcnt(0)
	buffer_gl1_inv
	buffer_gl0_inv
	v_cmpx_ne_u64_e64 v[8:9], v[5:6]
	s_cbranch_execz .LBB7_376
; %bb.373:
	s_mov_b32 s7, 0
.LBB7_374:                              ; =>This Inner Loop Header: Depth=1
	s_sleep 1
	s_clause 0x1
	global_load_dwordx2 v[3:4], v2, s[26:27] offset:40
	global_load_dwordx2 v[10:11], v2, s[26:27]
	v_mov_b32_e32 v5, v8
	v_mov_b32_e32 v6, v9
	s_waitcnt vmcnt(1)
	v_and_b32_e32 v3, v3, v5
	v_and_b32_e32 v4, v4, v6
	s_waitcnt vmcnt(0)
	v_mad_u64_u32 v[7:8], null, v3, 24, v[10:11]
	v_mov_b32_e32 v3, v8
	v_mad_u64_u32 v[3:4], null, v4, 24, v[3:4]
	v_mov_b32_e32 v8, v3
	global_load_dwordx2 v[3:4], v[7:8], off glc dlc
	s_waitcnt vmcnt(0)
	global_atomic_cmpswap_x2 v[8:9], v2, v[3:6], s[26:27] offset:24 glc
	s_waitcnt vmcnt(0)
	buffer_gl1_inv
	buffer_gl0_inv
	v_cmp_eq_u64_e32 vcc_lo, v[8:9], v[5:6]
	s_or_b32 s7, vcc_lo, s7
	s_andn2_b32 exec_lo, exec_lo, s7
	s_cbranch_execnz .LBB7_374
; %bb.375:
	s_or_b32 exec_lo, exec_lo, s7
.LBB7_376:
	s_or_b32 exec_lo, exec_lo, s6
.LBB7_377:
	s_or_b32 exec_lo, exec_lo, s5
	s_waitcnt vmcnt(0)
	v_mov_b32_e32 v2, 0
	v_readfirstlane_b32 s6, v8
	v_readfirstlane_b32 s7, v9
	s_mov_b32 s5, exec_lo
	s_clause 0x1
	global_load_dwordx2 v[10:11], v2, s[26:27] offset:40
	global_load_dwordx4 v[4:7], v2, s[26:27]
	s_waitcnt vmcnt(1)
	v_readfirstlane_b32 s8, v10
	v_readfirstlane_b32 s9, v11
	s_and_b64 s[8:9], s[6:7], s[8:9]
	s_mul_i32 s10, s9, 24
	s_mul_hi_u32 s11, s8, 24
	s_mul_i32 s12, s8, 24
	s_add_i32 s11, s11, s10
	s_waitcnt vmcnt(0)
	v_add_co_u32 v8, vcc_lo, v4, s12
	v_add_co_ci_u32_e32 v9, vcc_lo, s11, v5, vcc_lo
	s_and_saveexec_b32 s10, s4
	s_cbranch_execz .LBB7_379
; %bb.378:
	v_mov_b32_e32 v10, s5
	v_mov_b32_e32 v11, v2
	;; [unrolled: 1-line block ×4, first 2 shown]
	global_store_dwordx4 v[8:9], v[10:13], off offset:8
.LBB7_379:
	s_or_b32 exec_lo, exec_lo, s10
	s_lshl_b64 s[8:9], s[8:9], 12
	v_and_or_b32 v0, 0xffffff1f, v0, 32
	v_add_co_u32 v6, vcc_lo, v6, s8
	v_add_co_ci_u32_e32 v7, vcc_lo, s9, v7, vcc_lo
	s_mov_b32 s8, 0
	v_readfirstlane_b32 s12, v6
	s_mov_b32 s11, s8
	v_add_co_u32 v6, vcc_lo, v6, v37
	s_mov_b32 s9, s8
	s_mov_b32 s10, s8
	v_mov_b32_e32 v3, v2
	v_readfirstlane_b32 s13, v7
	v_mov_b32_e32 v13, s11
	v_add_co_ci_u32_e32 v7, vcc_lo, 0, v7, vcc_lo
	v_mov_b32_e32 v12, s10
	v_mov_b32_e32 v11, s9
	;; [unrolled: 1-line block ×3, first 2 shown]
	global_store_dwordx4 v37, v[0:3], s[12:13]
	global_store_dwordx4 v37, v[10:13], s[12:13] offset:16
	global_store_dwordx4 v37, v[10:13], s[12:13] offset:32
	;; [unrolled: 1-line block ×3, first 2 shown]
	s_and_saveexec_b32 s5, s4
	s_cbranch_execz .LBB7_387
; %bb.380:
	v_mov_b32_e32 v10, 0
	v_mov_b32_e32 v11, s6
	;; [unrolled: 1-line block ×3, first 2 shown]
	s_clause 0x1
	global_load_dwordx2 v[13:14], v10, s[26:27] offset:32 glc dlc
	global_load_dwordx2 v[0:1], v10, s[26:27] offset:40
	s_waitcnt vmcnt(0)
	v_readfirstlane_b32 s8, v0
	v_readfirstlane_b32 s9, v1
	s_and_b64 s[8:9], s[8:9], s[6:7]
	s_mul_i32 s9, s9, 24
	s_mul_hi_u32 s10, s8, 24
	s_mul_i32 s8, s8, 24
	s_add_i32 s10, s10, s9
	v_add_co_u32 v4, vcc_lo, v4, s8
	v_add_co_ci_u32_e32 v5, vcc_lo, s10, v5, vcc_lo
	s_mov_b32 s8, exec_lo
	global_store_dwordx2 v[4:5], v[13:14], off
	s_waitcnt_vscnt null, 0x0
	global_atomic_cmpswap_x2 v[2:3], v10, v[11:14], s[26:27] offset:32 glc
	s_waitcnt vmcnt(0)
	v_cmpx_ne_u64_e64 v[2:3], v[13:14]
	s_cbranch_execz .LBB7_383
; %bb.381:
	s_mov_b32 s9, 0
.LBB7_382:                              ; =>This Inner Loop Header: Depth=1
	v_mov_b32_e32 v0, s6
	v_mov_b32_e32 v1, s7
	s_sleep 1
	global_store_dwordx2 v[4:5], v[2:3], off
	s_waitcnt_vscnt null, 0x0
	global_atomic_cmpswap_x2 v[0:1], v10, v[0:3], s[26:27] offset:32 glc
	s_waitcnt vmcnt(0)
	v_cmp_eq_u64_e32 vcc_lo, v[0:1], v[2:3]
	v_mov_b32_e32 v3, v1
	v_mov_b32_e32 v2, v0
	s_or_b32 s9, vcc_lo, s9
	s_andn2_b32 exec_lo, exec_lo, s9
	s_cbranch_execnz .LBB7_382
.LBB7_383:
	s_or_b32 exec_lo, exec_lo, s8
	v_mov_b32_e32 v3, 0
	s_mov_b32 s9, exec_lo
	s_mov_b32 s8, exec_lo
	v_mbcnt_lo_u32_b32 v2, s9, 0
	global_load_dwordx2 v[0:1], v3, s[26:27] offset:16
	v_cmpx_eq_u32_e32 0, v2
	s_cbranch_execz .LBB7_385
; %bb.384:
	s_bcnt1_i32_b32 s9, s9
	v_mov_b32_e32 v2, s9
	s_waitcnt vmcnt(0)
	global_atomic_add_x2 v[0:1], v[2:3], off offset:8
.LBB7_385:
	s_or_b32 exec_lo, exec_lo, s8
	s_waitcnt vmcnt(0)
	global_load_dwordx2 v[2:3], v[0:1], off offset:16
	s_waitcnt vmcnt(0)
	v_cmp_eq_u64_e32 vcc_lo, 0, v[2:3]
	s_cbranch_vccnz .LBB7_387
; %bb.386:
	global_load_dword v0, v[0:1], off offset:24
	v_mov_b32_e32 v1, 0
	s_waitcnt vmcnt(0)
	v_and_b32_e32 v4, 0x7fffff, v0
	s_waitcnt_vscnt null, 0x0
	global_store_dwordx2 v[2:3], v[0:1], off
	v_readfirstlane_b32 m0, v4
	s_sendmsg sendmsg(MSG_INTERRUPT)
.LBB7_387:
	s_or_b32 exec_lo, exec_lo, s5
	s_branch .LBB7_391
	.p2align	6
.LBB7_388:                              ;   in Loop: Header=BB7_391 Depth=1
	s_or_b32 exec_lo, exec_lo, s5
	v_readfirstlane_b32 s5, v0
	s_cmp_eq_u32 s5, 0
	s_cbranch_scc1 .LBB7_390
; %bb.389:                              ;   in Loop: Header=BB7_391 Depth=1
	s_sleep 1
	s_cbranch_execnz .LBB7_391
	s_branch .LBB7_393
.LBB7_390:
	s_branch .LBB7_393
.LBB7_391:                              ; =>This Inner Loop Header: Depth=1
	v_mov_b32_e32 v0, 1
	s_and_saveexec_b32 s5, s4
	s_cbranch_execz .LBB7_388
; %bb.392:                              ;   in Loop: Header=BB7_391 Depth=1
	global_load_dword v0, v[8:9], off offset:20 glc dlc
	s_waitcnt vmcnt(0)
	buffer_gl1_inv
	buffer_gl0_inv
	v_and_b32_e32 v0, 1, v0
	s_branch .LBB7_388
.LBB7_393:
	global_load_dwordx2 v[2:3], v[6:7], off
	s_and_saveexec_b32 s5, s4
	s_cbranch_execz .LBB7_397
; %bb.394:
	v_mov_b32_e32 v8, 0
	s_clause 0x2
	global_load_dwordx2 v[0:1], v8, s[26:27] offset:40
	global_load_dwordx2 v[9:10], v8, s[26:27] offset:24 glc dlc
	global_load_dwordx2 v[6:7], v8, s[26:27]
	s_waitcnt vmcnt(2)
	v_add_co_u32 v11, vcc_lo, v0, 1
	v_add_co_ci_u32_e32 v12, vcc_lo, 0, v1, vcc_lo
	v_add_co_u32 v4, vcc_lo, v11, s6
	v_add_co_ci_u32_e32 v5, vcc_lo, s7, v12, vcc_lo
	v_cmp_eq_u64_e32 vcc_lo, 0, v[4:5]
	v_cndmask_b32_e32 v5, v5, v12, vcc_lo
	v_cndmask_b32_e32 v4, v4, v11, vcc_lo
	v_and_b32_e32 v1, v5, v1
	v_and_b32_e32 v0, v4, v0
	v_mul_lo_u32 v1, v1, 24
	v_mul_hi_u32 v11, v0, 24
	v_mul_lo_u32 v0, v0, 24
	v_add_nc_u32_e32 v1, v11, v1
	s_waitcnt vmcnt(0)
	v_add_co_u32 v0, vcc_lo, v6, v0
	v_mov_b32_e32 v6, v9
	v_add_co_ci_u32_e32 v1, vcc_lo, v7, v1, vcc_lo
	v_mov_b32_e32 v7, v10
	global_store_dwordx2 v[0:1], v[9:10], off
	s_waitcnt_vscnt null, 0x0
	global_atomic_cmpswap_x2 v[6:7], v8, v[4:7], s[26:27] offset:24 glc
	s_waitcnt vmcnt(0)
	v_cmp_ne_u64_e32 vcc_lo, v[6:7], v[9:10]
	s_and_b32 exec_lo, exec_lo, vcc_lo
	s_cbranch_execz .LBB7_397
; %bb.395:
	s_mov_b32 s4, 0
.LBB7_396:                              ; =>This Inner Loop Header: Depth=1
	s_sleep 1
	global_store_dwordx2 v[0:1], v[6:7], off
	s_waitcnt_vscnt null, 0x0
	global_atomic_cmpswap_x2 v[9:10], v8, v[4:7], s[26:27] offset:24 glc
	s_waitcnt vmcnt(0)
	v_cmp_eq_u64_e32 vcc_lo, v[9:10], v[6:7]
	v_mov_b32_e32 v6, v9
	v_mov_b32_e32 v7, v10
	s_or_b32 s4, vcc_lo, s4
	s_andn2_b32 exec_lo, exec_lo, s4
	s_cbranch_execnz .LBB7_396
.LBB7_397:
	s_or_b32 exec_lo, exec_lo, s5
.LBB7_398:
	v_readfirstlane_b32 s4, v38
	s_waitcnt vmcnt(0)
	v_mov_b32_e32 v0, 0
	v_mov_b32_e32 v1, 0
	v_cmp_eq_u32_e64 s4, s4, v38
	s_and_saveexec_b32 s5, s4
	s_cbranch_execz .LBB7_404
; %bb.399:
	v_mov_b32_e32 v4, 0
	s_mov_b32 s6, exec_lo
	global_load_dwordx2 v[7:8], v4, s[26:27] offset:24 glc dlc
	s_waitcnt vmcnt(0)
	buffer_gl1_inv
	buffer_gl0_inv
	s_clause 0x1
	global_load_dwordx2 v[0:1], v4, s[26:27] offset:40
	global_load_dwordx2 v[5:6], v4, s[26:27]
	s_waitcnt vmcnt(1)
	v_and_b32_e32 v1, v1, v8
	v_and_b32_e32 v0, v0, v7
	v_mul_lo_u32 v1, v1, 24
	v_mul_hi_u32 v9, v0, 24
	v_mul_lo_u32 v0, v0, 24
	v_add_nc_u32_e32 v1, v9, v1
	s_waitcnt vmcnt(0)
	v_add_co_u32 v0, vcc_lo, v5, v0
	v_add_co_ci_u32_e32 v1, vcc_lo, v6, v1, vcc_lo
	global_load_dwordx2 v[5:6], v[0:1], off glc dlc
	s_waitcnt vmcnt(0)
	global_atomic_cmpswap_x2 v[0:1], v4, v[5:8], s[26:27] offset:24 glc
	s_waitcnt vmcnt(0)
	buffer_gl1_inv
	buffer_gl0_inv
	v_cmpx_ne_u64_e64 v[0:1], v[7:8]
	s_cbranch_execz .LBB7_403
; %bb.400:
	s_mov_b32 s7, 0
.LBB7_401:                              ; =>This Inner Loop Header: Depth=1
	s_sleep 1
	s_clause 0x1
	global_load_dwordx2 v[5:6], v4, s[26:27] offset:40
	global_load_dwordx2 v[9:10], v4, s[26:27]
	v_mov_b32_e32 v8, v1
	v_mov_b32_e32 v7, v0
	s_waitcnt vmcnt(1)
	v_and_b32_e32 v0, v5, v7
	v_and_b32_e32 v5, v6, v8
	s_waitcnt vmcnt(0)
	v_mad_u64_u32 v[0:1], null, v0, 24, v[9:10]
	v_mad_u64_u32 v[5:6], null, v5, 24, v[1:2]
	v_mov_b32_e32 v1, v5
	global_load_dwordx2 v[5:6], v[0:1], off glc dlc
	s_waitcnt vmcnt(0)
	global_atomic_cmpswap_x2 v[0:1], v4, v[5:8], s[26:27] offset:24 glc
	s_waitcnt vmcnt(0)
	buffer_gl1_inv
	buffer_gl0_inv
	v_cmp_eq_u64_e32 vcc_lo, v[0:1], v[7:8]
	s_or_b32 s7, vcc_lo, s7
	s_andn2_b32 exec_lo, exec_lo, s7
	s_cbranch_execnz .LBB7_401
; %bb.402:
	s_or_b32 exec_lo, exec_lo, s7
.LBB7_403:
	s_or_b32 exec_lo, exec_lo, s6
.LBB7_404:
	s_or_b32 exec_lo, exec_lo, s5
	v_mov_b32_e32 v5, 0
	v_readfirstlane_b32 s6, v0
	v_readfirstlane_b32 s7, v1
	s_mov_b32 s5, exec_lo
	s_clause 0x1
	global_load_dwordx2 v[10:11], v5, s[26:27] offset:40
	global_load_dwordx4 v[6:9], v5, s[26:27]
	s_waitcnt vmcnt(1)
	v_readfirstlane_b32 s8, v10
	v_readfirstlane_b32 s9, v11
	s_and_b64 s[8:9], s[6:7], s[8:9]
	s_mul_i32 s10, s9, 24
	s_mul_hi_u32 s11, s8, 24
	s_mul_i32 s12, s8, 24
	s_add_i32 s11, s11, s10
	s_waitcnt vmcnt(0)
	v_add_co_u32 v10, vcc_lo, v6, s12
	v_add_co_ci_u32_e32 v11, vcc_lo, s11, v7, vcc_lo
	s_and_saveexec_b32 s10, s4
	s_cbranch_execz .LBB7_406
; %bb.405:
	v_mov_b32_e32 v4, s5
	v_mov_b32_e32 v13, v5
	;; [unrolled: 1-line block ×5, first 2 shown]
	global_store_dwordx4 v[10:11], v[12:15], off offset:8
.LBB7_406:
	s_or_b32 exec_lo, exec_lo, s10
	s_lshl_b64 s[8:9], s[8:9], 12
	v_and_or_b32 v2, 0xffffff1d, v2, 34
	v_add_co_u32 v0, vcc_lo, v8, s8
	v_add_co_ci_u32_e32 v1, vcc_lo, s9, v9, vcc_lo
	s_mov_b32 s8, 0
	v_mov_b32_e32 v4, 10
	s_mov_b32 s11, s8
	s_mov_b32 s9, s8
	;; [unrolled: 1-line block ×3, first 2 shown]
	v_readfirstlane_b32 s12, v0
	v_readfirstlane_b32 s13, v1
	v_mov_b32_e32 v15, s11
	v_mov_b32_e32 v14, s10
	;; [unrolled: 1-line block ×4, first 2 shown]
	global_store_dwordx4 v37, v[2:5], s[12:13]
	global_store_dwordx4 v37, v[12:15], s[12:13] offset:16
	global_store_dwordx4 v37, v[12:15], s[12:13] offset:32
	;; [unrolled: 1-line block ×3, first 2 shown]
	s_and_saveexec_b32 s5, s4
	s_cbranch_execz .LBB7_414
; %bb.407:
	v_mov_b32_e32 v8, 0
	v_mov_b32_e32 v12, s6
	;; [unrolled: 1-line block ×3, first 2 shown]
	s_clause 0x1
	global_load_dwordx2 v[14:15], v8, s[26:27] offset:32 glc dlc
	global_load_dwordx2 v[0:1], v8, s[26:27] offset:40
	s_waitcnt vmcnt(0)
	v_readfirstlane_b32 s8, v0
	v_readfirstlane_b32 s9, v1
	s_and_b64 s[8:9], s[8:9], s[6:7]
	s_mul_i32 s9, s9, 24
	s_mul_hi_u32 s10, s8, 24
	s_mul_i32 s8, s8, 24
	s_add_i32 s10, s10, s9
	v_add_co_u32 v4, vcc_lo, v6, s8
	v_add_co_ci_u32_e32 v5, vcc_lo, s10, v7, vcc_lo
	s_mov_b32 s8, exec_lo
	global_store_dwordx2 v[4:5], v[14:15], off
	s_waitcnt_vscnt null, 0x0
	global_atomic_cmpswap_x2 v[2:3], v8, v[12:15], s[26:27] offset:32 glc
	s_waitcnt vmcnt(0)
	v_cmpx_ne_u64_e64 v[2:3], v[14:15]
	s_cbranch_execz .LBB7_410
; %bb.408:
	s_mov_b32 s9, 0
.LBB7_409:                              ; =>This Inner Loop Header: Depth=1
	v_mov_b32_e32 v0, s6
	v_mov_b32_e32 v1, s7
	s_sleep 1
	global_store_dwordx2 v[4:5], v[2:3], off
	s_waitcnt_vscnt null, 0x0
	global_atomic_cmpswap_x2 v[0:1], v8, v[0:3], s[26:27] offset:32 glc
	s_waitcnt vmcnt(0)
	v_cmp_eq_u64_e32 vcc_lo, v[0:1], v[2:3]
	v_mov_b32_e32 v3, v1
	v_mov_b32_e32 v2, v0
	s_or_b32 s9, vcc_lo, s9
	s_andn2_b32 exec_lo, exec_lo, s9
	s_cbranch_execnz .LBB7_409
.LBB7_410:
	s_or_b32 exec_lo, exec_lo, s8
	v_mov_b32_e32 v3, 0
	s_mov_b32 s9, exec_lo
	s_mov_b32 s8, exec_lo
	v_mbcnt_lo_u32_b32 v2, s9, 0
	global_load_dwordx2 v[0:1], v3, s[26:27] offset:16
	v_cmpx_eq_u32_e32 0, v2
	s_cbranch_execz .LBB7_412
; %bb.411:
	s_bcnt1_i32_b32 s9, s9
	v_mov_b32_e32 v2, s9
	s_waitcnt vmcnt(0)
	global_atomic_add_x2 v[0:1], v[2:3], off offset:8
.LBB7_412:
	s_or_b32 exec_lo, exec_lo, s8
	s_waitcnt vmcnt(0)
	global_load_dwordx2 v[2:3], v[0:1], off offset:16
	s_waitcnt vmcnt(0)
	v_cmp_eq_u64_e32 vcc_lo, 0, v[2:3]
	s_cbranch_vccnz .LBB7_414
; %bb.413:
	global_load_dword v0, v[0:1], off offset:24
	v_mov_b32_e32 v1, 0
	s_waitcnt vmcnt(0)
	v_and_b32_e32 v4, 0x7fffff, v0
	s_waitcnt_vscnt null, 0x0
	global_store_dwordx2 v[2:3], v[0:1], off
	v_readfirstlane_b32 m0, v4
	s_sendmsg sendmsg(MSG_INTERRUPT)
.LBB7_414:
	s_or_b32 exec_lo, exec_lo, s5
	s_branch .LBB7_418
	.p2align	6
.LBB7_415:                              ;   in Loop: Header=BB7_418 Depth=1
	s_or_b32 exec_lo, exec_lo, s5
	v_readfirstlane_b32 s5, v0
	s_cmp_eq_u32 s5, 0
	s_cbranch_scc1 .LBB7_417
; %bb.416:                              ;   in Loop: Header=BB7_418 Depth=1
	s_sleep 1
	s_cbranch_execnz .LBB7_418
	s_branch .LBB7_420
	.p2align	6
.LBB7_417:
	s_branch .LBB7_420
.LBB7_418:                              ; =>This Inner Loop Header: Depth=1
	v_mov_b32_e32 v0, 1
	s_and_saveexec_b32 s5, s4
	s_cbranch_execz .LBB7_415
; %bb.419:                              ;   in Loop: Header=BB7_418 Depth=1
	global_load_dword v0, v[10:11], off offset:20 glc dlc
	s_waitcnt vmcnt(0)
	buffer_gl1_inv
	buffer_gl0_inv
	v_and_b32_e32 v0, 1, v0
	s_branch .LBB7_415
.LBB7_420:
	s_and_saveexec_b32 s5, s4
	s_cbranch_execz .LBB7_424
; %bb.421:
	v_mov_b32_e32 v6, 0
	s_clause 0x2
	global_load_dwordx2 v[2:3], v6, s[26:27] offset:40
	global_load_dwordx2 v[7:8], v6, s[26:27] offset:24 glc dlc
	global_load_dwordx2 v[4:5], v6, s[26:27]
	s_waitcnt vmcnt(2)
	v_add_co_u32 v9, vcc_lo, v2, 1
	v_add_co_ci_u32_e32 v10, vcc_lo, 0, v3, vcc_lo
	v_add_co_u32 v0, vcc_lo, v9, s6
	v_add_co_ci_u32_e32 v1, vcc_lo, s7, v10, vcc_lo
	v_cmp_eq_u64_e32 vcc_lo, 0, v[0:1]
	v_cndmask_b32_e32 v1, v1, v10, vcc_lo
	v_cndmask_b32_e32 v0, v0, v9, vcc_lo
	v_and_b32_e32 v3, v1, v3
	v_and_b32_e32 v2, v0, v2
	v_mul_lo_u32 v3, v3, 24
	v_mul_hi_u32 v9, v2, 24
	v_mul_lo_u32 v2, v2, 24
	v_add_nc_u32_e32 v3, v9, v3
	s_waitcnt vmcnt(0)
	v_add_co_u32 v4, vcc_lo, v4, v2
	v_mov_b32_e32 v2, v7
	v_add_co_ci_u32_e32 v5, vcc_lo, v5, v3, vcc_lo
	v_mov_b32_e32 v3, v8
	global_store_dwordx2 v[4:5], v[7:8], off
	s_waitcnt_vscnt null, 0x0
	global_atomic_cmpswap_x2 v[2:3], v6, v[0:3], s[26:27] offset:24 glc
	s_waitcnt vmcnt(0)
	v_cmp_ne_u64_e32 vcc_lo, v[2:3], v[7:8]
	s_and_b32 exec_lo, exec_lo, vcc_lo
	s_cbranch_execz .LBB7_424
; %bb.422:
	s_mov_b32 s4, 0
.LBB7_423:                              ; =>This Inner Loop Header: Depth=1
	s_sleep 1
	global_store_dwordx2 v[4:5], v[2:3], off
	s_waitcnt_vscnt null, 0x0
	global_atomic_cmpswap_x2 v[7:8], v6, v[0:3], s[26:27] offset:24 glc
	s_waitcnt vmcnt(0)
	v_cmp_eq_u64_e32 vcc_lo, v[7:8], v[2:3]
	v_mov_b32_e32 v2, v7
	v_mov_b32_e32 v3, v8
	s_or_b32 s4, vcc_lo, s4
	s_andn2_b32 exec_lo, exec_lo, s4
	s_cbranch_execnz .LBB7_423
.LBB7_424:
	s_or_b32 exec_lo, exec_lo, s5
	v_readfirstlane_b32 s4, v38
	v_mov_b32_e32 v6, 0
	v_mov_b32_e32 v7, 0
	v_cmp_eq_u32_e64 s4, s4, v38
	s_and_saveexec_b32 s5, s4
	s_cbranch_execz .LBB7_430
; %bb.425:
	v_mov_b32_e32 v0, 0
	s_mov_b32 s6, exec_lo
	global_load_dwordx2 v[3:4], v0, s[26:27] offset:24 glc dlc
	s_waitcnt vmcnt(0)
	buffer_gl1_inv
	buffer_gl0_inv
	s_clause 0x1
	global_load_dwordx2 v[1:2], v0, s[26:27] offset:40
	global_load_dwordx2 v[5:6], v0, s[26:27]
	s_waitcnt vmcnt(1)
	v_and_b32_e32 v2, v2, v4
	v_and_b32_e32 v1, v1, v3
	v_mul_lo_u32 v2, v2, 24
	v_mul_hi_u32 v7, v1, 24
	v_mul_lo_u32 v1, v1, 24
	v_add_nc_u32_e32 v2, v7, v2
	s_waitcnt vmcnt(0)
	v_add_co_u32 v1, vcc_lo, v5, v1
	v_add_co_ci_u32_e32 v2, vcc_lo, v6, v2, vcc_lo
	global_load_dwordx2 v[1:2], v[1:2], off glc dlc
	s_waitcnt vmcnt(0)
	global_atomic_cmpswap_x2 v[6:7], v0, v[1:4], s[26:27] offset:24 glc
	s_waitcnt vmcnt(0)
	buffer_gl1_inv
	buffer_gl0_inv
	v_cmpx_ne_u64_e64 v[6:7], v[3:4]
	s_cbranch_execz .LBB7_429
; %bb.426:
	s_mov_b32 s7, 0
.LBB7_427:                              ; =>This Inner Loop Header: Depth=1
	s_sleep 1
	s_clause 0x1
	global_load_dwordx2 v[1:2], v0, s[26:27] offset:40
	global_load_dwordx2 v[8:9], v0, s[26:27]
	v_mov_b32_e32 v3, v6
	v_mov_b32_e32 v4, v7
	s_waitcnt vmcnt(1)
	v_and_b32_e32 v1, v1, v3
	v_and_b32_e32 v2, v2, v4
	s_waitcnt vmcnt(0)
	v_mad_u64_u32 v[5:6], null, v1, 24, v[8:9]
	v_mov_b32_e32 v1, v6
	v_mad_u64_u32 v[1:2], null, v2, 24, v[1:2]
	v_mov_b32_e32 v6, v1
	global_load_dwordx2 v[1:2], v[5:6], off glc dlc
	s_waitcnt vmcnt(0)
	global_atomic_cmpswap_x2 v[6:7], v0, v[1:4], s[26:27] offset:24 glc
	s_waitcnt vmcnt(0)
	buffer_gl1_inv
	buffer_gl0_inv
	v_cmp_eq_u64_e32 vcc_lo, v[6:7], v[3:4]
	s_or_b32 s7, vcc_lo, s7
	s_andn2_b32 exec_lo, exec_lo, s7
	s_cbranch_execnz .LBB7_427
; %bb.428:
	s_or_b32 exec_lo, exec_lo, s7
.LBB7_429:
	s_or_b32 exec_lo, exec_lo, s6
.LBB7_430:
	s_or_b32 exec_lo, exec_lo, s5
	v_mov_b32_e32 v5, 0
	v_readfirstlane_b32 s6, v6
	v_readfirstlane_b32 s7, v7
	s_mov_b32 s5, exec_lo
	s_clause 0x1
	global_load_dwordx2 v[8:9], v5, s[26:27] offset:40
	global_load_dwordx4 v[0:3], v5, s[26:27]
	s_waitcnt vmcnt(1)
	v_readfirstlane_b32 s8, v8
	v_readfirstlane_b32 s9, v9
	s_and_b64 s[8:9], s[6:7], s[8:9]
	s_mul_i32 s10, s9, 24
	s_mul_hi_u32 s11, s8, 24
	s_mul_i32 s12, s8, 24
	s_add_i32 s11, s11, s10
	s_waitcnt vmcnt(0)
	v_add_co_u32 v8, vcc_lo, v0, s12
	v_add_co_ci_u32_e32 v9, vcc_lo, s11, v1, vcc_lo
	s_and_saveexec_b32 s10, s4
	s_cbranch_execz .LBB7_432
; %bb.431:
	v_mov_b32_e32 v4, s5
	v_mov_b32_e32 v6, 2
	;; [unrolled: 1-line block ×3, first 2 shown]
	global_store_dwordx4 v[8:9], v[4:7], off offset:8
.LBB7_432:
	s_or_b32 exec_lo, exec_lo, s10
	s_lshl_b64 s[8:9], s[8:9], 12
	v_mov_b32_e32 v4, 33
	v_add_co_u32 v2, vcc_lo, v2, s8
	v_add_co_ci_u32_e32 v3, vcc_lo, s9, v3, vcc_lo
	s_mov_b32 s8, 0
	v_add_co_u32 v10, vcc_lo, v2, v37
	s_mov_b32 s11, s8
	s_mov_b32 s9, s8
	;; [unrolled: 1-line block ×3, first 2 shown]
	v_mov_b32_e32 v6, v5
	v_mov_b32_e32 v7, v5
	v_readfirstlane_b32 s12, v2
	v_readfirstlane_b32 s13, v3
	v_mov_b32_e32 v15, s11
	v_add_co_ci_u32_e32 v11, vcc_lo, 0, v3, vcc_lo
	v_mov_b32_e32 v14, s10
	v_mov_b32_e32 v13, s9
	;; [unrolled: 1-line block ×3, first 2 shown]
	global_store_dwordx4 v37, v[4:7], s[12:13]
	global_store_dwordx4 v37, v[12:15], s[12:13] offset:16
	global_store_dwordx4 v37, v[12:15], s[12:13] offset:32
	;; [unrolled: 1-line block ×3, first 2 shown]
	s_and_saveexec_b32 s5, s4
	s_cbranch_execz .LBB7_440
; %bb.433:
	v_mov_b32_e32 v6, 0
	v_mov_b32_e32 v12, s6
	;; [unrolled: 1-line block ×3, first 2 shown]
	s_clause 0x1
	global_load_dwordx2 v[14:15], v6, s[26:27] offset:32 glc dlc
	global_load_dwordx2 v[2:3], v6, s[26:27] offset:40
	s_waitcnt vmcnt(0)
	v_readfirstlane_b32 s8, v2
	v_readfirstlane_b32 s9, v3
	s_and_b64 s[8:9], s[8:9], s[6:7]
	s_mul_i32 s9, s9, 24
	s_mul_hi_u32 s10, s8, 24
	s_mul_i32 s8, s8, 24
	s_add_i32 s10, s10, s9
	v_add_co_u32 v4, vcc_lo, v0, s8
	v_add_co_ci_u32_e32 v5, vcc_lo, s10, v1, vcc_lo
	s_mov_b32 s8, exec_lo
	global_store_dwordx2 v[4:5], v[14:15], off
	s_waitcnt_vscnt null, 0x0
	global_atomic_cmpswap_x2 v[2:3], v6, v[12:15], s[26:27] offset:32 glc
	s_waitcnt vmcnt(0)
	v_cmpx_ne_u64_e64 v[2:3], v[14:15]
	s_cbranch_execz .LBB7_436
; %bb.434:
	s_mov_b32 s9, 0
.LBB7_435:                              ; =>This Inner Loop Header: Depth=1
	v_mov_b32_e32 v0, s6
	v_mov_b32_e32 v1, s7
	s_sleep 1
	global_store_dwordx2 v[4:5], v[2:3], off
	s_waitcnt_vscnt null, 0x0
	global_atomic_cmpswap_x2 v[0:1], v6, v[0:3], s[26:27] offset:32 glc
	s_waitcnt vmcnt(0)
	v_cmp_eq_u64_e32 vcc_lo, v[0:1], v[2:3]
	v_mov_b32_e32 v3, v1
	v_mov_b32_e32 v2, v0
	s_or_b32 s9, vcc_lo, s9
	s_andn2_b32 exec_lo, exec_lo, s9
	s_cbranch_execnz .LBB7_435
.LBB7_436:
	s_or_b32 exec_lo, exec_lo, s8
	v_mov_b32_e32 v3, 0
	s_mov_b32 s9, exec_lo
	s_mov_b32 s8, exec_lo
	v_mbcnt_lo_u32_b32 v2, s9, 0
	global_load_dwordx2 v[0:1], v3, s[26:27] offset:16
	v_cmpx_eq_u32_e32 0, v2
	s_cbranch_execz .LBB7_438
; %bb.437:
	s_bcnt1_i32_b32 s9, s9
	v_mov_b32_e32 v2, s9
	s_waitcnt vmcnt(0)
	global_atomic_add_x2 v[0:1], v[2:3], off offset:8
.LBB7_438:
	s_or_b32 exec_lo, exec_lo, s8
	s_waitcnt vmcnt(0)
	global_load_dwordx2 v[2:3], v[0:1], off offset:16
	s_waitcnt vmcnt(0)
	v_cmp_eq_u64_e32 vcc_lo, 0, v[2:3]
	s_cbranch_vccnz .LBB7_440
; %bb.439:
	global_load_dword v0, v[0:1], off offset:24
	v_mov_b32_e32 v1, 0
	s_waitcnt vmcnt(0)
	v_and_b32_e32 v4, 0x7fffff, v0
	s_waitcnt_vscnt null, 0x0
	global_store_dwordx2 v[2:3], v[0:1], off
	v_readfirstlane_b32 m0, v4
	s_sendmsg sendmsg(MSG_INTERRUPT)
.LBB7_440:
	s_or_b32 exec_lo, exec_lo, s5
	s_branch .LBB7_444
	.p2align	6
.LBB7_441:                              ;   in Loop: Header=BB7_444 Depth=1
	s_or_b32 exec_lo, exec_lo, s5
	v_readfirstlane_b32 s5, v0
	s_cmp_eq_u32 s5, 0
	s_cbranch_scc1 .LBB7_443
; %bb.442:                              ;   in Loop: Header=BB7_444 Depth=1
	s_sleep 1
	s_cbranch_execnz .LBB7_444
	s_branch .LBB7_446
	.p2align	6
.LBB7_443:
	s_branch .LBB7_446
.LBB7_444:                              ; =>This Inner Loop Header: Depth=1
	v_mov_b32_e32 v0, 1
	s_and_saveexec_b32 s5, s4
	s_cbranch_execz .LBB7_441
; %bb.445:                              ;   in Loop: Header=BB7_444 Depth=1
	global_load_dword v0, v[8:9], off offset:20 glc dlc
	s_waitcnt vmcnt(0)
	buffer_gl1_inv
	buffer_gl0_inv
	v_and_b32_e32 v0, 1, v0
	s_branch .LBB7_441
.LBB7_446:
	global_load_dwordx2 v[4:5], v[10:11], off
	s_and_saveexec_b32 s5, s4
	s_cbranch_execz .LBB7_450
; %bb.447:
	v_mov_b32_e32 v8, 0
	s_clause 0x2
	global_load_dwordx2 v[2:3], v8, s[26:27] offset:40
	global_load_dwordx2 v[9:10], v8, s[26:27] offset:24 glc dlc
	global_load_dwordx2 v[6:7], v8, s[26:27]
	s_waitcnt vmcnt(2)
	v_add_co_u32 v11, vcc_lo, v2, 1
	v_add_co_ci_u32_e32 v12, vcc_lo, 0, v3, vcc_lo
	v_add_co_u32 v0, vcc_lo, v11, s6
	v_add_co_ci_u32_e32 v1, vcc_lo, s7, v12, vcc_lo
	v_cmp_eq_u64_e32 vcc_lo, 0, v[0:1]
	v_cndmask_b32_e32 v1, v1, v12, vcc_lo
	v_cndmask_b32_e32 v0, v0, v11, vcc_lo
	v_and_b32_e32 v3, v1, v3
	v_and_b32_e32 v2, v0, v2
	v_mul_lo_u32 v3, v3, 24
	v_mul_hi_u32 v11, v2, 24
	v_mul_lo_u32 v2, v2, 24
	v_add_nc_u32_e32 v3, v11, v3
	s_waitcnt vmcnt(0)
	v_add_co_u32 v6, vcc_lo, v6, v2
	v_mov_b32_e32 v2, v9
	v_add_co_ci_u32_e32 v7, vcc_lo, v7, v3, vcc_lo
	v_mov_b32_e32 v3, v10
	global_store_dwordx2 v[6:7], v[9:10], off
	s_waitcnt_vscnt null, 0x0
	global_atomic_cmpswap_x2 v[2:3], v8, v[0:3], s[26:27] offset:24 glc
	s_waitcnt vmcnt(0)
	v_cmp_ne_u64_e32 vcc_lo, v[2:3], v[9:10]
	s_and_b32 exec_lo, exec_lo, vcc_lo
	s_cbranch_execz .LBB7_450
; %bb.448:
	s_mov_b32 s4, 0
.LBB7_449:                              ; =>This Inner Loop Header: Depth=1
	s_sleep 1
	global_store_dwordx2 v[6:7], v[2:3], off
	s_waitcnt_vscnt null, 0x0
	global_atomic_cmpswap_x2 v[9:10], v8, v[0:3], s[26:27] offset:24 glc
	s_waitcnt vmcnt(0)
	v_cmp_eq_u64_e32 vcc_lo, v[9:10], v[2:3]
	v_mov_b32_e32 v2, v9
	v_mov_b32_e32 v3, v10
	s_or_b32 s4, vcc_lo, s4
	s_andn2_b32 exec_lo, exec_lo, s4
	s_cbranch_execnz .LBB7_449
.LBB7_450:
	s_or_b32 exec_lo, exec_lo, s5
	s_and_b32 vcc_lo, exec_lo, s16
	s_cbranch_vccz .LBB7_529
; %bb.451:
	s_waitcnt vmcnt(0)
	v_and_b32_e32 v28, 2, v4
	v_mov_b32_e32 v7, 0
	v_and_b32_e32 v0, -3, v4
	v_mov_b32_e32 v1, v5
	v_mov_b32_e32 v8, 2
	;; [unrolled: 1-line block ×3, first 2 shown]
	s_mov_b64 s[8:9], 3
	s_getpc_b64 s[6:7]
	s_add_u32 s6, s6, .str.5@rel32@lo+4
	s_addc_u32 s7, s7, .str.5@rel32@hi+12
	s_branch .LBB7_453
.LBB7_452:                              ;   in Loop: Header=BB7_453 Depth=1
	s_or_b32 exec_lo, exec_lo, s5
	s_sub_u32 s8, s8, s10
	s_subb_u32 s9, s9, s11
	s_add_u32 s6, s6, s10
	s_addc_u32 s7, s7, s11
	s_cmp_lg_u64 s[8:9], 0
	s_cbranch_scc0 .LBB7_528
.LBB7_453:                              ; =>This Loop Header: Depth=1
                                        ;     Child Loop BB7_462 Depth 2
                                        ;     Child Loop BB7_458 Depth 2
	;; [unrolled: 1-line block ×11, first 2 shown]
	v_cmp_lt_u64_e64 s4, s[8:9], 56
	v_cmp_gt_u64_e64 s5, s[8:9], 7
                                        ; implicit-def: $vgpr2_vgpr3
                                        ; implicit-def: $sgpr17
	s_and_b32 s4, s4, exec_lo
	s_cselect_b32 s11, s9, 0
	s_cselect_b32 s10, s8, 56
	s_and_b32 vcc_lo, exec_lo, s5
	s_mov_b32 s4, -1
	s_cbranch_vccz .LBB7_460
; %bb.454:                              ;   in Loop: Header=BB7_453 Depth=1
	s_andn2_b32 vcc_lo, exec_lo, s4
	s_mov_b64 s[4:5], s[6:7]
	s_cbranch_vccz .LBB7_464
.LBB7_455:                              ;   in Loop: Header=BB7_453 Depth=1
	s_cmp_gt_u32 s17, 7
	s_cbranch_scc1 .LBB7_465
.LBB7_456:                              ;   in Loop: Header=BB7_453 Depth=1
	v_mov_b32_e32 v10, 0
	v_mov_b32_e32 v11, 0
	s_cmp_eq_u32 s17, 0
	s_cbranch_scc1 .LBB7_459
; %bb.457:                              ;   in Loop: Header=BB7_453 Depth=1
	s_mov_b64 s[12:13], 0
	s_mov_b64 s[14:15], 0
.LBB7_458:                              ;   Parent Loop BB7_453 Depth=1
                                        ; =>  This Inner Loop Header: Depth=2
	s_add_u32 s18, s4, s14
	s_addc_u32 s19, s5, s15
	s_add_u32 s14, s14, 1
	global_load_ubyte v6, v7, s[18:19]
	s_addc_u32 s15, s15, 0
	s_waitcnt vmcnt(0)
	v_and_b32_e32 v6, 0xffff, v6
	v_lshlrev_b64 v[12:13], s12, v[6:7]
	s_add_u32 s12, s12, 8
	s_addc_u32 s13, s13, 0
	s_cmp_lg_u32 s17, s14
	v_or_b32_e32 v10, v12, v10
	v_or_b32_e32 v11, v13, v11
	s_cbranch_scc1 .LBB7_458
.LBB7_459:                              ;   in Loop: Header=BB7_453 Depth=1
	s_mov_b32 s18, 0
	s_cbranch_execz .LBB7_466
	s_branch .LBB7_467
.LBB7_460:                              ;   in Loop: Header=BB7_453 Depth=1
	s_waitcnt vmcnt(0)
	v_mov_b32_e32 v2, 0
	v_mov_b32_e32 v3, 0
	s_cmp_eq_u64 s[8:9], 0
	s_mov_b64 s[4:5], 0
	s_cbranch_scc1 .LBB7_463
; %bb.461:                              ;   in Loop: Header=BB7_453 Depth=1
	v_mov_b32_e32 v2, 0
	v_mov_b32_e32 v3, 0
	s_lshl_b64 s[12:13], s[10:11], 3
	s_mov_b64 s[14:15], s[6:7]
.LBB7_462:                              ;   Parent Loop BB7_453 Depth=1
                                        ; =>  This Inner Loop Header: Depth=2
	global_load_ubyte v6, v7, s[14:15]
	s_waitcnt vmcnt(0)
	v_and_b32_e32 v6, 0xffff, v6
	v_lshlrev_b64 v[10:11], s4, v[6:7]
	s_add_u32 s4, s4, 8
	s_addc_u32 s5, s5, 0
	s_add_u32 s14, s14, 1
	s_addc_u32 s15, s15, 0
	s_cmp_lg_u32 s12, s4
	v_or_b32_e32 v2, v10, v2
	v_or_b32_e32 v3, v11, v3
	s_cbranch_scc1 .LBB7_462
.LBB7_463:                              ;   in Loop: Header=BB7_453 Depth=1
	s_mov_b32 s17, 0
	s_mov_b64 s[4:5], s[6:7]
	s_cbranch_execnz .LBB7_455
.LBB7_464:                              ;   in Loop: Header=BB7_453 Depth=1
	global_load_dwordx2 v[2:3], v7, s[6:7]
	s_add_i32 s17, s10, -8
	s_add_u32 s4, s6, 8
	s_addc_u32 s5, s7, 0
	s_cmp_gt_u32 s17, 7
	s_cbranch_scc0 .LBB7_456
.LBB7_465:                              ;   in Loop: Header=BB7_453 Depth=1
                                        ; implicit-def: $vgpr10_vgpr11
                                        ; implicit-def: $sgpr18
.LBB7_466:                              ;   in Loop: Header=BB7_453 Depth=1
	global_load_dwordx2 v[10:11], v7, s[4:5]
	s_add_i32 s18, s17, -8
	s_add_u32 s4, s4, 8
	s_addc_u32 s5, s5, 0
.LBB7_467:                              ;   in Loop: Header=BB7_453 Depth=1
	s_cmp_gt_u32 s18, 7
	s_cbranch_scc1 .LBB7_472
; %bb.468:                              ;   in Loop: Header=BB7_453 Depth=1
	v_mov_b32_e32 v12, 0
	v_mov_b32_e32 v13, 0
	s_cmp_eq_u32 s18, 0
	s_cbranch_scc1 .LBB7_471
; %bb.469:                              ;   in Loop: Header=BB7_453 Depth=1
	s_mov_b64 s[12:13], 0
	s_mov_b64 s[14:15], 0
.LBB7_470:                              ;   Parent Loop BB7_453 Depth=1
                                        ; =>  This Inner Loop Header: Depth=2
	s_add_u32 s20, s4, s14
	s_addc_u32 s21, s5, s15
	s_add_u32 s14, s14, 1
	global_load_ubyte v6, v7, s[20:21]
	s_addc_u32 s15, s15, 0
	s_waitcnt vmcnt(0)
	v_and_b32_e32 v6, 0xffff, v6
	v_lshlrev_b64 v[14:15], s12, v[6:7]
	s_add_u32 s12, s12, 8
	s_addc_u32 s13, s13, 0
	s_cmp_lg_u32 s18, s14
	v_or_b32_e32 v12, v14, v12
	v_or_b32_e32 v13, v15, v13
	s_cbranch_scc1 .LBB7_470
.LBB7_471:                              ;   in Loop: Header=BB7_453 Depth=1
	s_mov_b32 s17, 0
	s_cbranch_execz .LBB7_473
	s_branch .LBB7_474
.LBB7_472:                              ;   in Loop: Header=BB7_453 Depth=1
                                        ; implicit-def: $sgpr17
.LBB7_473:                              ;   in Loop: Header=BB7_453 Depth=1
	global_load_dwordx2 v[12:13], v7, s[4:5]
	s_add_i32 s17, s18, -8
	s_add_u32 s4, s4, 8
	s_addc_u32 s5, s5, 0
.LBB7_474:                              ;   in Loop: Header=BB7_453 Depth=1
	s_cmp_gt_u32 s17, 7
	s_cbranch_scc1 .LBB7_479
; %bb.475:                              ;   in Loop: Header=BB7_453 Depth=1
	v_mov_b32_e32 v14, 0
	v_mov_b32_e32 v15, 0
	s_cmp_eq_u32 s17, 0
	s_cbranch_scc1 .LBB7_478
; %bb.476:                              ;   in Loop: Header=BB7_453 Depth=1
	s_mov_b64 s[12:13], 0
	s_mov_b64 s[14:15], 0
.LBB7_477:                              ;   Parent Loop BB7_453 Depth=1
                                        ; =>  This Inner Loop Header: Depth=2
	s_add_u32 s18, s4, s14
	s_addc_u32 s19, s5, s15
	s_add_u32 s14, s14, 1
	global_load_ubyte v6, v7, s[18:19]
	s_addc_u32 s15, s15, 0
	s_waitcnt vmcnt(0)
	v_and_b32_e32 v6, 0xffff, v6
	v_lshlrev_b64 v[16:17], s12, v[6:7]
	s_add_u32 s12, s12, 8
	s_addc_u32 s13, s13, 0
	s_cmp_lg_u32 s17, s14
	v_or_b32_e32 v14, v16, v14
	v_or_b32_e32 v15, v17, v15
	s_cbranch_scc1 .LBB7_477
.LBB7_478:                              ;   in Loop: Header=BB7_453 Depth=1
	s_mov_b32 s18, 0
	s_cbranch_execz .LBB7_480
	s_branch .LBB7_481
.LBB7_479:                              ;   in Loop: Header=BB7_453 Depth=1
                                        ; implicit-def: $vgpr14_vgpr15
                                        ; implicit-def: $sgpr18
.LBB7_480:                              ;   in Loop: Header=BB7_453 Depth=1
	global_load_dwordx2 v[14:15], v7, s[4:5]
	s_add_i32 s18, s17, -8
	s_add_u32 s4, s4, 8
	s_addc_u32 s5, s5, 0
.LBB7_481:                              ;   in Loop: Header=BB7_453 Depth=1
	s_cmp_gt_u32 s18, 7
	s_cbranch_scc1 .LBB7_486
; %bb.482:                              ;   in Loop: Header=BB7_453 Depth=1
	v_mov_b32_e32 v16, 0
	v_mov_b32_e32 v17, 0
	s_cmp_eq_u32 s18, 0
	s_cbranch_scc1 .LBB7_485
; %bb.483:                              ;   in Loop: Header=BB7_453 Depth=1
	s_mov_b64 s[12:13], 0
	s_mov_b64 s[14:15], 0
.LBB7_484:                              ;   Parent Loop BB7_453 Depth=1
                                        ; =>  This Inner Loop Header: Depth=2
	s_add_u32 s20, s4, s14
	s_addc_u32 s21, s5, s15
	s_add_u32 s14, s14, 1
	global_load_ubyte v6, v7, s[20:21]
	s_addc_u32 s15, s15, 0
	s_waitcnt vmcnt(0)
	v_and_b32_e32 v6, 0xffff, v6
	v_lshlrev_b64 v[18:19], s12, v[6:7]
	s_add_u32 s12, s12, 8
	s_addc_u32 s13, s13, 0
	s_cmp_lg_u32 s18, s14
	v_or_b32_e32 v16, v18, v16
	v_or_b32_e32 v17, v19, v17
	s_cbranch_scc1 .LBB7_484
.LBB7_485:                              ;   in Loop: Header=BB7_453 Depth=1
	s_mov_b32 s17, 0
	s_cbranch_execz .LBB7_487
	s_branch .LBB7_488
.LBB7_486:                              ;   in Loop: Header=BB7_453 Depth=1
                                        ; implicit-def: $sgpr17
.LBB7_487:                              ;   in Loop: Header=BB7_453 Depth=1
	global_load_dwordx2 v[16:17], v7, s[4:5]
	s_add_i32 s17, s18, -8
	s_add_u32 s4, s4, 8
	s_addc_u32 s5, s5, 0
.LBB7_488:                              ;   in Loop: Header=BB7_453 Depth=1
	s_cmp_gt_u32 s17, 7
	s_cbranch_scc1 .LBB7_493
; %bb.489:                              ;   in Loop: Header=BB7_453 Depth=1
	v_mov_b32_e32 v18, 0
	v_mov_b32_e32 v19, 0
	s_cmp_eq_u32 s17, 0
	s_cbranch_scc1 .LBB7_492
; %bb.490:                              ;   in Loop: Header=BB7_453 Depth=1
	s_mov_b64 s[12:13], 0
	s_mov_b64 s[14:15], 0
.LBB7_491:                              ;   Parent Loop BB7_453 Depth=1
                                        ; =>  This Inner Loop Header: Depth=2
	s_add_u32 s18, s4, s14
	s_addc_u32 s19, s5, s15
	s_add_u32 s14, s14, 1
	global_load_ubyte v6, v7, s[18:19]
	s_addc_u32 s15, s15, 0
	s_waitcnt vmcnt(0)
	v_and_b32_e32 v6, 0xffff, v6
	v_lshlrev_b64 v[20:21], s12, v[6:7]
	s_add_u32 s12, s12, 8
	s_addc_u32 s13, s13, 0
	s_cmp_lg_u32 s17, s14
	v_or_b32_e32 v18, v20, v18
	v_or_b32_e32 v19, v21, v19
	s_cbranch_scc1 .LBB7_491
.LBB7_492:                              ;   in Loop: Header=BB7_453 Depth=1
	s_mov_b32 s18, 0
	s_cbranch_execz .LBB7_494
	s_branch .LBB7_495
.LBB7_493:                              ;   in Loop: Header=BB7_453 Depth=1
                                        ; implicit-def: $vgpr18_vgpr19
                                        ; implicit-def: $sgpr18
.LBB7_494:                              ;   in Loop: Header=BB7_453 Depth=1
	global_load_dwordx2 v[18:19], v7, s[4:5]
	s_add_i32 s18, s17, -8
	s_add_u32 s4, s4, 8
	s_addc_u32 s5, s5, 0
.LBB7_495:                              ;   in Loop: Header=BB7_453 Depth=1
	s_cmp_gt_u32 s18, 7
	s_cbranch_scc1 .LBB7_500
; %bb.496:                              ;   in Loop: Header=BB7_453 Depth=1
	v_mov_b32_e32 v20, 0
	v_mov_b32_e32 v21, 0
	s_cmp_eq_u32 s18, 0
	s_cbranch_scc1 .LBB7_499
; %bb.497:                              ;   in Loop: Header=BB7_453 Depth=1
	s_mov_b64 s[12:13], 0
	s_mov_b64 s[14:15], s[4:5]
.LBB7_498:                              ;   Parent Loop BB7_453 Depth=1
                                        ; =>  This Inner Loop Header: Depth=2
	global_load_ubyte v6, v7, s[14:15]
	s_add_i32 s18, s18, -1
	s_waitcnt vmcnt(0)
	v_and_b32_e32 v6, 0xffff, v6
	v_lshlrev_b64 v[22:23], s12, v[6:7]
	s_add_u32 s12, s12, 8
	s_addc_u32 s13, s13, 0
	s_add_u32 s14, s14, 1
	s_addc_u32 s15, s15, 0
	s_cmp_lg_u32 s18, 0
	v_or_b32_e32 v20, v22, v20
	v_or_b32_e32 v21, v23, v21
	s_cbranch_scc1 .LBB7_498
.LBB7_499:                              ;   in Loop: Header=BB7_453 Depth=1
	s_cbranch_execz .LBB7_501
	s_branch .LBB7_502
.LBB7_500:                              ;   in Loop: Header=BB7_453 Depth=1
.LBB7_501:                              ;   in Loop: Header=BB7_453 Depth=1
	global_load_dwordx2 v[20:21], v7, s[4:5]
.LBB7_502:                              ;   in Loop: Header=BB7_453 Depth=1
	v_readfirstlane_b32 s4, v38
	v_mov_b32_e32 v26, 0
	v_mov_b32_e32 v27, 0
	v_cmp_eq_u32_e64 s4, s4, v38
	s_and_saveexec_b32 s5, s4
	s_cbranch_execz .LBB7_508
; %bb.503:                              ;   in Loop: Header=BB7_453 Depth=1
	global_load_dwordx2 v[24:25], v7, s[26:27] offset:24 glc dlc
	s_waitcnt vmcnt(0)
	buffer_gl1_inv
	buffer_gl0_inv
	s_clause 0x1
	global_load_dwordx2 v[22:23], v7, s[26:27] offset:40
	global_load_dwordx2 v[26:27], v7, s[26:27]
	s_mov_b32 s12, exec_lo
	s_waitcnt vmcnt(1)
	v_and_b32_e32 v6, v23, v25
	v_and_b32_e32 v22, v22, v24
	v_mul_lo_u32 v6, v6, 24
	v_mul_hi_u32 v23, v22, 24
	v_mul_lo_u32 v22, v22, 24
	v_add_nc_u32_e32 v6, v23, v6
	s_waitcnt vmcnt(0)
	v_add_co_u32 v22, vcc_lo, v26, v22
	v_add_co_ci_u32_e32 v23, vcc_lo, v27, v6, vcc_lo
	global_load_dwordx2 v[22:23], v[22:23], off glc dlc
	s_waitcnt vmcnt(0)
	global_atomic_cmpswap_x2 v[26:27], v7, v[22:25], s[26:27] offset:24 glc
	s_waitcnt vmcnt(0)
	buffer_gl1_inv
	buffer_gl0_inv
	v_cmpx_ne_u64_e64 v[26:27], v[24:25]
	s_cbranch_execz .LBB7_507
; %bb.504:                              ;   in Loop: Header=BB7_453 Depth=1
	s_mov_b32 s13, 0
	.p2align	6
.LBB7_505:                              ;   Parent Loop BB7_453 Depth=1
                                        ; =>  This Inner Loop Header: Depth=2
	s_sleep 1
	s_clause 0x1
	global_load_dwordx2 v[22:23], v7, s[26:27] offset:40
	global_load_dwordx2 v[29:30], v7, s[26:27]
	v_mov_b32_e32 v24, v26
	v_mov_b32_e32 v25, v27
	s_waitcnt vmcnt(1)
	v_and_b32_e32 v6, v22, v24
	v_and_b32_e32 v22, v23, v25
	s_waitcnt vmcnt(0)
	v_mad_u64_u32 v[26:27], null, v6, 24, v[29:30]
	v_mov_b32_e32 v6, v27
	v_mad_u64_u32 v[22:23], null, v22, 24, v[6:7]
	v_mov_b32_e32 v27, v22
	global_load_dwordx2 v[22:23], v[26:27], off glc dlc
	s_waitcnt vmcnt(0)
	global_atomic_cmpswap_x2 v[26:27], v7, v[22:25], s[26:27] offset:24 glc
	s_waitcnt vmcnt(0)
	buffer_gl1_inv
	buffer_gl0_inv
	v_cmp_eq_u64_e32 vcc_lo, v[26:27], v[24:25]
	s_or_b32 s13, vcc_lo, s13
	s_andn2_b32 exec_lo, exec_lo, s13
	s_cbranch_execnz .LBB7_505
; %bb.506:                              ;   in Loop: Header=BB7_453 Depth=1
	s_or_b32 exec_lo, exec_lo, s13
.LBB7_507:                              ;   in Loop: Header=BB7_453 Depth=1
	s_or_b32 exec_lo, exec_lo, s12
.LBB7_508:                              ;   in Loop: Header=BB7_453 Depth=1
	s_or_b32 exec_lo, exec_lo, s5
	s_clause 0x1
	global_load_dwordx2 v[29:30], v7, s[26:27] offset:40
	global_load_dwordx4 v[22:25], v7, s[26:27]
	v_readfirstlane_b32 s12, v26
	v_readfirstlane_b32 s13, v27
	s_mov_b32 s5, exec_lo
	s_waitcnt vmcnt(1)
	v_readfirstlane_b32 s14, v29
	v_readfirstlane_b32 s15, v30
	s_and_b64 s[14:15], s[12:13], s[14:15]
	s_mul_i32 s17, s15, 24
	s_mul_hi_u32 s18, s14, 24
	s_mul_i32 s19, s14, 24
	s_add_i32 s18, s18, s17
	s_waitcnt vmcnt(0)
	v_add_co_u32 v26, vcc_lo, v22, s19
	v_add_co_ci_u32_e32 v27, vcc_lo, s18, v23, vcc_lo
	s_and_saveexec_b32 s17, s4
	s_cbranch_execz .LBB7_510
; %bb.509:                              ;   in Loop: Header=BB7_453 Depth=1
	v_mov_b32_e32 v6, s5
	global_store_dwordx4 v[26:27], v[6:9], off offset:8
.LBB7_510:                              ;   in Loop: Header=BB7_453 Depth=1
	s_or_b32 exec_lo, exec_lo, s17
	s_lshl_b64 s[14:15], s[14:15], 12
	v_cmp_gt_u64_e64 vcc_lo, s[8:9], 56
	v_or_b32_e32 v29, v0, v28
	v_add_co_u32 v24, s5, v24, s14
	v_add_co_ci_u32_e64 v25, s5, s15, v25, s5
	s_lshl_b32 s5, s10, 2
	v_or_b32_e32 v6, 0, v1
	v_cndmask_b32_e32 v0, v29, v0, vcc_lo
	s_add_i32 s5, s5, 28
	v_readfirstlane_b32 s14, v24
	s_and_b32 s5, s5, 0x1e0
	v_cndmask_b32_e32 v1, v6, v1, vcc_lo
	v_readfirstlane_b32 s15, v25
	v_and_or_b32 v0, 0xffffff1f, v0, s5
	global_store_dwordx4 v37, v[0:3], s[14:15]
	global_store_dwordx4 v37, v[10:13], s[14:15] offset:16
	global_store_dwordx4 v37, v[14:17], s[14:15] offset:32
	;; [unrolled: 1-line block ×3, first 2 shown]
	s_and_saveexec_b32 s5, s4
	s_cbranch_execz .LBB7_518
; %bb.511:                              ;   in Loop: Header=BB7_453 Depth=1
	s_clause 0x1
	global_load_dwordx2 v[14:15], v7, s[26:27] offset:32 glc dlc
	global_load_dwordx2 v[0:1], v7, s[26:27] offset:40
	v_mov_b32_e32 v12, s12
	v_mov_b32_e32 v13, s13
	s_waitcnt vmcnt(0)
	v_readfirstlane_b32 s14, v0
	v_readfirstlane_b32 s15, v1
	s_and_b64 s[14:15], s[14:15], s[12:13]
	s_mul_i32 s15, s15, 24
	s_mul_hi_u32 s17, s14, 24
	s_mul_i32 s14, s14, 24
	s_add_i32 s17, s17, s15
	v_add_co_u32 v10, vcc_lo, v22, s14
	v_add_co_ci_u32_e32 v11, vcc_lo, s17, v23, vcc_lo
	s_mov_b32 s14, exec_lo
	global_store_dwordx2 v[10:11], v[14:15], off
	s_waitcnt_vscnt null, 0x0
	global_atomic_cmpswap_x2 v[2:3], v7, v[12:15], s[26:27] offset:32 glc
	s_waitcnt vmcnt(0)
	v_cmpx_ne_u64_e64 v[2:3], v[14:15]
	s_cbranch_execz .LBB7_514
; %bb.512:                              ;   in Loop: Header=BB7_453 Depth=1
	s_mov_b32 s15, 0
.LBB7_513:                              ;   Parent Loop BB7_453 Depth=1
                                        ; =>  This Inner Loop Header: Depth=2
	v_mov_b32_e32 v0, s12
	v_mov_b32_e32 v1, s13
	s_sleep 1
	global_store_dwordx2 v[10:11], v[2:3], off
	s_waitcnt_vscnt null, 0x0
	global_atomic_cmpswap_x2 v[0:1], v7, v[0:3], s[26:27] offset:32 glc
	s_waitcnt vmcnt(0)
	v_cmp_eq_u64_e32 vcc_lo, v[0:1], v[2:3]
	v_mov_b32_e32 v3, v1
	v_mov_b32_e32 v2, v0
	s_or_b32 s15, vcc_lo, s15
	s_andn2_b32 exec_lo, exec_lo, s15
	s_cbranch_execnz .LBB7_513
.LBB7_514:                              ;   in Loop: Header=BB7_453 Depth=1
	s_or_b32 exec_lo, exec_lo, s14
	global_load_dwordx2 v[0:1], v7, s[26:27] offset:16
	s_mov_b32 s15, exec_lo
	s_mov_b32 s14, exec_lo
	v_mbcnt_lo_u32_b32 v2, s15, 0
	v_cmpx_eq_u32_e32 0, v2
	s_cbranch_execz .LBB7_516
; %bb.515:                              ;   in Loop: Header=BB7_453 Depth=1
	s_bcnt1_i32_b32 s15, s15
	v_mov_b32_e32 v6, s15
	s_waitcnt vmcnt(0)
	global_atomic_add_x2 v[0:1], v[6:7], off offset:8
.LBB7_516:                              ;   in Loop: Header=BB7_453 Depth=1
	s_or_b32 exec_lo, exec_lo, s14
	s_waitcnt vmcnt(0)
	global_load_dwordx2 v[2:3], v[0:1], off offset:16
	s_waitcnt vmcnt(0)
	v_cmp_eq_u64_e32 vcc_lo, 0, v[2:3]
	s_cbranch_vccnz .LBB7_518
; %bb.517:                              ;   in Loop: Header=BB7_453 Depth=1
	global_load_dword v6, v[0:1], off offset:24
	s_waitcnt vmcnt(0)
	v_and_b32_e32 v0, 0x7fffff, v6
	s_waitcnt_vscnt null, 0x0
	global_store_dwordx2 v[2:3], v[6:7], off
	v_readfirstlane_b32 m0, v0
	s_sendmsg sendmsg(MSG_INTERRUPT)
.LBB7_518:                              ;   in Loop: Header=BB7_453 Depth=1
	s_or_b32 exec_lo, exec_lo, s5
	v_add_co_u32 v0, vcc_lo, v24, v37
	v_add_co_ci_u32_e32 v1, vcc_lo, 0, v25, vcc_lo
	s_branch .LBB7_522
	.p2align	6
.LBB7_519:                              ;   in Loop: Header=BB7_522 Depth=2
	s_or_b32 exec_lo, exec_lo, s5
	v_readfirstlane_b32 s5, v2
	s_cmp_eq_u32 s5, 0
	s_cbranch_scc1 .LBB7_521
; %bb.520:                              ;   in Loop: Header=BB7_522 Depth=2
	s_sleep 1
	s_cbranch_execnz .LBB7_522
	s_branch .LBB7_524
	.p2align	6
.LBB7_521:                              ;   in Loop: Header=BB7_453 Depth=1
	s_branch .LBB7_524
.LBB7_522:                              ;   Parent Loop BB7_453 Depth=1
                                        ; =>  This Inner Loop Header: Depth=2
	v_mov_b32_e32 v2, 1
	s_and_saveexec_b32 s5, s4
	s_cbranch_execz .LBB7_519
; %bb.523:                              ;   in Loop: Header=BB7_522 Depth=2
	global_load_dword v2, v[26:27], off offset:20 glc dlc
	s_waitcnt vmcnt(0)
	buffer_gl1_inv
	buffer_gl0_inv
	v_and_b32_e32 v2, 1, v2
	s_branch .LBB7_519
.LBB7_524:                              ;   in Loop: Header=BB7_453 Depth=1
	global_load_dwordx4 v[0:3], v[0:1], off
	s_and_saveexec_b32 s5, s4
	s_cbranch_execz .LBB7_452
; %bb.525:                              ;   in Loop: Header=BB7_453 Depth=1
	s_clause 0x2
	global_load_dwordx2 v[2:3], v7, s[26:27] offset:40
	global_load_dwordx2 v[14:15], v7, s[26:27] offset:24 glc dlc
	global_load_dwordx2 v[12:13], v7, s[26:27]
	s_waitcnt vmcnt(2)
	v_add_co_u32 v6, vcc_lo, v2, 1
	v_add_co_ci_u32_e32 v16, vcc_lo, 0, v3, vcc_lo
	v_add_co_u32 v10, vcc_lo, v6, s12
	v_add_co_ci_u32_e32 v11, vcc_lo, s13, v16, vcc_lo
	v_cmp_eq_u64_e32 vcc_lo, 0, v[10:11]
	v_cndmask_b32_e32 v11, v11, v16, vcc_lo
	v_cndmask_b32_e32 v10, v10, v6, vcc_lo
	v_and_b32_e32 v3, v11, v3
	v_and_b32_e32 v2, v10, v2
	v_mul_lo_u32 v3, v3, 24
	v_mul_hi_u32 v6, v2, 24
	v_mul_lo_u32 v2, v2, 24
	v_add_nc_u32_e32 v3, v6, v3
	s_waitcnt vmcnt(0)
	v_add_co_u32 v2, vcc_lo, v12, v2
	v_mov_b32_e32 v12, v14
	v_add_co_ci_u32_e32 v3, vcc_lo, v13, v3, vcc_lo
	v_mov_b32_e32 v13, v15
	global_store_dwordx2 v[2:3], v[14:15], off
	s_waitcnt_vscnt null, 0x0
	global_atomic_cmpswap_x2 v[12:13], v7, v[10:13], s[26:27] offset:24 glc
	s_waitcnt vmcnt(0)
	v_cmp_ne_u64_e32 vcc_lo, v[12:13], v[14:15]
	s_and_b32 exec_lo, exec_lo, vcc_lo
	s_cbranch_execz .LBB7_452
; %bb.526:                              ;   in Loop: Header=BB7_453 Depth=1
	s_mov_b32 s4, 0
.LBB7_527:                              ;   Parent Loop BB7_453 Depth=1
                                        ; =>  This Inner Loop Header: Depth=2
	s_sleep 1
	global_store_dwordx2 v[2:3], v[12:13], off
	s_waitcnt_vscnt null, 0x0
	global_atomic_cmpswap_x2 v[14:15], v7, v[10:13], s[26:27] offset:24 glc
	s_waitcnt vmcnt(0)
	v_cmp_eq_u64_e32 vcc_lo, v[14:15], v[12:13]
	v_mov_b32_e32 v12, v14
	v_mov_b32_e32 v13, v15
	s_or_b32 s4, vcc_lo, s4
	s_andn2_b32 exec_lo, exec_lo, s4
	s_cbranch_execnz .LBB7_527
	s_branch .LBB7_452
.LBB7_528:
	s_mov_b32 s4, 0
	s_branch .LBB7_530
.LBB7_529:
	s_mov_b32 s4, -1
                                        ; implicit-def: $vgpr0_vgpr1
.LBB7_530:
	s_and_b32 vcc_lo, exec_lo, s4
	s_cbranch_vccz .LBB7_558
; %bb.531:
	v_readfirstlane_b32 s4, v38
	v_mov_b32_e32 v7, 0
	v_mov_b32_e32 v8, 0
	v_cmp_eq_u32_e64 s4, s4, v38
	s_and_saveexec_b32 s5, s4
	s_cbranch_execz .LBB7_537
; %bb.532:
	s_waitcnt vmcnt(0)
	v_mov_b32_e32 v0, 0
	s_mov_b32 s6, exec_lo
	global_load_dwordx2 v[9:10], v0, s[26:27] offset:24 glc dlc
	s_waitcnt vmcnt(0)
	buffer_gl1_inv
	buffer_gl0_inv
	s_clause 0x1
	global_load_dwordx2 v[1:2], v0, s[26:27] offset:40
	global_load_dwordx2 v[6:7], v0, s[26:27]
	s_waitcnt vmcnt(1)
	v_and_b32_e32 v2, v2, v10
	v_and_b32_e32 v1, v1, v9
	v_mul_lo_u32 v2, v2, 24
	v_mul_hi_u32 v3, v1, 24
	v_mul_lo_u32 v1, v1, 24
	v_add_nc_u32_e32 v2, v3, v2
	s_waitcnt vmcnt(0)
	v_add_co_u32 v1, vcc_lo, v6, v1
	v_add_co_ci_u32_e32 v2, vcc_lo, v7, v2, vcc_lo
	global_load_dwordx2 v[7:8], v[1:2], off glc dlc
	s_waitcnt vmcnt(0)
	global_atomic_cmpswap_x2 v[7:8], v0, v[7:10], s[26:27] offset:24 glc
	s_waitcnt vmcnt(0)
	buffer_gl1_inv
	buffer_gl0_inv
	v_cmpx_ne_u64_e64 v[7:8], v[9:10]
	s_cbranch_execz .LBB7_536
; %bb.533:
	s_mov_b32 s7, 0
.LBB7_534:                              ; =>This Inner Loop Header: Depth=1
	s_sleep 1
	s_clause 0x1
	global_load_dwordx2 v[1:2], v0, s[26:27] offset:40
	global_load_dwordx2 v[11:12], v0, s[26:27]
	v_mov_b32_e32 v10, v8
	v_mov_b32_e32 v9, v7
	s_waitcnt vmcnt(1)
	v_and_b32_e32 v1, v1, v9
	v_and_b32_e32 v2, v2, v10
	s_waitcnt vmcnt(0)
	v_mad_u64_u32 v[6:7], null, v1, 24, v[11:12]
	v_mov_b32_e32 v1, v7
	v_mad_u64_u32 v[1:2], null, v2, 24, v[1:2]
	v_mov_b32_e32 v7, v1
	global_load_dwordx2 v[7:8], v[6:7], off glc dlc
	s_waitcnt vmcnt(0)
	global_atomic_cmpswap_x2 v[7:8], v0, v[7:10], s[26:27] offset:24 glc
	s_waitcnt vmcnt(0)
	buffer_gl1_inv
	buffer_gl0_inv
	v_cmp_eq_u64_e32 vcc_lo, v[7:8], v[9:10]
	s_or_b32 s7, vcc_lo, s7
	s_andn2_b32 exec_lo, exec_lo, s7
	s_cbranch_execnz .LBB7_534
; %bb.535:
	s_or_b32 exec_lo, exec_lo, s7
.LBB7_536:
	s_or_b32 exec_lo, exec_lo, s6
.LBB7_537:
	s_or_b32 exec_lo, exec_lo, s5
	v_mov_b32_e32 v6, 0
	v_readfirstlane_b32 s6, v7
	v_readfirstlane_b32 s7, v8
	s_mov_b32 s5, exec_lo
	s_clause 0x1
	global_load_dwordx2 v[9:10], v6, s[26:27] offset:40
	global_load_dwordx4 v[0:3], v6, s[26:27]
	s_waitcnt vmcnt(1)
	v_readfirstlane_b32 s8, v9
	v_readfirstlane_b32 s9, v10
	s_and_b64 s[8:9], s[6:7], s[8:9]
	s_mul_i32 s10, s9, 24
	s_mul_hi_u32 s11, s8, 24
	s_mul_i32 s12, s8, 24
	s_add_i32 s11, s11, s10
	s_waitcnt vmcnt(0)
	v_add_co_u32 v8, vcc_lo, v0, s12
	v_add_co_ci_u32_e32 v9, vcc_lo, s11, v1, vcc_lo
	s_and_saveexec_b32 s10, s4
	s_cbranch_execz .LBB7_539
; %bb.538:
	v_mov_b32_e32 v10, s5
	v_mov_b32_e32 v11, v6
	;; [unrolled: 1-line block ×4, first 2 shown]
	global_store_dwordx4 v[8:9], v[10:13], off offset:8
.LBB7_539:
	s_or_b32 exec_lo, exec_lo, s10
	s_lshl_b64 s[8:9], s[8:9], 12
	v_and_or_b32 v4, 0xffffff1f, v4, 32
	v_add_co_u32 v2, vcc_lo, v2, s8
	v_add_co_ci_u32_e32 v3, vcc_lo, s9, v3, vcc_lo
	s_mov_b32 s8, 0
	v_add_co_u32 v10, vcc_lo, v2, v37
	s_mov_b32 s11, s8
	s_mov_b32 s9, s8
	;; [unrolled: 1-line block ×3, first 2 shown]
	v_mov_b32_e32 v7, v6
	v_readfirstlane_b32 s12, v2
	v_readfirstlane_b32 s13, v3
	v_mov_b32_e32 v15, s11
	v_add_co_ci_u32_e32 v11, vcc_lo, 0, v3, vcc_lo
	v_mov_b32_e32 v14, s10
	v_mov_b32_e32 v13, s9
	;; [unrolled: 1-line block ×3, first 2 shown]
	global_store_dwordx4 v37, v[4:7], s[12:13]
	global_store_dwordx4 v37, v[12:15], s[12:13] offset:16
	global_store_dwordx4 v37, v[12:15], s[12:13] offset:32
	;; [unrolled: 1-line block ×3, first 2 shown]
	s_and_saveexec_b32 s5, s4
	s_cbranch_execz .LBB7_547
; %bb.540:
	v_mov_b32_e32 v6, 0
	v_mov_b32_e32 v12, s6
	;; [unrolled: 1-line block ×3, first 2 shown]
	s_clause 0x1
	global_load_dwordx2 v[14:15], v6, s[26:27] offset:32 glc dlc
	global_load_dwordx2 v[2:3], v6, s[26:27] offset:40
	s_waitcnt vmcnt(0)
	v_readfirstlane_b32 s8, v2
	v_readfirstlane_b32 s9, v3
	s_and_b64 s[8:9], s[8:9], s[6:7]
	s_mul_i32 s9, s9, 24
	s_mul_hi_u32 s10, s8, 24
	s_mul_i32 s8, s8, 24
	s_add_i32 s10, s10, s9
	v_add_co_u32 v4, vcc_lo, v0, s8
	v_add_co_ci_u32_e32 v5, vcc_lo, s10, v1, vcc_lo
	s_mov_b32 s8, exec_lo
	global_store_dwordx2 v[4:5], v[14:15], off
	s_waitcnt_vscnt null, 0x0
	global_atomic_cmpswap_x2 v[2:3], v6, v[12:15], s[26:27] offset:32 glc
	s_waitcnt vmcnt(0)
	v_cmpx_ne_u64_e64 v[2:3], v[14:15]
	s_cbranch_execz .LBB7_543
; %bb.541:
	s_mov_b32 s9, 0
.LBB7_542:                              ; =>This Inner Loop Header: Depth=1
	v_mov_b32_e32 v0, s6
	v_mov_b32_e32 v1, s7
	s_sleep 1
	global_store_dwordx2 v[4:5], v[2:3], off
	s_waitcnt_vscnt null, 0x0
	global_atomic_cmpswap_x2 v[0:1], v6, v[0:3], s[26:27] offset:32 glc
	s_waitcnt vmcnt(0)
	v_cmp_eq_u64_e32 vcc_lo, v[0:1], v[2:3]
	v_mov_b32_e32 v3, v1
	v_mov_b32_e32 v2, v0
	s_or_b32 s9, vcc_lo, s9
	s_andn2_b32 exec_lo, exec_lo, s9
	s_cbranch_execnz .LBB7_542
.LBB7_543:
	s_or_b32 exec_lo, exec_lo, s8
	v_mov_b32_e32 v3, 0
	s_mov_b32 s9, exec_lo
	s_mov_b32 s8, exec_lo
	v_mbcnt_lo_u32_b32 v2, s9, 0
	global_load_dwordx2 v[0:1], v3, s[26:27] offset:16
	v_cmpx_eq_u32_e32 0, v2
	s_cbranch_execz .LBB7_545
; %bb.544:
	s_bcnt1_i32_b32 s9, s9
	v_mov_b32_e32 v2, s9
	s_waitcnt vmcnt(0)
	global_atomic_add_x2 v[0:1], v[2:3], off offset:8
.LBB7_545:
	s_or_b32 exec_lo, exec_lo, s8
	s_waitcnt vmcnt(0)
	global_load_dwordx2 v[2:3], v[0:1], off offset:16
	s_waitcnt vmcnt(0)
	v_cmp_eq_u64_e32 vcc_lo, 0, v[2:3]
	s_cbranch_vccnz .LBB7_547
; %bb.546:
	global_load_dword v0, v[0:1], off offset:24
	v_mov_b32_e32 v1, 0
	s_waitcnt vmcnt(0)
	v_and_b32_e32 v4, 0x7fffff, v0
	s_waitcnt_vscnt null, 0x0
	global_store_dwordx2 v[2:3], v[0:1], off
	v_readfirstlane_b32 m0, v4
	s_sendmsg sendmsg(MSG_INTERRUPT)
.LBB7_547:
	s_or_b32 exec_lo, exec_lo, s5
	s_branch .LBB7_551
	.p2align	6
.LBB7_548:                              ;   in Loop: Header=BB7_551 Depth=1
	s_or_b32 exec_lo, exec_lo, s5
	v_readfirstlane_b32 s5, v0
	s_cmp_eq_u32 s5, 0
	s_cbranch_scc1 .LBB7_550
; %bb.549:                              ;   in Loop: Header=BB7_551 Depth=1
	s_sleep 1
	s_cbranch_execnz .LBB7_551
	s_branch .LBB7_553
.LBB7_550:
	s_branch .LBB7_553
.LBB7_551:                              ; =>This Inner Loop Header: Depth=1
	v_mov_b32_e32 v0, 1
	s_and_saveexec_b32 s5, s4
	s_cbranch_execz .LBB7_548
; %bb.552:                              ;   in Loop: Header=BB7_551 Depth=1
	global_load_dword v0, v[8:9], off offset:20 glc dlc
	s_waitcnt vmcnt(0)
	buffer_gl1_inv
	buffer_gl0_inv
	v_and_b32_e32 v0, 1, v0
	s_branch .LBB7_548
.LBB7_553:
	global_load_dwordx2 v[0:1], v[10:11], off
	s_and_saveexec_b32 s5, s4
	s_cbranch_execz .LBB7_557
; %bb.554:
	v_mov_b32_e32 v8, 0
	s_clause 0x2
	global_load_dwordx2 v[4:5], v8, s[26:27] offset:40
	global_load_dwordx2 v[9:10], v8, s[26:27] offset:24 glc dlc
	global_load_dwordx2 v[6:7], v8, s[26:27]
	s_waitcnt vmcnt(2)
	v_add_co_u32 v11, vcc_lo, v4, 1
	v_add_co_ci_u32_e32 v12, vcc_lo, 0, v5, vcc_lo
	v_add_co_u32 v2, vcc_lo, v11, s6
	v_add_co_ci_u32_e32 v3, vcc_lo, s7, v12, vcc_lo
	v_cmp_eq_u64_e32 vcc_lo, 0, v[2:3]
	v_cndmask_b32_e32 v3, v3, v12, vcc_lo
	v_cndmask_b32_e32 v2, v2, v11, vcc_lo
	v_and_b32_e32 v5, v3, v5
	v_and_b32_e32 v4, v2, v4
	v_mul_lo_u32 v5, v5, 24
	v_mul_hi_u32 v11, v4, 24
	v_mul_lo_u32 v4, v4, 24
	v_add_nc_u32_e32 v5, v11, v5
	s_waitcnt vmcnt(0)
	v_add_co_u32 v6, vcc_lo, v6, v4
	v_mov_b32_e32 v4, v9
	v_add_co_ci_u32_e32 v7, vcc_lo, v7, v5, vcc_lo
	v_mov_b32_e32 v5, v10
	global_store_dwordx2 v[6:7], v[9:10], off
	s_waitcnt_vscnt null, 0x0
	global_atomic_cmpswap_x2 v[4:5], v8, v[2:5], s[26:27] offset:24 glc
	s_waitcnt vmcnt(0)
	v_cmp_ne_u64_e32 vcc_lo, v[4:5], v[9:10]
	s_and_b32 exec_lo, exec_lo, vcc_lo
	s_cbranch_execz .LBB7_557
; %bb.555:
	s_mov_b32 s4, 0
.LBB7_556:                              ; =>This Inner Loop Header: Depth=1
	s_sleep 1
	global_store_dwordx2 v[6:7], v[4:5], off
	s_waitcnt_vscnt null, 0x0
	global_atomic_cmpswap_x2 v[9:10], v8, v[2:5], s[26:27] offset:24 glc
	s_waitcnt vmcnt(0)
	v_cmp_eq_u64_e32 vcc_lo, v[9:10], v[4:5]
	v_mov_b32_e32 v4, v9
	v_mov_b32_e32 v5, v10
	s_or_b32 s4, vcc_lo, s4
	s_andn2_b32 exec_lo, exec_lo, s4
	s_cbranch_execnz .LBB7_556
.LBB7_557:
	s_or_b32 exec_lo, exec_lo, s5
.LBB7_558:
	s_getpc_b64 s[6:7]
	s_add_u32 s6, s6, .str.1@rel32@lo+4
	s_addc_u32 s7, s7, .str.1@rel32@hi+12
	s_cmp_lg_u64 s[6:7], 0
	s_cbranch_scc0 .LBB7_637
; %bb.559:
	s_waitcnt vmcnt(0)
	v_and_b32_e32 v6, -3, v0
	v_mov_b32_e32 v7, v1
	v_mov_b32_e32 v3, 0
	;; [unrolled: 1-line block ×4, first 2 shown]
	s_mov_b64 s[8:9], 0x53
	s_branch .LBB7_561
.LBB7_560:                              ;   in Loop: Header=BB7_561 Depth=1
	s_or_b32 exec_lo, exec_lo, s5
	s_sub_u32 s8, s8, s10
	s_subb_u32 s9, s9, s11
	s_add_u32 s6, s6, s10
	s_addc_u32 s7, s7, s11
	s_cmp_lg_u64 s[8:9], 0
	s_cbranch_scc0 .LBB7_636
.LBB7_561:                              ; =>This Loop Header: Depth=1
                                        ;     Child Loop BB7_570 Depth 2
                                        ;     Child Loop BB7_566 Depth 2
	;; [unrolled: 1-line block ×11, first 2 shown]
	v_cmp_lt_u64_e64 s4, s[8:9], 56
	v_cmp_gt_u64_e64 s5, s[8:9], 7
                                        ; implicit-def: $sgpr17
	s_and_b32 s4, s4, exec_lo
	s_cselect_b32 s11, s9, 0
	s_cselect_b32 s10, s8, 56
	s_and_b32 vcc_lo, exec_lo, s5
	s_mov_b32 s4, -1
	s_cbranch_vccz .LBB7_568
; %bb.562:                              ;   in Loop: Header=BB7_561 Depth=1
	s_andn2_b32 vcc_lo, exec_lo, s4
	s_mov_b64 s[4:5], s[6:7]
	s_cbranch_vccz .LBB7_572
.LBB7_563:                              ;   in Loop: Header=BB7_561 Depth=1
	s_cmp_gt_u32 s17, 7
	s_cbranch_scc1 .LBB7_573
.LBB7_564:                              ;   in Loop: Header=BB7_561 Depth=1
	v_mov_b32_e32 v10, 0
	v_mov_b32_e32 v11, 0
	s_cmp_eq_u32 s17, 0
	s_cbranch_scc1 .LBB7_567
; %bb.565:                              ;   in Loop: Header=BB7_561 Depth=1
	s_mov_b64 s[12:13], 0
	s_mov_b64 s[14:15], 0
.LBB7_566:                              ;   Parent Loop BB7_561 Depth=1
                                        ; =>  This Inner Loop Header: Depth=2
	s_add_u32 s18, s4, s14
	s_addc_u32 s19, s5, s15
	s_add_u32 s14, s14, 1
	global_load_ubyte v2, v3, s[18:19]
	s_addc_u32 s15, s15, 0
	s_waitcnt vmcnt(0)
	v_and_b32_e32 v2, 0xffff, v2
	v_lshlrev_b64 v[12:13], s12, v[2:3]
	s_add_u32 s12, s12, 8
	s_addc_u32 s13, s13, 0
	s_cmp_lg_u32 s17, s14
	v_or_b32_e32 v10, v12, v10
	v_or_b32_e32 v11, v13, v11
	s_cbranch_scc1 .LBB7_566
.LBB7_567:                              ;   in Loop: Header=BB7_561 Depth=1
	s_mov_b32 s18, 0
	s_cbranch_execz .LBB7_574
	s_branch .LBB7_575
.LBB7_568:                              ;   in Loop: Header=BB7_561 Depth=1
	s_waitcnt vmcnt(0)
	v_mov_b32_e32 v8, 0
	v_mov_b32_e32 v9, 0
	s_cmp_eq_u64 s[8:9], 0
	s_mov_b64 s[4:5], 0
	s_cbranch_scc1 .LBB7_571
; %bb.569:                              ;   in Loop: Header=BB7_561 Depth=1
	v_mov_b32_e32 v8, 0
	v_mov_b32_e32 v9, 0
	s_lshl_b64 s[12:13], s[10:11], 3
	s_mov_b64 s[14:15], s[6:7]
.LBB7_570:                              ;   Parent Loop BB7_561 Depth=1
                                        ; =>  This Inner Loop Header: Depth=2
	global_load_ubyte v2, v3, s[14:15]
	s_waitcnt vmcnt(0)
	v_and_b32_e32 v2, 0xffff, v2
	v_lshlrev_b64 v[10:11], s4, v[2:3]
	s_add_u32 s4, s4, 8
	s_addc_u32 s5, s5, 0
	s_add_u32 s14, s14, 1
	s_addc_u32 s15, s15, 0
	s_cmp_lg_u32 s12, s4
	v_or_b32_e32 v8, v10, v8
	v_or_b32_e32 v9, v11, v9
	s_cbranch_scc1 .LBB7_570
.LBB7_571:                              ;   in Loop: Header=BB7_561 Depth=1
	s_mov_b32 s17, 0
	s_mov_b64 s[4:5], s[6:7]
	s_cbranch_execnz .LBB7_563
.LBB7_572:                              ;   in Loop: Header=BB7_561 Depth=1
	global_load_dwordx2 v[8:9], v3, s[6:7]
	s_add_i32 s17, s10, -8
	s_add_u32 s4, s6, 8
	s_addc_u32 s5, s7, 0
	s_cmp_gt_u32 s17, 7
	s_cbranch_scc0 .LBB7_564
.LBB7_573:                              ;   in Loop: Header=BB7_561 Depth=1
                                        ; implicit-def: $vgpr10_vgpr11
                                        ; implicit-def: $sgpr18
.LBB7_574:                              ;   in Loop: Header=BB7_561 Depth=1
	global_load_dwordx2 v[10:11], v3, s[4:5]
	s_add_i32 s18, s17, -8
	s_add_u32 s4, s4, 8
	s_addc_u32 s5, s5, 0
.LBB7_575:                              ;   in Loop: Header=BB7_561 Depth=1
	s_cmp_gt_u32 s18, 7
	s_cbranch_scc1 .LBB7_580
; %bb.576:                              ;   in Loop: Header=BB7_561 Depth=1
	v_mov_b32_e32 v12, 0
	v_mov_b32_e32 v13, 0
	s_cmp_eq_u32 s18, 0
	s_cbranch_scc1 .LBB7_579
; %bb.577:                              ;   in Loop: Header=BB7_561 Depth=1
	s_mov_b64 s[12:13], 0
	s_mov_b64 s[14:15], 0
.LBB7_578:                              ;   Parent Loop BB7_561 Depth=1
                                        ; =>  This Inner Loop Header: Depth=2
	s_add_u32 s20, s4, s14
	s_addc_u32 s21, s5, s15
	s_add_u32 s14, s14, 1
	global_load_ubyte v2, v3, s[20:21]
	s_addc_u32 s15, s15, 0
	s_waitcnt vmcnt(0)
	v_and_b32_e32 v2, 0xffff, v2
	v_lshlrev_b64 v[14:15], s12, v[2:3]
	s_add_u32 s12, s12, 8
	s_addc_u32 s13, s13, 0
	s_cmp_lg_u32 s18, s14
	v_or_b32_e32 v12, v14, v12
	v_or_b32_e32 v13, v15, v13
	s_cbranch_scc1 .LBB7_578
.LBB7_579:                              ;   in Loop: Header=BB7_561 Depth=1
	s_mov_b32 s17, 0
	s_cbranch_execz .LBB7_581
	s_branch .LBB7_582
.LBB7_580:                              ;   in Loop: Header=BB7_561 Depth=1
                                        ; implicit-def: $sgpr17
.LBB7_581:                              ;   in Loop: Header=BB7_561 Depth=1
	global_load_dwordx2 v[12:13], v3, s[4:5]
	s_add_i32 s17, s18, -8
	s_add_u32 s4, s4, 8
	s_addc_u32 s5, s5, 0
.LBB7_582:                              ;   in Loop: Header=BB7_561 Depth=1
	s_cmp_gt_u32 s17, 7
	s_cbranch_scc1 .LBB7_587
; %bb.583:                              ;   in Loop: Header=BB7_561 Depth=1
	v_mov_b32_e32 v14, 0
	v_mov_b32_e32 v15, 0
	s_cmp_eq_u32 s17, 0
	s_cbranch_scc1 .LBB7_586
; %bb.584:                              ;   in Loop: Header=BB7_561 Depth=1
	s_mov_b64 s[12:13], 0
	s_mov_b64 s[14:15], 0
.LBB7_585:                              ;   Parent Loop BB7_561 Depth=1
                                        ; =>  This Inner Loop Header: Depth=2
	s_add_u32 s18, s4, s14
	s_addc_u32 s19, s5, s15
	s_add_u32 s14, s14, 1
	global_load_ubyte v2, v3, s[18:19]
	s_addc_u32 s15, s15, 0
	s_waitcnt vmcnt(0)
	v_and_b32_e32 v2, 0xffff, v2
	v_lshlrev_b64 v[16:17], s12, v[2:3]
	s_add_u32 s12, s12, 8
	s_addc_u32 s13, s13, 0
	s_cmp_lg_u32 s17, s14
	v_or_b32_e32 v14, v16, v14
	v_or_b32_e32 v15, v17, v15
	s_cbranch_scc1 .LBB7_585
.LBB7_586:                              ;   in Loop: Header=BB7_561 Depth=1
	s_mov_b32 s18, 0
	s_cbranch_execz .LBB7_588
	s_branch .LBB7_589
.LBB7_587:                              ;   in Loop: Header=BB7_561 Depth=1
                                        ; implicit-def: $vgpr14_vgpr15
                                        ; implicit-def: $sgpr18
.LBB7_588:                              ;   in Loop: Header=BB7_561 Depth=1
	global_load_dwordx2 v[14:15], v3, s[4:5]
	s_add_i32 s18, s17, -8
	s_add_u32 s4, s4, 8
	s_addc_u32 s5, s5, 0
.LBB7_589:                              ;   in Loop: Header=BB7_561 Depth=1
	s_cmp_gt_u32 s18, 7
	s_cbranch_scc1 .LBB7_594
; %bb.590:                              ;   in Loop: Header=BB7_561 Depth=1
	v_mov_b32_e32 v16, 0
	v_mov_b32_e32 v17, 0
	s_cmp_eq_u32 s18, 0
	s_cbranch_scc1 .LBB7_593
; %bb.591:                              ;   in Loop: Header=BB7_561 Depth=1
	s_mov_b64 s[12:13], 0
	s_mov_b64 s[14:15], 0
.LBB7_592:                              ;   Parent Loop BB7_561 Depth=1
                                        ; =>  This Inner Loop Header: Depth=2
	s_add_u32 s20, s4, s14
	s_addc_u32 s21, s5, s15
	s_add_u32 s14, s14, 1
	global_load_ubyte v2, v3, s[20:21]
	s_addc_u32 s15, s15, 0
	s_waitcnt vmcnt(0)
	v_and_b32_e32 v2, 0xffff, v2
	v_lshlrev_b64 v[18:19], s12, v[2:3]
	s_add_u32 s12, s12, 8
	s_addc_u32 s13, s13, 0
	s_cmp_lg_u32 s18, s14
	v_or_b32_e32 v16, v18, v16
	v_or_b32_e32 v17, v19, v17
	s_cbranch_scc1 .LBB7_592
.LBB7_593:                              ;   in Loop: Header=BB7_561 Depth=1
	s_mov_b32 s17, 0
	s_cbranch_execz .LBB7_595
	s_branch .LBB7_596
.LBB7_594:                              ;   in Loop: Header=BB7_561 Depth=1
                                        ; implicit-def: $sgpr17
.LBB7_595:                              ;   in Loop: Header=BB7_561 Depth=1
	global_load_dwordx2 v[16:17], v3, s[4:5]
	s_add_i32 s17, s18, -8
	s_add_u32 s4, s4, 8
	s_addc_u32 s5, s5, 0
.LBB7_596:                              ;   in Loop: Header=BB7_561 Depth=1
	s_cmp_gt_u32 s17, 7
	s_cbranch_scc1 .LBB7_601
; %bb.597:                              ;   in Loop: Header=BB7_561 Depth=1
	v_mov_b32_e32 v18, 0
	v_mov_b32_e32 v19, 0
	s_cmp_eq_u32 s17, 0
	s_cbranch_scc1 .LBB7_600
; %bb.598:                              ;   in Loop: Header=BB7_561 Depth=1
	s_mov_b64 s[12:13], 0
	s_mov_b64 s[14:15], 0
.LBB7_599:                              ;   Parent Loop BB7_561 Depth=1
                                        ; =>  This Inner Loop Header: Depth=2
	s_add_u32 s18, s4, s14
	s_addc_u32 s19, s5, s15
	s_add_u32 s14, s14, 1
	global_load_ubyte v2, v3, s[18:19]
	s_addc_u32 s15, s15, 0
	s_waitcnt vmcnt(0)
	v_and_b32_e32 v2, 0xffff, v2
	v_lshlrev_b64 v[20:21], s12, v[2:3]
	s_add_u32 s12, s12, 8
	s_addc_u32 s13, s13, 0
	s_cmp_lg_u32 s17, s14
	v_or_b32_e32 v18, v20, v18
	v_or_b32_e32 v19, v21, v19
	s_cbranch_scc1 .LBB7_599
.LBB7_600:                              ;   in Loop: Header=BB7_561 Depth=1
	s_mov_b32 s18, 0
	s_cbranch_execz .LBB7_602
	s_branch .LBB7_603
.LBB7_601:                              ;   in Loop: Header=BB7_561 Depth=1
                                        ; implicit-def: $vgpr18_vgpr19
                                        ; implicit-def: $sgpr18
.LBB7_602:                              ;   in Loop: Header=BB7_561 Depth=1
	global_load_dwordx2 v[18:19], v3, s[4:5]
	s_add_i32 s18, s17, -8
	s_add_u32 s4, s4, 8
	s_addc_u32 s5, s5, 0
.LBB7_603:                              ;   in Loop: Header=BB7_561 Depth=1
	s_cmp_gt_u32 s18, 7
	s_cbranch_scc1 .LBB7_608
; %bb.604:                              ;   in Loop: Header=BB7_561 Depth=1
	v_mov_b32_e32 v20, 0
	v_mov_b32_e32 v21, 0
	s_cmp_eq_u32 s18, 0
	s_cbranch_scc1 .LBB7_607
; %bb.605:                              ;   in Loop: Header=BB7_561 Depth=1
	s_mov_b64 s[12:13], 0
	s_mov_b64 s[14:15], s[4:5]
.LBB7_606:                              ;   Parent Loop BB7_561 Depth=1
                                        ; =>  This Inner Loop Header: Depth=2
	global_load_ubyte v2, v3, s[14:15]
	s_add_i32 s18, s18, -1
	s_waitcnt vmcnt(0)
	v_and_b32_e32 v2, 0xffff, v2
	v_lshlrev_b64 v[22:23], s12, v[2:3]
	s_add_u32 s12, s12, 8
	s_addc_u32 s13, s13, 0
	s_add_u32 s14, s14, 1
	s_addc_u32 s15, s15, 0
	s_cmp_lg_u32 s18, 0
	v_or_b32_e32 v20, v22, v20
	v_or_b32_e32 v21, v23, v21
	s_cbranch_scc1 .LBB7_606
.LBB7_607:                              ;   in Loop: Header=BB7_561 Depth=1
	s_cbranch_execz .LBB7_609
	s_branch .LBB7_610
.LBB7_608:                              ;   in Loop: Header=BB7_561 Depth=1
.LBB7_609:                              ;   in Loop: Header=BB7_561 Depth=1
	global_load_dwordx2 v[20:21], v3, s[4:5]
.LBB7_610:                              ;   in Loop: Header=BB7_561 Depth=1
	v_readfirstlane_b32 s4, v38
	v_mov_b32_e32 v26, 0
	v_mov_b32_e32 v27, 0
	v_cmp_eq_u32_e64 s4, s4, v38
	s_and_saveexec_b32 s5, s4
	s_cbranch_execz .LBB7_616
; %bb.611:                              ;   in Loop: Header=BB7_561 Depth=1
	global_load_dwordx2 v[24:25], v3, s[26:27] offset:24 glc dlc
	s_waitcnt vmcnt(0)
	buffer_gl1_inv
	buffer_gl0_inv
	s_clause 0x1
	global_load_dwordx2 v[22:23], v3, s[26:27] offset:40
	global_load_dwordx2 v[26:27], v3, s[26:27]
	s_mov_b32 s12, exec_lo
	s_waitcnt vmcnt(1)
	v_and_b32_e32 v2, v23, v25
	v_and_b32_e32 v22, v22, v24
	v_mul_lo_u32 v2, v2, 24
	v_mul_hi_u32 v23, v22, 24
	v_mul_lo_u32 v22, v22, 24
	v_add_nc_u32_e32 v2, v23, v2
	s_waitcnt vmcnt(0)
	v_add_co_u32 v22, vcc_lo, v26, v22
	v_add_co_ci_u32_e32 v23, vcc_lo, v27, v2, vcc_lo
	global_load_dwordx2 v[22:23], v[22:23], off glc dlc
	s_waitcnt vmcnt(0)
	global_atomic_cmpswap_x2 v[26:27], v3, v[22:25], s[26:27] offset:24 glc
	s_waitcnt vmcnt(0)
	buffer_gl1_inv
	buffer_gl0_inv
	v_cmpx_ne_u64_e64 v[26:27], v[24:25]
	s_cbranch_execz .LBB7_615
; %bb.612:                              ;   in Loop: Header=BB7_561 Depth=1
	s_mov_b32 s13, 0
	.p2align	6
.LBB7_613:                              ;   Parent Loop BB7_561 Depth=1
                                        ; =>  This Inner Loop Header: Depth=2
	s_sleep 1
	s_clause 0x1
	global_load_dwordx2 v[22:23], v3, s[26:27] offset:40
	global_load_dwordx2 v[28:29], v3, s[26:27]
	v_mov_b32_e32 v24, v26
	v_mov_b32_e32 v25, v27
	s_waitcnt vmcnt(1)
	v_and_b32_e32 v2, v22, v24
	v_and_b32_e32 v22, v23, v25
	s_waitcnt vmcnt(0)
	v_mad_u64_u32 v[26:27], null, v2, 24, v[28:29]
	v_mov_b32_e32 v2, v27
	v_mad_u64_u32 v[22:23], null, v22, 24, v[2:3]
	v_mov_b32_e32 v27, v22
	global_load_dwordx2 v[22:23], v[26:27], off glc dlc
	s_waitcnt vmcnt(0)
	global_atomic_cmpswap_x2 v[26:27], v3, v[22:25], s[26:27] offset:24 glc
	s_waitcnt vmcnt(0)
	buffer_gl1_inv
	buffer_gl0_inv
	v_cmp_eq_u64_e32 vcc_lo, v[26:27], v[24:25]
	s_or_b32 s13, vcc_lo, s13
	s_andn2_b32 exec_lo, exec_lo, s13
	s_cbranch_execnz .LBB7_613
; %bb.614:                              ;   in Loop: Header=BB7_561 Depth=1
	s_or_b32 exec_lo, exec_lo, s13
.LBB7_615:                              ;   in Loop: Header=BB7_561 Depth=1
	s_or_b32 exec_lo, exec_lo, s12
.LBB7_616:                              ;   in Loop: Header=BB7_561 Depth=1
	s_or_b32 exec_lo, exec_lo, s5
	s_clause 0x1
	global_load_dwordx2 v[28:29], v3, s[26:27] offset:40
	global_load_dwordx4 v[22:25], v3, s[26:27]
	v_readfirstlane_b32 s12, v26
	v_readfirstlane_b32 s13, v27
	s_mov_b32 s5, exec_lo
	s_waitcnt vmcnt(1)
	v_readfirstlane_b32 s14, v28
	v_readfirstlane_b32 s15, v29
	s_and_b64 s[14:15], s[12:13], s[14:15]
	s_mul_i32 s17, s15, 24
	s_mul_hi_u32 s18, s14, 24
	s_mul_i32 s19, s14, 24
	s_add_i32 s18, s18, s17
	s_waitcnt vmcnt(0)
	v_add_co_u32 v26, vcc_lo, v22, s19
	v_add_co_ci_u32_e32 v27, vcc_lo, s18, v23, vcc_lo
	s_and_saveexec_b32 s17, s4
	s_cbranch_execz .LBB7_618
; %bb.617:                              ;   in Loop: Header=BB7_561 Depth=1
	v_mov_b32_e32 v2, s5
	global_store_dwordx4 v[26:27], v[2:5], off offset:8
.LBB7_618:                              ;   in Loop: Header=BB7_561 Depth=1
	s_or_b32 exec_lo, exec_lo, s17
	s_lshl_b64 s[14:15], s[14:15], 12
	v_or_b32_e32 v2, 2, v6
	v_add_co_u32 v24, vcc_lo, v24, s14
	v_add_co_ci_u32_e32 v25, vcc_lo, s15, v25, vcc_lo
	v_cmp_gt_u64_e64 vcc_lo, s[8:9], 56
	s_lshl_b32 s5, s10, 2
	v_readfirstlane_b32 s14, v24
	s_add_i32 s5, s5, 28
	v_readfirstlane_b32 s15, v25
	s_and_b32 s5, s5, 0x1e0
	v_cndmask_b32_e32 v2, v2, v6, vcc_lo
	v_and_or_b32 v6, 0xffffff1f, v2, s5
	global_store_dwordx4 v37, v[10:13], s[14:15] offset:16
	global_store_dwordx4 v37, v[6:9], s[14:15]
	global_store_dwordx4 v37, v[14:17], s[14:15] offset:32
	global_store_dwordx4 v37, v[18:21], s[14:15] offset:48
	s_and_saveexec_b32 s5, s4
	s_cbranch_execz .LBB7_626
; %bb.619:                              ;   in Loop: Header=BB7_561 Depth=1
	s_clause 0x1
	global_load_dwordx2 v[14:15], v3, s[26:27] offset:32 glc dlc
	global_load_dwordx2 v[6:7], v3, s[26:27] offset:40
	v_mov_b32_e32 v12, s12
	v_mov_b32_e32 v13, s13
	s_waitcnt vmcnt(0)
	v_readfirstlane_b32 s14, v6
	v_readfirstlane_b32 s15, v7
	s_and_b64 s[14:15], s[14:15], s[12:13]
	s_mul_i32 s15, s15, 24
	s_mul_hi_u32 s17, s14, 24
	s_mul_i32 s14, s14, 24
	s_add_i32 s17, s17, s15
	v_add_co_u32 v10, vcc_lo, v22, s14
	v_add_co_ci_u32_e32 v11, vcc_lo, s17, v23, vcc_lo
	s_mov_b32 s14, exec_lo
	global_store_dwordx2 v[10:11], v[14:15], off
	s_waitcnt_vscnt null, 0x0
	global_atomic_cmpswap_x2 v[8:9], v3, v[12:15], s[26:27] offset:32 glc
	s_waitcnt vmcnt(0)
	v_cmpx_ne_u64_e64 v[8:9], v[14:15]
	s_cbranch_execz .LBB7_622
; %bb.620:                              ;   in Loop: Header=BB7_561 Depth=1
	s_mov_b32 s15, 0
.LBB7_621:                              ;   Parent Loop BB7_561 Depth=1
                                        ; =>  This Inner Loop Header: Depth=2
	v_mov_b32_e32 v6, s12
	v_mov_b32_e32 v7, s13
	s_sleep 1
	global_store_dwordx2 v[10:11], v[8:9], off
	s_waitcnt_vscnt null, 0x0
	global_atomic_cmpswap_x2 v[6:7], v3, v[6:9], s[26:27] offset:32 glc
	s_waitcnt vmcnt(0)
	v_cmp_eq_u64_e32 vcc_lo, v[6:7], v[8:9]
	v_mov_b32_e32 v9, v7
	v_mov_b32_e32 v8, v6
	s_or_b32 s15, vcc_lo, s15
	s_andn2_b32 exec_lo, exec_lo, s15
	s_cbranch_execnz .LBB7_621
.LBB7_622:                              ;   in Loop: Header=BB7_561 Depth=1
	s_or_b32 exec_lo, exec_lo, s14
	global_load_dwordx2 v[6:7], v3, s[26:27] offset:16
	s_mov_b32 s15, exec_lo
	s_mov_b32 s14, exec_lo
	v_mbcnt_lo_u32_b32 v2, s15, 0
	v_cmpx_eq_u32_e32 0, v2
	s_cbranch_execz .LBB7_624
; %bb.623:                              ;   in Loop: Header=BB7_561 Depth=1
	s_bcnt1_i32_b32 s15, s15
	v_mov_b32_e32 v2, s15
	s_waitcnt vmcnt(0)
	global_atomic_add_x2 v[6:7], v[2:3], off offset:8
.LBB7_624:                              ;   in Loop: Header=BB7_561 Depth=1
	s_or_b32 exec_lo, exec_lo, s14
	s_waitcnt vmcnt(0)
	global_load_dwordx2 v[8:9], v[6:7], off offset:16
	s_waitcnt vmcnt(0)
	v_cmp_eq_u64_e32 vcc_lo, 0, v[8:9]
	s_cbranch_vccnz .LBB7_626
; %bb.625:                              ;   in Loop: Header=BB7_561 Depth=1
	global_load_dword v2, v[6:7], off offset:24
	s_waitcnt vmcnt(0)
	v_and_b32_e32 v6, 0x7fffff, v2
	s_waitcnt_vscnt null, 0x0
	global_store_dwordx2 v[8:9], v[2:3], off
	v_readfirstlane_b32 m0, v6
	s_sendmsg sendmsg(MSG_INTERRUPT)
.LBB7_626:                              ;   in Loop: Header=BB7_561 Depth=1
	s_or_b32 exec_lo, exec_lo, s5
	v_add_co_u32 v6, vcc_lo, v24, v37
	v_add_co_ci_u32_e32 v7, vcc_lo, 0, v25, vcc_lo
	s_branch .LBB7_630
	.p2align	6
.LBB7_627:                              ;   in Loop: Header=BB7_630 Depth=2
	s_or_b32 exec_lo, exec_lo, s5
	v_readfirstlane_b32 s5, v2
	s_cmp_eq_u32 s5, 0
	s_cbranch_scc1 .LBB7_629
; %bb.628:                              ;   in Loop: Header=BB7_630 Depth=2
	s_sleep 1
	s_cbranch_execnz .LBB7_630
	s_branch .LBB7_632
	.p2align	6
.LBB7_629:                              ;   in Loop: Header=BB7_561 Depth=1
	s_branch .LBB7_632
.LBB7_630:                              ;   Parent Loop BB7_561 Depth=1
                                        ; =>  This Inner Loop Header: Depth=2
	v_mov_b32_e32 v2, 1
	s_and_saveexec_b32 s5, s4
	s_cbranch_execz .LBB7_627
; %bb.631:                              ;   in Loop: Header=BB7_630 Depth=2
	global_load_dword v2, v[26:27], off offset:20 glc dlc
	s_waitcnt vmcnt(0)
	buffer_gl1_inv
	buffer_gl0_inv
	v_and_b32_e32 v2, 1, v2
	s_branch .LBB7_627
.LBB7_632:                              ;   in Loop: Header=BB7_561 Depth=1
	global_load_dwordx4 v[6:9], v[6:7], off
	s_and_saveexec_b32 s5, s4
	s_cbranch_execz .LBB7_560
; %bb.633:                              ;   in Loop: Header=BB7_561 Depth=1
	s_clause 0x2
	global_load_dwordx2 v[10:11], v3, s[26:27] offset:40
	global_load_dwordx2 v[14:15], v3, s[26:27] offset:24 glc dlc
	global_load_dwordx2 v[12:13], v3, s[26:27]
	s_waitcnt vmcnt(2)
	v_add_co_u32 v2, vcc_lo, v10, 1
	v_add_co_ci_u32_e32 v16, vcc_lo, 0, v11, vcc_lo
	v_add_co_u32 v8, vcc_lo, v2, s12
	v_add_co_ci_u32_e32 v9, vcc_lo, s13, v16, vcc_lo
	v_cmp_eq_u64_e32 vcc_lo, 0, v[8:9]
	v_cndmask_b32_e32 v9, v9, v16, vcc_lo
	v_cndmask_b32_e32 v8, v8, v2, vcc_lo
	v_and_b32_e32 v2, v9, v11
	v_and_b32_e32 v10, v8, v10
	v_mul_lo_u32 v2, v2, 24
	v_mul_hi_u32 v11, v10, 24
	v_mul_lo_u32 v10, v10, 24
	v_add_nc_u32_e32 v2, v11, v2
	s_waitcnt vmcnt(0)
	v_add_co_u32 v12, vcc_lo, v12, v10
	v_mov_b32_e32 v10, v14
	v_mov_b32_e32 v11, v15
	v_add_co_ci_u32_e32 v13, vcc_lo, v13, v2, vcc_lo
	global_store_dwordx2 v[12:13], v[14:15], off
	s_waitcnt_vscnt null, 0x0
	global_atomic_cmpswap_x2 v[10:11], v3, v[8:11], s[26:27] offset:24 glc
	s_waitcnt vmcnt(0)
	v_cmp_ne_u64_e32 vcc_lo, v[10:11], v[14:15]
	s_and_b32 exec_lo, exec_lo, vcc_lo
	s_cbranch_execz .LBB7_560
; %bb.634:                              ;   in Loop: Header=BB7_561 Depth=1
	s_mov_b32 s4, 0
.LBB7_635:                              ;   Parent Loop BB7_561 Depth=1
                                        ; =>  This Inner Loop Header: Depth=2
	s_sleep 1
	global_store_dwordx2 v[12:13], v[10:11], off
	s_waitcnt_vscnt null, 0x0
	global_atomic_cmpswap_x2 v[14:15], v3, v[8:11], s[26:27] offset:24 glc
	s_waitcnt vmcnt(0)
	v_cmp_eq_u64_e32 vcc_lo, v[14:15], v[10:11]
	v_mov_b32_e32 v10, v14
	v_mov_b32_e32 v11, v15
	s_or_b32 s4, vcc_lo, s4
	s_andn2_b32 exec_lo, exec_lo, s4
	s_cbranch_execnz .LBB7_635
	s_branch .LBB7_560
.LBB7_636:
	s_mov_b32 s4, 0
	s_branch .LBB7_638
.LBB7_637:
	s_mov_b32 s4, -1
.LBB7_638:
	s_and_b32 vcc_lo, exec_lo, s4
	s_cbranch_vccz .LBB7_666
; %bb.639:
	v_readfirstlane_b32 s4, v38
	s_waitcnt vmcnt(0)
	v_mov_b32_e32 v8, 0
	v_mov_b32_e32 v9, 0
	v_cmp_eq_u32_e64 s4, s4, v38
	s_and_saveexec_b32 s5, s4
	s_cbranch_execz .LBB7_645
; %bb.640:
	v_mov_b32_e32 v2, 0
	s_mov_b32 s6, exec_lo
	global_load_dwordx2 v[5:6], v2, s[26:27] offset:24 glc dlc
	s_waitcnt vmcnt(0)
	buffer_gl1_inv
	buffer_gl0_inv
	s_clause 0x1
	global_load_dwordx2 v[3:4], v2, s[26:27] offset:40
	global_load_dwordx2 v[7:8], v2, s[26:27]
	s_waitcnt vmcnt(1)
	v_and_b32_e32 v4, v4, v6
	v_and_b32_e32 v3, v3, v5
	v_mul_lo_u32 v4, v4, 24
	v_mul_hi_u32 v9, v3, 24
	v_mul_lo_u32 v3, v3, 24
	v_add_nc_u32_e32 v4, v9, v4
	s_waitcnt vmcnt(0)
	v_add_co_u32 v3, vcc_lo, v7, v3
	v_add_co_ci_u32_e32 v4, vcc_lo, v8, v4, vcc_lo
	global_load_dwordx2 v[3:4], v[3:4], off glc dlc
	s_waitcnt vmcnt(0)
	global_atomic_cmpswap_x2 v[8:9], v2, v[3:6], s[26:27] offset:24 glc
	s_waitcnt vmcnt(0)
	buffer_gl1_inv
	buffer_gl0_inv
	v_cmpx_ne_u64_e64 v[8:9], v[5:6]
	s_cbranch_execz .LBB7_644
; %bb.641:
	s_mov_b32 s7, 0
.LBB7_642:                              ; =>This Inner Loop Header: Depth=1
	s_sleep 1
	s_clause 0x1
	global_load_dwordx2 v[3:4], v2, s[26:27] offset:40
	global_load_dwordx2 v[10:11], v2, s[26:27]
	v_mov_b32_e32 v5, v8
	v_mov_b32_e32 v6, v9
	s_waitcnt vmcnt(1)
	v_and_b32_e32 v3, v3, v5
	v_and_b32_e32 v4, v4, v6
	s_waitcnt vmcnt(0)
	v_mad_u64_u32 v[7:8], null, v3, 24, v[10:11]
	v_mov_b32_e32 v3, v8
	v_mad_u64_u32 v[3:4], null, v4, 24, v[3:4]
	v_mov_b32_e32 v8, v3
	global_load_dwordx2 v[3:4], v[7:8], off glc dlc
	s_waitcnt vmcnt(0)
	global_atomic_cmpswap_x2 v[8:9], v2, v[3:6], s[26:27] offset:24 glc
	s_waitcnt vmcnt(0)
	buffer_gl1_inv
	buffer_gl0_inv
	v_cmp_eq_u64_e32 vcc_lo, v[8:9], v[5:6]
	s_or_b32 s7, vcc_lo, s7
	s_andn2_b32 exec_lo, exec_lo, s7
	s_cbranch_execnz .LBB7_642
; %bb.643:
	s_or_b32 exec_lo, exec_lo, s7
.LBB7_644:
	s_or_b32 exec_lo, exec_lo, s6
.LBB7_645:
	s_or_b32 exec_lo, exec_lo, s5
	v_mov_b32_e32 v2, 0
	v_readfirstlane_b32 s6, v8
	v_readfirstlane_b32 s7, v9
	s_mov_b32 s5, exec_lo
	s_clause 0x1
	global_load_dwordx2 v[10:11], v2, s[26:27] offset:40
	global_load_dwordx4 v[4:7], v2, s[26:27]
	s_waitcnt vmcnt(1)
	v_readfirstlane_b32 s8, v10
	v_readfirstlane_b32 s9, v11
	s_and_b64 s[8:9], s[6:7], s[8:9]
	s_mul_i32 s10, s9, 24
	s_mul_hi_u32 s11, s8, 24
	s_mul_i32 s12, s8, 24
	s_add_i32 s11, s11, s10
	s_waitcnt vmcnt(0)
	v_add_co_u32 v8, vcc_lo, v4, s12
	v_add_co_ci_u32_e32 v9, vcc_lo, s11, v5, vcc_lo
	s_and_saveexec_b32 s10, s4
	s_cbranch_execz .LBB7_647
; %bb.646:
	v_mov_b32_e32 v10, s5
	v_mov_b32_e32 v11, v2
	;; [unrolled: 1-line block ×4, first 2 shown]
	global_store_dwordx4 v[8:9], v[10:13], off offset:8
.LBB7_647:
	s_or_b32 exec_lo, exec_lo, s10
	s_lshl_b64 s[8:9], s[8:9], 12
	v_and_or_b32 v0, 0xffffff1d, v0, 34
	v_add_co_u32 v6, vcc_lo, v6, s8
	v_add_co_ci_u32_e32 v7, vcc_lo, s9, v7, vcc_lo
	s_mov_b32 s8, 0
	v_mov_b32_e32 v3, v2
	s_mov_b32 s11, s8
	s_mov_b32 s9, s8
	;; [unrolled: 1-line block ×3, first 2 shown]
	v_readfirstlane_b32 s12, v6
	v_readfirstlane_b32 s13, v7
	v_mov_b32_e32 v13, s11
	v_mov_b32_e32 v12, s10
	;; [unrolled: 1-line block ×4, first 2 shown]
	global_store_dwordx4 v37, v[0:3], s[12:13]
	global_store_dwordx4 v37, v[10:13], s[12:13] offset:16
	global_store_dwordx4 v37, v[10:13], s[12:13] offset:32
	;; [unrolled: 1-line block ×3, first 2 shown]
	s_and_saveexec_b32 s5, s4
	s_cbranch_execz .LBB7_655
; %bb.648:
	v_mov_b32_e32 v6, 0
	v_mov_b32_e32 v10, s6
	;; [unrolled: 1-line block ×3, first 2 shown]
	s_clause 0x1
	global_load_dwordx2 v[12:13], v6, s[26:27] offset:32 glc dlc
	global_load_dwordx2 v[0:1], v6, s[26:27] offset:40
	s_waitcnt vmcnt(0)
	v_readfirstlane_b32 s8, v0
	v_readfirstlane_b32 s9, v1
	s_and_b64 s[8:9], s[8:9], s[6:7]
	s_mul_i32 s9, s9, 24
	s_mul_hi_u32 s10, s8, 24
	s_mul_i32 s8, s8, 24
	s_add_i32 s10, s10, s9
	v_add_co_u32 v4, vcc_lo, v4, s8
	v_add_co_ci_u32_e32 v5, vcc_lo, s10, v5, vcc_lo
	s_mov_b32 s8, exec_lo
	global_store_dwordx2 v[4:5], v[12:13], off
	s_waitcnt_vscnt null, 0x0
	global_atomic_cmpswap_x2 v[2:3], v6, v[10:13], s[26:27] offset:32 glc
	s_waitcnt vmcnt(0)
	v_cmpx_ne_u64_e64 v[2:3], v[12:13]
	s_cbranch_execz .LBB7_651
; %bb.649:
	s_mov_b32 s9, 0
.LBB7_650:                              ; =>This Inner Loop Header: Depth=1
	v_mov_b32_e32 v0, s6
	v_mov_b32_e32 v1, s7
	s_sleep 1
	global_store_dwordx2 v[4:5], v[2:3], off
	s_waitcnt_vscnt null, 0x0
	global_atomic_cmpswap_x2 v[0:1], v6, v[0:3], s[26:27] offset:32 glc
	s_waitcnt vmcnt(0)
	v_cmp_eq_u64_e32 vcc_lo, v[0:1], v[2:3]
	v_mov_b32_e32 v3, v1
	v_mov_b32_e32 v2, v0
	s_or_b32 s9, vcc_lo, s9
	s_andn2_b32 exec_lo, exec_lo, s9
	s_cbranch_execnz .LBB7_650
.LBB7_651:
	s_or_b32 exec_lo, exec_lo, s8
	v_mov_b32_e32 v3, 0
	s_mov_b32 s9, exec_lo
	s_mov_b32 s8, exec_lo
	v_mbcnt_lo_u32_b32 v2, s9, 0
	global_load_dwordx2 v[0:1], v3, s[26:27] offset:16
	v_cmpx_eq_u32_e32 0, v2
	s_cbranch_execz .LBB7_653
; %bb.652:
	s_bcnt1_i32_b32 s9, s9
	v_mov_b32_e32 v2, s9
	s_waitcnt vmcnt(0)
	global_atomic_add_x2 v[0:1], v[2:3], off offset:8
.LBB7_653:
	s_or_b32 exec_lo, exec_lo, s8
	s_waitcnt vmcnt(0)
	global_load_dwordx2 v[2:3], v[0:1], off offset:16
	s_waitcnt vmcnt(0)
	v_cmp_eq_u64_e32 vcc_lo, 0, v[2:3]
	s_cbranch_vccnz .LBB7_655
; %bb.654:
	global_load_dword v0, v[0:1], off offset:24
	v_mov_b32_e32 v1, 0
	s_waitcnt vmcnt(0)
	v_and_b32_e32 v4, 0x7fffff, v0
	s_waitcnt_vscnt null, 0x0
	global_store_dwordx2 v[2:3], v[0:1], off
	v_readfirstlane_b32 m0, v4
	s_sendmsg sendmsg(MSG_INTERRUPT)
.LBB7_655:
	s_or_b32 exec_lo, exec_lo, s5
	s_branch .LBB7_659
	.p2align	6
.LBB7_656:                              ;   in Loop: Header=BB7_659 Depth=1
	s_or_b32 exec_lo, exec_lo, s5
	v_readfirstlane_b32 s5, v0
	s_cmp_eq_u32 s5, 0
	s_cbranch_scc1 .LBB7_658
; %bb.657:                              ;   in Loop: Header=BB7_659 Depth=1
	s_sleep 1
	s_cbranch_execnz .LBB7_659
	s_branch .LBB7_661
.LBB7_658:
	s_branch .LBB7_661
.LBB7_659:                              ; =>This Inner Loop Header: Depth=1
	v_mov_b32_e32 v0, 1
	s_and_saveexec_b32 s5, s4
	s_cbranch_execz .LBB7_656
; %bb.660:                              ;   in Loop: Header=BB7_659 Depth=1
	global_load_dword v0, v[8:9], off offset:20 glc dlc
	s_waitcnt vmcnt(0)
	buffer_gl1_inv
	buffer_gl0_inv
	v_and_b32_e32 v0, 1, v0
	s_branch .LBB7_656
.LBB7_661:
	s_and_saveexec_b32 s5, s4
	s_cbranch_execz .LBB7_665
; %bb.662:
	v_mov_b32_e32 v6, 0
	s_clause 0x2
	global_load_dwordx2 v[2:3], v6, s[26:27] offset:40
	global_load_dwordx2 v[7:8], v6, s[26:27] offset:24 glc dlc
	global_load_dwordx2 v[4:5], v6, s[26:27]
	s_waitcnt vmcnt(2)
	v_add_co_u32 v9, vcc_lo, v2, 1
	v_add_co_ci_u32_e32 v10, vcc_lo, 0, v3, vcc_lo
	v_add_co_u32 v0, vcc_lo, v9, s6
	v_add_co_ci_u32_e32 v1, vcc_lo, s7, v10, vcc_lo
	v_cmp_eq_u64_e32 vcc_lo, 0, v[0:1]
	v_cndmask_b32_e32 v1, v1, v10, vcc_lo
	v_cndmask_b32_e32 v0, v0, v9, vcc_lo
	v_and_b32_e32 v3, v1, v3
	v_and_b32_e32 v2, v0, v2
	v_mul_lo_u32 v3, v3, 24
	v_mul_hi_u32 v9, v2, 24
	v_mul_lo_u32 v2, v2, 24
	v_add_nc_u32_e32 v3, v9, v3
	s_waitcnt vmcnt(0)
	v_add_co_u32 v4, vcc_lo, v4, v2
	v_mov_b32_e32 v2, v7
	v_add_co_ci_u32_e32 v5, vcc_lo, v5, v3, vcc_lo
	v_mov_b32_e32 v3, v8
	global_store_dwordx2 v[4:5], v[7:8], off
	s_waitcnt_vscnt null, 0x0
	global_atomic_cmpswap_x2 v[2:3], v6, v[0:3], s[26:27] offset:24 glc
	s_waitcnt vmcnt(0)
	v_cmp_ne_u64_e32 vcc_lo, v[2:3], v[7:8]
	s_and_b32 exec_lo, exec_lo, vcc_lo
	s_cbranch_execz .LBB7_665
; %bb.663:
	s_mov_b32 s4, 0
.LBB7_664:                              ; =>This Inner Loop Header: Depth=1
	s_sleep 1
	global_store_dwordx2 v[4:5], v[2:3], off
	s_waitcnt_vscnt null, 0x0
	global_atomic_cmpswap_x2 v[7:8], v6, v[0:3], s[26:27] offset:24 glc
	s_waitcnt vmcnt(0)
	v_cmp_eq_u64_e32 vcc_lo, v[7:8], v[2:3]
	v_mov_b32_e32 v2, v7
	v_mov_b32_e32 v3, v8
	s_or_b32 s4, vcc_lo, s4
	s_andn2_b32 exec_lo, exec_lo, s4
	s_cbranch_execnz .LBB7_664
.LBB7_665:
	s_or_b32 exec_lo, exec_lo, s5
.LBB7_666:
	v_readfirstlane_b32 s4, v38
	s_waitcnt vmcnt(0)
	v_mov_b32_e32 v6, 0
	v_mov_b32_e32 v7, 0
	v_cmp_eq_u32_e64 s4, s4, v38
	s_and_saveexec_b32 s5, s4
	s_cbranch_execz .LBB7_672
; %bb.667:
	v_mov_b32_e32 v0, 0
	s_mov_b32 s6, exec_lo
	global_load_dwordx2 v[3:4], v0, s[26:27] offset:24 glc dlc
	s_waitcnt vmcnt(0)
	buffer_gl1_inv
	buffer_gl0_inv
	s_clause 0x1
	global_load_dwordx2 v[1:2], v0, s[26:27] offset:40
	global_load_dwordx2 v[5:6], v0, s[26:27]
	s_waitcnt vmcnt(1)
	v_and_b32_e32 v2, v2, v4
	v_and_b32_e32 v1, v1, v3
	v_mul_lo_u32 v2, v2, 24
	v_mul_hi_u32 v7, v1, 24
	v_mul_lo_u32 v1, v1, 24
	v_add_nc_u32_e32 v2, v7, v2
	s_waitcnt vmcnt(0)
	v_add_co_u32 v1, vcc_lo, v5, v1
	v_add_co_ci_u32_e32 v2, vcc_lo, v6, v2, vcc_lo
	global_load_dwordx2 v[1:2], v[1:2], off glc dlc
	s_waitcnt vmcnt(0)
	global_atomic_cmpswap_x2 v[6:7], v0, v[1:4], s[26:27] offset:24 glc
	s_waitcnt vmcnt(0)
	buffer_gl1_inv
	buffer_gl0_inv
	v_cmpx_ne_u64_e64 v[6:7], v[3:4]
	s_cbranch_execz .LBB7_671
; %bb.668:
	s_mov_b32 s7, 0
.LBB7_669:                              ; =>This Inner Loop Header: Depth=1
	s_sleep 1
	s_clause 0x1
	global_load_dwordx2 v[1:2], v0, s[26:27] offset:40
	global_load_dwordx2 v[8:9], v0, s[26:27]
	v_mov_b32_e32 v3, v6
	v_mov_b32_e32 v4, v7
	s_waitcnt vmcnt(1)
	v_and_b32_e32 v1, v1, v3
	v_and_b32_e32 v2, v2, v4
	s_waitcnt vmcnt(0)
	v_mad_u64_u32 v[5:6], null, v1, 24, v[8:9]
	v_mov_b32_e32 v1, v6
	v_mad_u64_u32 v[1:2], null, v2, 24, v[1:2]
	v_mov_b32_e32 v6, v1
	global_load_dwordx2 v[1:2], v[5:6], off glc dlc
	s_waitcnt vmcnt(0)
	global_atomic_cmpswap_x2 v[6:7], v0, v[1:4], s[26:27] offset:24 glc
	s_waitcnt vmcnt(0)
	buffer_gl1_inv
	buffer_gl0_inv
	v_cmp_eq_u64_e32 vcc_lo, v[6:7], v[3:4]
	s_or_b32 s7, vcc_lo, s7
	s_andn2_b32 exec_lo, exec_lo, s7
	s_cbranch_execnz .LBB7_669
; %bb.670:
	s_or_b32 exec_lo, exec_lo, s7
.LBB7_671:
	s_or_b32 exec_lo, exec_lo, s6
.LBB7_672:
	s_or_b32 exec_lo, exec_lo, s5
	v_mov_b32_e32 v5, 0
	v_readfirstlane_b32 s6, v6
	v_readfirstlane_b32 s7, v7
	s_mov_b32 s5, exec_lo
	s_clause 0x1
	global_load_dwordx2 v[8:9], v5, s[26:27] offset:40
	global_load_dwordx4 v[0:3], v5, s[26:27]
	s_waitcnt vmcnt(1)
	v_readfirstlane_b32 s8, v8
	v_readfirstlane_b32 s9, v9
	s_and_b64 s[8:9], s[6:7], s[8:9]
	s_mul_i32 s10, s9, 24
	s_mul_hi_u32 s11, s8, 24
	s_mul_i32 s12, s8, 24
	s_add_i32 s11, s11, s10
	s_waitcnt vmcnt(0)
	v_add_co_u32 v8, vcc_lo, v0, s12
	v_add_co_ci_u32_e32 v9, vcc_lo, s11, v1, vcc_lo
	s_and_saveexec_b32 s10, s4
	s_cbranch_execz .LBB7_674
; %bb.673:
	v_mov_b32_e32 v4, s5
	v_mov_b32_e32 v6, 2
	;; [unrolled: 1-line block ×3, first 2 shown]
	global_store_dwordx4 v[8:9], v[4:7], off offset:8
.LBB7_674:
	s_or_b32 exec_lo, exec_lo, s10
	s_lshl_b64 s[8:9], s[8:9], 12
	v_mov_b32_e32 v4, 33
	v_add_co_u32 v2, vcc_lo, v2, s8
	v_add_co_ci_u32_e32 v3, vcc_lo, s9, v3, vcc_lo
	s_mov_b32 s8, 0
	v_add_co_u32 v10, vcc_lo, v2, v37
	s_mov_b32 s11, s8
	s_mov_b32 s9, s8
	;; [unrolled: 1-line block ×3, first 2 shown]
	v_mov_b32_e32 v6, v5
	v_mov_b32_e32 v7, v5
	v_readfirstlane_b32 s12, v2
	v_readfirstlane_b32 s13, v3
	v_mov_b32_e32 v15, s11
	v_add_co_ci_u32_e32 v11, vcc_lo, 0, v3, vcc_lo
	v_mov_b32_e32 v14, s10
	v_mov_b32_e32 v13, s9
	;; [unrolled: 1-line block ×3, first 2 shown]
	global_store_dwordx4 v37, v[4:7], s[12:13]
	global_store_dwordx4 v37, v[12:15], s[12:13] offset:16
	global_store_dwordx4 v37, v[12:15], s[12:13] offset:32
	;; [unrolled: 1-line block ×3, first 2 shown]
	s_and_saveexec_b32 s5, s4
	s_cbranch_execz .LBB7_682
; %bb.675:
	v_mov_b32_e32 v6, 0
	v_mov_b32_e32 v12, s6
	;; [unrolled: 1-line block ×3, first 2 shown]
	s_clause 0x1
	global_load_dwordx2 v[14:15], v6, s[26:27] offset:32 glc dlc
	global_load_dwordx2 v[2:3], v6, s[26:27] offset:40
	s_waitcnt vmcnt(0)
	v_readfirstlane_b32 s8, v2
	v_readfirstlane_b32 s9, v3
	s_and_b64 s[8:9], s[8:9], s[6:7]
	s_mul_i32 s9, s9, 24
	s_mul_hi_u32 s10, s8, 24
	s_mul_i32 s8, s8, 24
	s_add_i32 s10, s10, s9
	v_add_co_u32 v4, vcc_lo, v0, s8
	v_add_co_ci_u32_e32 v5, vcc_lo, s10, v1, vcc_lo
	s_mov_b32 s8, exec_lo
	global_store_dwordx2 v[4:5], v[14:15], off
	s_waitcnt_vscnt null, 0x0
	global_atomic_cmpswap_x2 v[2:3], v6, v[12:15], s[26:27] offset:32 glc
	s_waitcnt vmcnt(0)
	v_cmpx_ne_u64_e64 v[2:3], v[14:15]
	s_cbranch_execz .LBB7_678
; %bb.676:
	s_mov_b32 s9, 0
.LBB7_677:                              ; =>This Inner Loop Header: Depth=1
	v_mov_b32_e32 v0, s6
	v_mov_b32_e32 v1, s7
	s_sleep 1
	global_store_dwordx2 v[4:5], v[2:3], off
	s_waitcnt_vscnt null, 0x0
	global_atomic_cmpswap_x2 v[0:1], v6, v[0:3], s[26:27] offset:32 glc
	s_waitcnt vmcnt(0)
	v_cmp_eq_u64_e32 vcc_lo, v[0:1], v[2:3]
	v_mov_b32_e32 v3, v1
	v_mov_b32_e32 v2, v0
	s_or_b32 s9, vcc_lo, s9
	s_andn2_b32 exec_lo, exec_lo, s9
	s_cbranch_execnz .LBB7_677
.LBB7_678:
	s_or_b32 exec_lo, exec_lo, s8
	v_mov_b32_e32 v3, 0
	s_mov_b32 s9, exec_lo
	s_mov_b32 s8, exec_lo
	v_mbcnt_lo_u32_b32 v2, s9, 0
	global_load_dwordx2 v[0:1], v3, s[26:27] offset:16
	v_cmpx_eq_u32_e32 0, v2
	s_cbranch_execz .LBB7_680
; %bb.679:
	s_bcnt1_i32_b32 s9, s9
	v_mov_b32_e32 v2, s9
	s_waitcnt vmcnt(0)
	global_atomic_add_x2 v[0:1], v[2:3], off offset:8
.LBB7_680:
	s_or_b32 exec_lo, exec_lo, s8
	s_waitcnt vmcnt(0)
	global_load_dwordx2 v[2:3], v[0:1], off offset:16
	s_waitcnt vmcnt(0)
	v_cmp_eq_u64_e32 vcc_lo, 0, v[2:3]
	s_cbranch_vccnz .LBB7_682
; %bb.681:
	global_load_dword v0, v[0:1], off offset:24
	v_mov_b32_e32 v1, 0
	s_waitcnt vmcnt(0)
	v_and_b32_e32 v4, 0x7fffff, v0
	s_waitcnt_vscnt null, 0x0
	global_store_dwordx2 v[2:3], v[0:1], off
	v_readfirstlane_b32 m0, v4
	s_sendmsg sendmsg(MSG_INTERRUPT)
.LBB7_682:
	s_or_b32 exec_lo, exec_lo, s5
	s_branch .LBB7_686
	.p2align	6
.LBB7_683:                              ;   in Loop: Header=BB7_686 Depth=1
	s_or_b32 exec_lo, exec_lo, s5
	v_readfirstlane_b32 s5, v0
	s_cmp_eq_u32 s5, 0
	s_cbranch_scc1 .LBB7_685
; %bb.684:                              ;   in Loop: Header=BB7_686 Depth=1
	s_sleep 1
	s_cbranch_execnz .LBB7_686
	s_branch .LBB7_688
	.p2align	6
.LBB7_685:
	s_branch .LBB7_688
.LBB7_686:                              ; =>This Inner Loop Header: Depth=1
	v_mov_b32_e32 v0, 1
	s_and_saveexec_b32 s5, s4
	s_cbranch_execz .LBB7_683
; %bb.687:                              ;   in Loop: Header=BB7_686 Depth=1
	global_load_dword v0, v[8:9], off offset:20 glc dlc
	s_waitcnt vmcnt(0)
	buffer_gl1_inv
	buffer_gl0_inv
	v_and_b32_e32 v0, 1, v0
	s_branch .LBB7_683
.LBB7_688:
	global_load_dwordx2 v[0:1], v[10:11], off
	s_and_saveexec_b32 s5, s4
	s_cbranch_execz .LBB7_692
; %bb.689:
	v_mov_b32_e32 v8, 0
	s_clause 0x2
	global_load_dwordx2 v[4:5], v8, s[26:27] offset:40
	global_load_dwordx2 v[9:10], v8, s[26:27] offset:24 glc dlc
	global_load_dwordx2 v[6:7], v8, s[26:27]
	s_waitcnt vmcnt(2)
	v_add_co_u32 v11, vcc_lo, v4, 1
	v_add_co_ci_u32_e32 v12, vcc_lo, 0, v5, vcc_lo
	v_add_co_u32 v2, vcc_lo, v11, s6
	v_add_co_ci_u32_e32 v3, vcc_lo, s7, v12, vcc_lo
	v_cmp_eq_u64_e32 vcc_lo, 0, v[2:3]
	v_cndmask_b32_e32 v3, v3, v12, vcc_lo
	v_cndmask_b32_e32 v2, v2, v11, vcc_lo
	v_and_b32_e32 v5, v3, v5
	v_and_b32_e32 v4, v2, v4
	v_mul_lo_u32 v5, v5, 24
	v_mul_hi_u32 v11, v4, 24
	v_mul_lo_u32 v4, v4, 24
	v_add_nc_u32_e32 v5, v11, v5
	s_waitcnt vmcnt(0)
	v_add_co_u32 v6, vcc_lo, v6, v4
	v_mov_b32_e32 v4, v9
	v_add_co_ci_u32_e32 v7, vcc_lo, v7, v5, vcc_lo
	v_mov_b32_e32 v5, v10
	global_store_dwordx2 v[6:7], v[9:10], off
	s_waitcnt_vscnt null, 0x0
	global_atomic_cmpswap_x2 v[4:5], v8, v[2:5], s[26:27] offset:24 glc
	s_waitcnt vmcnt(0)
	v_cmp_ne_u64_e32 vcc_lo, v[4:5], v[9:10]
	s_and_b32 exec_lo, exec_lo, vcc_lo
	s_cbranch_execz .LBB7_692
; %bb.690:
	s_mov_b32 s4, 0
.LBB7_691:                              ; =>This Inner Loop Header: Depth=1
	s_sleep 1
	global_store_dwordx2 v[6:7], v[4:5], off
	s_waitcnt_vscnt null, 0x0
	global_atomic_cmpswap_x2 v[9:10], v8, v[2:5], s[26:27] offset:24 glc
	s_waitcnt vmcnt(0)
	v_cmp_eq_u64_e32 vcc_lo, v[9:10], v[4:5]
	v_mov_b32_e32 v4, v9
	v_mov_b32_e32 v5, v10
	s_or_b32 s4, vcc_lo, s4
	s_andn2_b32 exec_lo, exec_lo, s4
	s_cbranch_execnz .LBB7_691
.LBB7_692:
	s_or_b32 exec_lo, exec_lo, s5
	s_and_b32 vcc_lo, exec_lo, s33
	s_cbranch_vccz .LBB7_771
; %bb.693:
	s_waitcnt vmcnt(0)
	v_and_b32_e32 v31, 2, v0
	v_mov_b32_e32 v6, 0
	v_and_b32_e32 v2, -3, v0
	v_mov_b32_e32 v3, v1
	v_mov_b32_e32 v7, 2
	;; [unrolled: 1-line block ×3, first 2 shown]
	s_mov_b64 s[8:9], 3
	s_getpc_b64 s[6:7]
	s_add_u32 s6, s6, .str.6@rel32@lo+4
	s_addc_u32 s7, s7, .str.6@rel32@hi+12
	s_branch .LBB7_695
.LBB7_694:                              ;   in Loop: Header=BB7_695 Depth=1
	s_or_b32 exec_lo, exec_lo, s5
	s_sub_u32 s8, s8, s10
	s_subb_u32 s9, s9, s11
	s_add_u32 s6, s6, s10
	s_addc_u32 s7, s7, s11
	s_cmp_lg_u64 s[8:9], 0
	s_cbranch_scc0 .LBB7_770
.LBB7_695:                              ; =>This Loop Header: Depth=1
                                        ;     Child Loop BB7_704 Depth 2
                                        ;     Child Loop BB7_700 Depth 2
	;; [unrolled: 1-line block ×11, first 2 shown]
	v_cmp_lt_u64_e64 s4, s[8:9], 56
	v_cmp_gt_u64_e64 s5, s[8:9], 7
                                        ; implicit-def: $vgpr11_vgpr12
                                        ; implicit-def: $sgpr17
	s_and_b32 s4, s4, exec_lo
	s_cselect_b32 s11, s9, 0
	s_cselect_b32 s10, s8, 56
	s_and_b32 vcc_lo, exec_lo, s5
	s_mov_b32 s4, -1
	s_cbranch_vccz .LBB7_702
; %bb.696:                              ;   in Loop: Header=BB7_695 Depth=1
	s_andn2_b32 vcc_lo, exec_lo, s4
	s_mov_b64 s[4:5], s[6:7]
	s_cbranch_vccz .LBB7_706
.LBB7_697:                              ;   in Loop: Header=BB7_695 Depth=1
	s_cmp_gt_u32 s17, 7
	s_cbranch_scc1 .LBB7_707
.LBB7_698:                              ;   in Loop: Header=BB7_695 Depth=1
	v_mov_b32_e32 v13, 0
	v_mov_b32_e32 v14, 0
	s_cmp_eq_u32 s17, 0
	s_cbranch_scc1 .LBB7_701
; %bb.699:                              ;   in Loop: Header=BB7_695 Depth=1
	s_mov_b64 s[12:13], 0
	s_mov_b64 s[14:15], 0
.LBB7_700:                              ;   Parent Loop BB7_695 Depth=1
                                        ; =>  This Inner Loop Header: Depth=2
	s_add_u32 s18, s4, s14
	s_addc_u32 s19, s5, s15
	s_add_u32 s14, s14, 1
	global_load_ubyte v4, v6, s[18:19]
	s_addc_u32 s15, s15, 0
	s_waitcnt vmcnt(0)
	v_and_b32_e32 v5, 0xffff, v4
	v_lshlrev_b64 v[4:5], s12, v[5:6]
	s_add_u32 s12, s12, 8
	s_addc_u32 s13, s13, 0
	s_cmp_lg_u32 s17, s14
	v_or_b32_e32 v13, v4, v13
	v_or_b32_e32 v14, v5, v14
	s_cbranch_scc1 .LBB7_700
.LBB7_701:                              ;   in Loop: Header=BB7_695 Depth=1
	s_mov_b32 s18, 0
	s_cbranch_execz .LBB7_708
	s_branch .LBB7_709
.LBB7_702:                              ;   in Loop: Header=BB7_695 Depth=1
	v_mov_b32_e32 v11, 0
	v_mov_b32_e32 v12, 0
	s_cmp_eq_u64 s[8:9], 0
	s_mov_b64 s[4:5], 0
	s_cbranch_scc1 .LBB7_705
; %bb.703:                              ;   in Loop: Header=BB7_695 Depth=1
	v_mov_b32_e32 v11, 0
	v_mov_b32_e32 v12, 0
	s_lshl_b64 s[12:13], s[10:11], 3
	s_mov_b64 s[14:15], s[6:7]
.LBB7_704:                              ;   Parent Loop BB7_695 Depth=1
                                        ; =>  This Inner Loop Header: Depth=2
	global_load_ubyte v4, v6, s[14:15]
	s_waitcnt vmcnt(0)
	v_and_b32_e32 v5, 0xffff, v4
	v_lshlrev_b64 v[4:5], s4, v[5:6]
	s_add_u32 s4, s4, 8
	s_addc_u32 s5, s5, 0
	s_add_u32 s14, s14, 1
	s_addc_u32 s15, s15, 0
	s_cmp_lg_u32 s12, s4
	v_or_b32_e32 v11, v4, v11
	v_or_b32_e32 v12, v5, v12
	s_cbranch_scc1 .LBB7_704
.LBB7_705:                              ;   in Loop: Header=BB7_695 Depth=1
	s_mov_b32 s17, 0
	s_mov_b64 s[4:5], s[6:7]
	s_cbranch_execnz .LBB7_697
.LBB7_706:                              ;   in Loop: Header=BB7_695 Depth=1
	global_load_dwordx2 v[11:12], v6, s[6:7]
	s_add_i32 s17, s10, -8
	s_add_u32 s4, s6, 8
	s_addc_u32 s5, s7, 0
	s_cmp_gt_u32 s17, 7
	s_cbranch_scc0 .LBB7_698
.LBB7_707:                              ;   in Loop: Header=BB7_695 Depth=1
                                        ; implicit-def: $vgpr13_vgpr14
                                        ; implicit-def: $sgpr18
.LBB7_708:                              ;   in Loop: Header=BB7_695 Depth=1
	global_load_dwordx2 v[13:14], v6, s[4:5]
	s_add_i32 s18, s17, -8
	s_add_u32 s4, s4, 8
	s_addc_u32 s5, s5, 0
.LBB7_709:                              ;   in Loop: Header=BB7_695 Depth=1
	s_cmp_gt_u32 s18, 7
	s_cbranch_scc1 .LBB7_714
; %bb.710:                              ;   in Loop: Header=BB7_695 Depth=1
	v_mov_b32_e32 v15, 0
	v_mov_b32_e32 v16, 0
	s_cmp_eq_u32 s18, 0
	s_cbranch_scc1 .LBB7_713
; %bb.711:                              ;   in Loop: Header=BB7_695 Depth=1
	s_mov_b64 s[12:13], 0
	s_mov_b64 s[14:15], 0
.LBB7_712:                              ;   Parent Loop BB7_695 Depth=1
                                        ; =>  This Inner Loop Header: Depth=2
	s_add_u32 s20, s4, s14
	s_addc_u32 s21, s5, s15
	s_add_u32 s14, s14, 1
	global_load_ubyte v4, v6, s[20:21]
	s_addc_u32 s15, s15, 0
	s_waitcnt vmcnt(0)
	v_and_b32_e32 v5, 0xffff, v4
	v_lshlrev_b64 v[4:5], s12, v[5:6]
	s_add_u32 s12, s12, 8
	s_addc_u32 s13, s13, 0
	s_cmp_lg_u32 s18, s14
	v_or_b32_e32 v15, v4, v15
	v_or_b32_e32 v16, v5, v16
	s_cbranch_scc1 .LBB7_712
.LBB7_713:                              ;   in Loop: Header=BB7_695 Depth=1
	s_mov_b32 s17, 0
	s_cbranch_execz .LBB7_715
	s_branch .LBB7_716
.LBB7_714:                              ;   in Loop: Header=BB7_695 Depth=1
                                        ; implicit-def: $sgpr17
.LBB7_715:                              ;   in Loop: Header=BB7_695 Depth=1
	global_load_dwordx2 v[15:16], v6, s[4:5]
	s_add_i32 s17, s18, -8
	s_add_u32 s4, s4, 8
	s_addc_u32 s5, s5, 0
.LBB7_716:                              ;   in Loop: Header=BB7_695 Depth=1
	s_cmp_gt_u32 s17, 7
	s_cbranch_scc1 .LBB7_721
; %bb.717:                              ;   in Loop: Header=BB7_695 Depth=1
	v_mov_b32_e32 v17, 0
	v_mov_b32_e32 v18, 0
	s_cmp_eq_u32 s17, 0
	s_cbranch_scc1 .LBB7_720
; %bb.718:                              ;   in Loop: Header=BB7_695 Depth=1
	s_mov_b64 s[12:13], 0
	s_mov_b64 s[14:15], 0
.LBB7_719:                              ;   Parent Loop BB7_695 Depth=1
                                        ; =>  This Inner Loop Header: Depth=2
	s_add_u32 s18, s4, s14
	s_addc_u32 s19, s5, s15
	s_add_u32 s14, s14, 1
	global_load_ubyte v4, v6, s[18:19]
	s_addc_u32 s15, s15, 0
	s_waitcnt vmcnt(0)
	v_and_b32_e32 v5, 0xffff, v4
	v_lshlrev_b64 v[4:5], s12, v[5:6]
	s_add_u32 s12, s12, 8
	s_addc_u32 s13, s13, 0
	s_cmp_lg_u32 s17, s14
	v_or_b32_e32 v17, v4, v17
	v_or_b32_e32 v18, v5, v18
	s_cbranch_scc1 .LBB7_719
.LBB7_720:                              ;   in Loop: Header=BB7_695 Depth=1
	s_mov_b32 s18, 0
	s_cbranch_execz .LBB7_722
	s_branch .LBB7_723
.LBB7_721:                              ;   in Loop: Header=BB7_695 Depth=1
                                        ; implicit-def: $vgpr17_vgpr18
                                        ; implicit-def: $sgpr18
.LBB7_722:                              ;   in Loop: Header=BB7_695 Depth=1
	global_load_dwordx2 v[17:18], v6, s[4:5]
	s_add_i32 s18, s17, -8
	s_add_u32 s4, s4, 8
	s_addc_u32 s5, s5, 0
.LBB7_723:                              ;   in Loop: Header=BB7_695 Depth=1
	s_cmp_gt_u32 s18, 7
	s_cbranch_scc1 .LBB7_728
; %bb.724:                              ;   in Loop: Header=BB7_695 Depth=1
	v_mov_b32_e32 v19, 0
	v_mov_b32_e32 v20, 0
	s_cmp_eq_u32 s18, 0
	s_cbranch_scc1 .LBB7_727
; %bb.725:                              ;   in Loop: Header=BB7_695 Depth=1
	s_mov_b64 s[12:13], 0
	s_mov_b64 s[14:15], 0
.LBB7_726:                              ;   Parent Loop BB7_695 Depth=1
                                        ; =>  This Inner Loop Header: Depth=2
	s_add_u32 s20, s4, s14
	s_addc_u32 s21, s5, s15
	s_add_u32 s14, s14, 1
	global_load_ubyte v4, v6, s[20:21]
	s_addc_u32 s15, s15, 0
	s_waitcnt vmcnt(0)
	v_and_b32_e32 v5, 0xffff, v4
	v_lshlrev_b64 v[4:5], s12, v[5:6]
	s_add_u32 s12, s12, 8
	s_addc_u32 s13, s13, 0
	s_cmp_lg_u32 s18, s14
	v_or_b32_e32 v19, v4, v19
	v_or_b32_e32 v20, v5, v20
	s_cbranch_scc1 .LBB7_726
.LBB7_727:                              ;   in Loop: Header=BB7_695 Depth=1
	s_mov_b32 s17, 0
	s_cbranch_execz .LBB7_729
	s_branch .LBB7_730
.LBB7_728:                              ;   in Loop: Header=BB7_695 Depth=1
                                        ; implicit-def: $sgpr17
.LBB7_729:                              ;   in Loop: Header=BB7_695 Depth=1
	global_load_dwordx2 v[19:20], v6, s[4:5]
	s_add_i32 s17, s18, -8
	s_add_u32 s4, s4, 8
	s_addc_u32 s5, s5, 0
.LBB7_730:                              ;   in Loop: Header=BB7_695 Depth=1
	s_cmp_gt_u32 s17, 7
	s_cbranch_scc1 .LBB7_735
; %bb.731:                              ;   in Loop: Header=BB7_695 Depth=1
	v_mov_b32_e32 v21, 0
	v_mov_b32_e32 v22, 0
	s_cmp_eq_u32 s17, 0
	s_cbranch_scc1 .LBB7_734
; %bb.732:                              ;   in Loop: Header=BB7_695 Depth=1
	s_mov_b64 s[12:13], 0
	s_mov_b64 s[14:15], 0
.LBB7_733:                              ;   Parent Loop BB7_695 Depth=1
                                        ; =>  This Inner Loop Header: Depth=2
	s_add_u32 s18, s4, s14
	s_addc_u32 s19, s5, s15
	s_add_u32 s14, s14, 1
	global_load_ubyte v4, v6, s[18:19]
	s_addc_u32 s15, s15, 0
	s_waitcnt vmcnt(0)
	v_and_b32_e32 v5, 0xffff, v4
	v_lshlrev_b64 v[4:5], s12, v[5:6]
	s_add_u32 s12, s12, 8
	s_addc_u32 s13, s13, 0
	s_cmp_lg_u32 s17, s14
	v_or_b32_e32 v21, v4, v21
	v_or_b32_e32 v22, v5, v22
	s_cbranch_scc1 .LBB7_733
.LBB7_734:                              ;   in Loop: Header=BB7_695 Depth=1
	s_mov_b32 s18, 0
	s_cbranch_execz .LBB7_736
	s_branch .LBB7_737
.LBB7_735:                              ;   in Loop: Header=BB7_695 Depth=1
                                        ; implicit-def: $vgpr21_vgpr22
                                        ; implicit-def: $sgpr18
.LBB7_736:                              ;   in Loop: Header=BB7_695 Depth=1
	global_load_dwordx2 v[21:22], v6, s[4:5]
	s_add_i32 s18, s17, -8
	s_add_u32 s4, s4, 8
	s_addc_u32 s5, s5, 0
.LBB7_737:                              ;   in Loop: Header=BB7_695 Depth=1
	s_cmp_gt_u32 s18, 7
	s_cbranch_scc1 .LBB7_742
; %bb.738:                              ;   in Loop: Header=BB7_695 Depth=1
	v_mov_b32_e32 v23, 0
	v_mov_b32_e32 v24, 0
	s_cmp_eq_u32 s18, 0
	s_cbranch_scc1 .LBB7_741
; %bb.739:                              ;   in Loop: Header=BB7_695 Depth=1
	s_mov_b64 s[12:13], 0
	s_mov_b64 s[14:15], s[4:5]
.LBB7_740:                              ;   Parent Loop BB7_695 Depth=1
                                        ; =>  This Inner Loop Header: Depth=2
	global_load_ubyte v4, v6, s[14:15]
	s_add_i32 s18, s18, -1
	s_waitcnt vmcnt(0)
	v_and_b32_e32 v5, 0xffff, v4
	v_lshlrev_b64 v[4:5], s12, v[5:6]
	s_add_u32 s12, s12, 8
	s_addc_u32 s13, s13, 0
	s_add_u32 s14, s14, 1
	s_addc_u32 s15, s15, 0
	s_cmp_lg_u32 s18, 0
	v_or_b32_e32 v23, v4, v23
	v_or_b32_e32 v24, v5, v24
	s_cbranch_scc1 .LBB7_740
.LBB7_741:                              ;   in Loop: Header=BB7_695 Depth=1
	s_cbranch_execz .LBB7_743
	s_branch .LBB7_744
.LBB7_742:                              ;   in Loop: Header=BB7_695 Depth=1
.LBB7_743:                              ;   in Loop: Header=BB7_695 Depth=1
	global_load_dwordx2 v[23:24], v6, s[4:5]
.LBB7_744:                              ;   in Loop: Header=BB7_695 Depth=1
	v_readfirstlane_b32 s4, v38
	s_waitcnt vmcnt(0)
	v_mov_b32_e32 v4, 0
	v_mov_b32_e32 v5, 0
	v_cmp_eq_u32_e64 s4, s4, v38
	s_and_saveexec_b32 s5, s4
	s_cbranch_execz .LBB7_750
; %bb.745:                              ;   in Loop: Header=BB7_695 Depth=1
	global_load_dwordx2 v[27:28], v6, s[26:27] offset:24 glc dlc
	s_waitcnt vmcnt(0)
	buffer_gl1_inv
	buffer_gl0_inv
	s_clause 0x1
	global_load_dwordx2 v[4:5], v6, s[26:27] offset:40
	global_load_dwordx2 v[9:10], v6, s[26:27]
	s_mov_b32 s12, exec_lo
	s_waitcnt vmcnt(1)
	v_and_b32_e32 v5, v5, v28
	v_and_b32_e32 v4, v4, v27
	v_mul_lo_u32 v5, v5, 24
	v_mul_hi_u32 v25, v4, 24
	v_mul_lo_u32 v4, v4, 24
	v_add_nc_u32_e32 v5, v25, v5
	s_waitcnt vmcnt(0)
	v_add_co_u32 v4, vcc_lo, v9, v4
	v_add_co_ci_u32_e32 v5, vcc_lo, v10, v5, vcc_lo
	global_load_dwordx2 v[25:26], v[4:5], off glc dlc
	s_waitcnt vmcnt(0)
	global_atomic_cmpswap_x2 v[4:5], v6, v[25:28], s[26:27] offset:24 glc
	s_waitcnt vmcnt(0)
	buffer_gl1_inv
	buffer_gl0_inv
	v_cmpx_ne_u64_e64 v[4:5], v[27:28]
	s_cbranch_execz .LBB7_749
; %bb.746:                              ;   in Loop: Header=BB7_695 Depth=1
	s_mov_b32 s13, 0
	.p2align	6
.LBB7_747:                              ;   Parent Loop BB7_695 Depth=1
                                        ; =>  This Inner Loop Header: Depth=2
	s_sleep 1
	s_clause 0x1
	global_load_dwordx2 v[9:10], v6, s[26:27] offset:40
	global_load_dwordx2 v[25:26], v6, s[26:27]
	v_mov_b32_e32 v28, v5
	v_mov_b32_e32 v27, v4
	s_waitcnt vmcnt(1)
	v_and_b32_e32 v4, v9, v27
	v_and_b32_e32 v9, v10, v28
	s_waitcnt vmcnt(0)
	v_mad_u64_u32 v[4:5], null, v4, 24, v[25:26]
	v_mad_u64_u32 v[9:10], null, v9, 24, v[5:6]
	v_mov_b32_e32 v5, v9
	global_load_dwordx2 v[25:26], v[4:5], off glc dlc
	s_waitcnt vmcnt(0)
	global_atomic_cmpswap_x2 v[4:5], v6, v[25:28], s[26:27] offset:24 glc
	s_waitcnt vmcnt(0)
	buffer_gl1_inv
	buffer_gl0_inv
	v_cmp_eq_u64_e32 vcc_lo, v[4:5], v[27:28]
	s_or_b32 s13, vcc_lo, s13
	s_andn2_b32 exec_lo, exec_lo, s13
	s_cbranch_execnz .LBB7_747
; %bb.748:                              ;   in Loop: Header=BB7_695 Depth=1
	s_or_b32 exec_lo, exec_lo, s13
.LBB7_749:                              ;   in Loop: Header=BB7_695 Depth=1
	s_or_b32 exec_lo, exec_lo, s12
.LBB7_750:                              ;   in Loop: Header=BB7_695 Depth=1
	s_or_b32 exec_lo, exec_lo, s5
	s_clause 0x1
	global_load_dwordx2 v[9:10], v6, s[26:27] offset:40
	global_load_dwordx4 v[25:28], v6, s[26:27]
	v_readfirstlane_b32 s12, v4
	v_readfirstlane_b32 s13, v5
	s_mov_b32 s5, exec_lo
	s_waitcnt vmcnt(1)
	v_readfirstlane_b32 s14, v9
	v_readfirstlane_b32 s15, v10
	s_and_b64 s[14:15], s[12:13], s[14:15]
	s_mul_i32 s17, s15, 24
	s_mul_hi_u32 s18, s14, 24
	s_mul_i32 s19, s14, 24
	s_add_i32 s18, s18, s17
	s_waitcnt vmcnt(0)
	v_add_co_u32 v29, vcc_lo, v25, s19
	v_add_co_ci_u32_e32 v30, vcc_lo, s18, v26, vcc_lo
	s_and_saveexec_b32 s17, s4
	s_cbranch_execz .LBB7_752
; %bb.751:                              ;   in Loop: Header=BB7_695 Depth=1
	v_mov_b32_e32 v5, s5
	global_store_dwordx4 v[29:30], v[5:8], off offset:8
.LBB7_752:                              ;   in Loop: Header=BB7_695 Depth=1
	s_or_b32 exec_lo, exec_lo, s17
	s_lshl_b64 s[14:15], s[14:15], 12
	v_cmp_gt_u64_e64 vcc_lo, s[8:9], 56
	v_or_b32_e32 v5, v2, v31
	v_add_co_u32 v27, s5, v27, s14
	v_add_co_ci_u32_e64 v28, s5, s15, v28, s5
	s_lshl_b32 s5, s10, 2
	v_or_b32_e32 v4, 0, v3
	v_cndmask_b32_e32 v2, v5, v2, vcc_lo
	s_add_i32 s5, s5, 28
	v_readfirstlane_b32 s14, v27
	s_and_b32 s5, s5, 0x1e0
	v_cndmask_b32_e32 v10, v4, v3, vcc_lo
	v_readfirstlane_b32 s15, v28
	v_and_or_b32 v9, 0xffffff1f, v2, s5
	global_store_dwordx4 v37, v[9:12], s[14:15]
	global_store_dwordx4 v37, v[13:16], s[14:15] offset:16
	global_store_dwordx4 v37, v[17:20], s[14:15] offset:32
	;; [unrolled: 1-line block ×3, first 2 shown]
	s_and_saveexec_b32 s5, s4
	s_cbranch_execz .LBB7_760
; %bb.753:                              ;   in Loop: Header=BB7_695 Depth=1
	s_clause 0x1
	global_load_dwordx2 v[13:14], v6, s[26:27] offset:32 glc dlc
	global_load_dwordx2 v[2:3], v6, s[26:27] offset:40
	v_mov_b32_e32 v11, s12
	v_mov_b32_e32 v12, s13
	s_waitcnt vmcnt(0)
	v_readfirstlane_b32 s14, v2
	v_readfirstlane_b32 s15, v3
	s_and_b64 s[14:15], s[14:15], s[12:13]
	s_mul_i32 s15, s15, 24
	s_mul_hi_u32 s17, s14, 24
	s_mul_i32 s14, s14, 24
	s_add_i32 s17, s17, s15
	v_add_co_u32 v9, vcc_lo, v25, s14
	v_add_co_ci_u32_e32 v10, vcc_lo, s17, v26, vcc_lo
	s_mov_b32 s14, exec_lo
	global_store_dwordx2 v[9:10], v[13:14], off
	s_waitcnt_vscnt null, 0x0
	global_atomic_cmpswap_x2 v[4:5], v6, v[11:14], s[26:27] offset:32 glc
	s_waitcnt vmcnt(0)
	v_cmpx_ne_u64_e64 v[4:5], v[13:14]
	s_cbranch_execz .LBB7_756
; %bb.754:                              ;   in Loop: Header=BB7_695 Depth=1
	s_mov_b32 s15, 0
.LBB7_755:                              ;   Parent Loop BB7_695 Depth=1
                                        ; =>  This Inner Loop Header: Depth=2
	v_mov_b32_e32 v2, s12
	v_mov_b32_e32 v3, s13
	s_sleep 1
	global_store_dwordx2 v[9:10], v[4:5], off
	s_waitcnt_vscnt null, 0x0
	global_atomic_cmpswap_x2 v[2:3], v6, v[2:5], s[26:27] offset:32 glc
	s_waitcnt vmcnt(0)
	v_cmp_eq_u64_e32 vcc_lo, v[2:3], v[4:5]
	v_mov_b32_e32 v5, v3
	v_mov_b32_e32 v4, v2
	s_or_b32 s15, vcc_lo, s15
	s_andn2_b32 exec_lo, exec_lo, s15
	s_cbranch_execnz .LBB7_755
.LBB7_756:                              ;   in Loop: Header=BB7_695 Depth=1
	s_or_b32 exec_lo, exec_lo, s14
	global_load_dwordx2 v[2:3], v6, s[26:27] offset:16
	s_mov_b32 s15, exec_lo
	s_mov_b32 s14, exec_lo
	v_mbcnt_lo_u32_b32 v4, s15, 0
	v_cmpx_eq_u32_e32 0, v4
	s_cbranch_execz .LBB7_758
; %bb.757:                              ;   in Loop: Header=BB7_695 Depth=1
	s_bcnt1_i32_b32 s15, s15
	v_mov_b32_e32 v5, s15
	s_waitcnt vmcnt(0)
	global_atomic_add_x2 v[2:3], v[5:6], off offset:8
.LBB7_758:                              ;   in Loop: Header=BB7_695 Depth=1
	s_or_b32 exec_lo, exec_lo, s14
	s_waitcnt vmcnt(0)
	global_load_dwordx2 v[9:10], v[2:3], off offset:16
	s_waitcnt vmcnt(0)
	v_cmp_eq_u64_e32 vcc_lo, 0, v[9:10]
	s_cbranch_vccnz .LBB7_760
; %bb.759:                              ;   in Loop: Header=BB7_695 Depth=1
	global_load_dword v5, v[2:3], off offset:24
	s_waitcnt vmcnt(0)
	v_and_b32_e32 v2, 0x7fffff, v5
	s_waitcnt_vscnt null, 0x0
	global_store_dwordx2 v[9:10], v[5:6], off
	v_readfirstlane_b32 m0, v2
	s_sendmsg sendmsg(MSG_INTERRUPT)
.LBB7_760:                              ;   in Loop: Header=BB7_695 Depth=1
	s_or_b32 exec_lo, exec_lo, s5
	v_add_co_u32 v2, vcc_lo, v27, v37
	v_add_co_ci_u32_e32 v3, vcc_lo, 0, v28, vcc_lo
	s_branch .LBB7_764
	.p2align	6
.LBB7_761:                              ;   in Loop: Header=BB7_764 Depth=2
	s_or_b32 exec_lo, exec_lo, s5
	v_readfirstlane_b32 s5, v4
	s_cmp_eq_u32 s5, 0
	s_cbranch_scc1 .LBB7_763
; %bb.762:                              ;   in Loop: Header=BB7_764 Depth=2
	s_sleep 1
	s_cbranch_execnz .LBB7_764
	s_branch .LBB7_766
	.p2align	6
.LBB7_763:                              ;   in Loop: Header=BB7_695 Depth=1
	s_branch .LBB7_766
.LBB7_764:                              ;   Parent Loop BB7_695 Depth=1
                                        ; =>  This Inner Loop Header: Depth=2
	v_mov_b32_e32 v4, 1
	s_and_saveexec_b32 s5, s4
	s_cbranch_execz .LBB7_761
; %bb.765:                              ;   in Loop: Header=BB7_764 Depth=2
	global_load_dword v4, v[29:30], off offset:20 glc dlc
	s_waitcnt vmcnt(0)
	buffer_gl1_inv
	buffer_gl0_inv
	v_and_b32_e32 v4, 1, v4
	s_branch .LBB7_761
.LBB7_766:                              ;   in Loop: Header=BB7_695 Depth=1
	global_load_dwordx4 v[2:5], v[2:3], off
	s_and_saveexec_b32 s5, s4
	s_cbranch_execz .LBB7_694
; %bb.767:                              ;   in Loop: Header=BB7_695 Depth=1
	s_clause 0x2
	global_load_dwordx2 v[4:5], v6, s[26:27] offset:40
	global_load_dwordx2 v[13:14], v6, s[26:27] offset:24 glc dlc
	global_load_dwordx2 v[11:12], v6, s[26:27]
	s_waitcnt vmcnt(2)
	v_add_co_u32 v15, vcc_lo, v4, 1
	v_add_co_ci_u32_e32 v16, vcc_lo, 0, v5, vcc_lo
	v_add_co_u32 v9, vcc_lo, v15, s12
	v_add_co_ci_u32_e32 v10, vcc_lo, s13, v16, vcc_lo
	v_cmp_eq_u64_e32 vcc_lo, 0, v[9:10]
	v_cndmask_b32_e32 v10, v10, v16, vcc_lo
	v_cndmask_b32_e32 v9, v9, v15, vcc_lo
	v_and_b32_e32 v5, v10, v5
	v_and_b32_e32 v4, v9, v4
	v_mul_lo_u32 v5, v5, 24
	v_mul_hi_u32 v15, v4, 24
	v_mul_lo_u32 v4, v4, 24
	v_add_nc_u32_e32 v5, v15, v5
	s_waitcnt vmcnt(0)
	v_add_co_u32 v4, vcc_lo, v11, v4
	v_mov_b32_e32 v11, v13
	v_add_co_ci_u32_e32 v5, vcc_lo, v12, v5, vcc_lo
	v_mov_b32_e32 v12, v14
	global_store_dwordx2 v[4:5], v[13:14], off
	s_waitcnt_vscnt null, 0x0
	global_atomic_cmpswap_x2 v[11:12], v6, v[9:12], s[26:27] offset:24 glc
	s_waitcnt vmcnt(0)
	v_cmp_ne_u64_e32 vcc_lo, v[11:12], v[13:14]
	s_and_b32 exec_lo, exec_lo, vcc_lo
	s_cbranch_execz .LBB7_694
; %bb.768:                              ;   in Loop: Header=BB7_695 Depth=1
	s_mov_b32 s4, 0
.LBB7_769:                              ;   Parent Loop BB7_695 Depth=1
                                        ; =>  This Inner Loop Header: Depth=2
	s_sleep 1
	global_store_dwordx2 v[4:5], v[11:12], off
	s_waitcnt_vscnt null, 0x0
	global_atomic_cmpswap_x2 v[13:14], v6, v[9:12], s[26:27] offset:24 glc
	s_waitcnt vmcnt(0)
	v_cmp_eq_u64_e32 vcc_lo, v[13:14], v[11:12]
	v_mov_b32_e32 v11, v13
	v_mov_b32_e32 v12, v14
	s_or_b32 s4, vcc_lo, s4
	s_andn2_b32 exec_lo, exec_lo, s4
	s_cbranch_execnz .LBB7_769
	s_branch .LBB7_694
.LBB7_770:
	s_mov_b32 s4, 0
	s_branch .LBB7_772
.LBB7_771:
	s_mov_b32 s4, -1
                                        ; implicit-def: $vgpr2_vgpr3
.LBB7_772:
	s_and_b32 vcc_lo, exec_lo, s4
	s_cbranch_vccz .LBB7_800
; %bb.773:
	v_readfirstlane_b32 s4, v38
	v_mov_b32_e32 v8, 0
	v_mov_b32_e32 v9, 0
	v_cmp_eq_u32_e64 s4, s4, v38
	s_and_saveexec_b32 s5, s4
	s_cbranch_execz .LBB7_779
; %bb.774:
	s_waitcnt vmcnt(0)
	v_mov_b32_e32 v2, 0
	s_mov_b32 s6, exec_lo
	global_load_dwordx2 v[5:6], v2, s[26:27] offset:24 glc dlc
	s_waitcnt vmcnt(0)
	buffer_gl1_inv
	buffer_gl0_inv
	s_clause 0x1
	global_load_dwordx2 v[3:4], v2, s[26:27] offset:40
	global_load_dwordx2 v[7:8], v2, s[26:27]
	s_waitcnt vmcnt(1)
	v_and_b32_e32 v4, v4, v6
	v_and_b32_e32 v3, v3, v5
	v_mul_lo_u32 v4, v4, 24
	v_mul_hi_u32 v9, v3, 24
	v_mul_lo_u32 v3, v3, 24
	v_add_nc_u32_e32 v4, v9, v4
	s_waitcnt vmcnt(0)
	v_add_co_u32 v3, vcc_lo, v7, v3
	v_add_co_ci_u32_e32 v4, vcc_lo, v8, v4, vcc_lo
	global_load_dwordx2 v[3:4], v[3:4], off glc dlc
	s_waitcnt vmcnt(0)
	global_atomic_cmpswap_x2 v[8:9], v2, v[3:6], s[26:27] offset:24 glc
	s_waitcnt vmcnt(0)
	buffer_gl1_inv
	buffer_gl0_inv
	v_cmpx_ne_u64_e64 v[8:9], v[5:6]
	s_cbranch_execz .LBB7_778
; %bb.775:
	s_mov_b32 s7, 0
.LBB7_776:                              ; =>This Inner Loop Header: Depth=1
	s_sleep 1
	s_clause 0x1
	global_load_dwordx2 v[3:4], v2, s[26:27] offset:40
	global_load_dwordx2 v[10:11], v2, s[26:27]
	v_mov_b32_e32 v5, v8
	v_mov_b32_e32 v6, v9
	s_waitcnt vmcnt(1)
	v_and_b32_e32 v3, v3, v5
	v_and_b32_e32 v4, v4, v6
	s_waitcnt vmcnt(0)
	v_mad_u64_u32 v[7:8], null, v3, 24, v[10:11]
	v_mov_b32_e32 v3, v8
	v_mad_u64_u32 v[3:4], null, v4, 24, v[3:4]
	v_mov_b32_e32 v8, v3
	global_load_dwordx2 v[3:4], v[7:8], off glc dlc
	s_waitcnt vmcnt(0)
	global_atomic_cmpswap_x2 v[8:9], v2, v[3:6], s[26:27] offset:24 glc
	s_waitcnt vmcnt(0)
	buffer_gl1_inv
	buffer_gl0_inv
	v_cmp_eq_u64_e32 vcc_lo, v[8:9], v[5:6]
	s_or_b32 s7, vcc_lo, s7
	s_andn2_b32 exec_lo, exec_lo, s7
	s_cbranch_execnz .LBB7_776
; %bb.777:
	s_or_b32 exec_lo, exec_lo, s7
.LBB7_778:
	s_or_b32 exec_lo, exec_lo, s6
.LBB7_779:
	s_or_b32 exec_lo, exec_lo, s5
	s_waitcnt vmcnt(0)
	v_mov_b32_e32 v2, 0
	v_readfirstlane_b32 s6, v8
	v_readfirstlane_b32 s7, v9
	s_mov_b32 s5, exec_lo
	s_clause 0x1
	global_load_dwordx2 v[10:11], v2, s[26:27] offset:40
	global_load_dwordx4 v[4:7], v2, s[26:27]
	s_waitcnt vmcnt(1)
	v_readfirstlane_b32 s8, v10
	v_readfirstlane_b32 s9, v11
	s_and_b64 s[8:9], s[6:7], s[8:9]
	s_mul_i32 s10, s9, 24
	s_mul_hi_u32 s11, s8, 24
	s_mul_i32 s12, s8, 24
	s_add_i32 s11, s11, s10
	s_waitcnt vmcnt(0)
	v_add_co_u32 v8, vcc_lo, v4, s12
	v_add_co_ci_u32_e32 v9, vcc_lo, s11, v5, vcc_lo
	s_and_saveexec_b32 s10, s4
	s_cbranch_execz .LBB7_781
; %bb.780:
	v_mov_b32_e32 v10, s5
	v_mov_b32_e32 v11, v2
	;; [unrolled: 1-line block ×4, first 2 shown]
	global_store_dwordx4 v[8:9], v[10:13], off offset:8
.LBB7_781:
	s_or_b32 exec_lo, exec_lo, s10
	s_lshl_b64 s[8:9], s[8:9], 12
	v_and_or_b32 v0, 0xffffff1f, v0, 32
	v_add_co_u32 v6, vcc_lo, v6, s8
	v_add_co_ci_u32_e32 v7, vcc_lo, s9, v7, vcc_lo
	s_mov_b32 s8, 0
	v_readfirstlane_b32 s12, v6
	s_mov_b32 s11, s8
	v_add_co_u32 v6, vcc_lo, v6, v37
	s_mov_b32 s9, s8
	s_mov_b32 s10, s8
	v_mov_b32_e32 v3, v2
	v_readfirstlane_b32 s13, v7
	v_mov_b32_e32 v13, s11
	v_add_co_ci_u32_e32 v7, vcc_lo, 0, v7, vcc_lo
	v_mov_b32_e32 v12, s10
	v_mov_b32_e32 v11, s9
	;; [unrolled: 1-line block ×3, first 2 shown]
	global_store_dwordx4 v37, v[0:3], s[12:13]
	global_store_dwordx4 v37, v[10:13], s[12:13] offset:16
	global_store_dwordx4 v37, v[10:13], s[12:13] offset:32
	;; [unrolled: 1-line block ×3, first 2 shown]
	s_and_saveexec_b32 s5, s4
	s_cbranch_execz .LBB7_789
; %bb.782:
	v_mov_b32_e32 v10, 0
	v_mov_b32_e32 v11, s6
	;; [unrolled: 1-line block ×3, first 2 shown]
	s_clause 0x1
	global_load_dwordx2 v[13:14], v10, s[26:27] offset:32 glc dlc
	global_load_dwordx2 v[0:1], v10, s[26:27] offset:40
	s_waitcnt vmcnt(0)
	v_readfirstlane_b32 s8, v0
	v_readfirstlane_b32 s9, v1
	s_and_b64 s[8:9], s[8:9], s[6:7]
	s_mul_i32 s9, s9, 24
	s_mul_hi_u32 s10, s8, 24
	s_mul_i32 s8, s8, 24
	s_add_i32 s10, s10, s9
	v_add_co_u32 v4, vcc_lo, v4, s8
	v_add_co_ci_u32_e32 v5, vcc_lo, s10, v5, vcc_lo
	s_mov_b32 s8, exec_lo
	global_store_dwordx2 v[4:5], v[13:14], off
	s_waitcnt_vscnt null, 0x0
	global_atomic_cmpswap_x2 v[2:3], v10, v[11:14], s[26:27] offset:32 glc
	s_waitcnt vmcnt(0)
	v_cmpx_ne_u64_e64 v[2:3], v[13:14]
	s_cbranch_execz .LBB7_785
; %bb.783:
	s_mov_b32 s9, 0
.LBB7_784:                              ; =>This Inner Loop Header: Depth=1
	v_mov_b32_e32 v0, s6
	v_mov_b32_e32 v1, s7
	s_sleep 1
	global_store_dwordx2 v[4:5], v[2:3], off
	s_waitcnt_vscnt null, 0x0
	global_atomic_cmpswap_x2 v[0:1], v10, v[0:3], s[26:27] offset:32 glc
	s_waitcnt vmcnt(0)
	v_cmp_eq_u64_e32 vcc_lo, v[0:1], v[2:3]
	v_mov_b32_e32 v3, v1
	v_mov_b32_e32 v2, v0
	s_or_b32 s9, vcc_lo, s9
	s_andn2_b32 exec_lo, exec_lo, s9
	s_cbranch_execnz .LBB7_784
.LBB7_785:
	s_or_b32 exec_lo, exec_lo, s8
	v_mov_b32_e32 v3, 0
	s_mov_b32 s9, exec_lo
	s_mov_b32 s8, exec_lo
	v_mbcnt_lo_u32_b32 v2, s9, 0
	global_load_dwordx2 v[0:1], v3, s[26:27] offset:16
	v_cmpx_eq_u32_e32 0, v2
	s_cbranch_execz .LBB7_787
; %bb.786:
	s_bcnt1_i32_b32 s9, s9
	v_mov_b32_e32 v2, s9
	s_waitcnt vmcnt(0)
	global_atomic_add_x2 v[0:1], v[2:3], off offset:8
.LBB7_787:
	s_or_b32 exec_lo, exec_lo, s8
	s_waitcnt vmcnt(0)
	global_load_dwordx2 v[2:3], v[0:1], off offset:16
	s_waitcnt vmcnt(0)
	v_cmp_eq_u64_e32 vcc_lo, 0, v[2:3]
	s_cbranch_vccnz .LBB7_789
; %bb.788:
	global_load_dword v0, v[0:1], off offset:24
	v_mov_b32_e32 v1, 0
	s_waitcnt vmcnt(0)
	v_and_b32_e32 v4, 0x7fffff, v0
	s_waitcnt_vscnt null, 0x0
	global_store_dwordx2 v[2:3], v[0:1], off
	v_readfirstlane_b32 m0, v4
	s_sendmsg sendmsg(MSG_INTERRUPT)
.LBB7_789:
	s_or_b32 exec_lo, exec_lo, s5
	s_branch .LBB7_793
	.p2align	6
.LBB7_790:                              ;   in Loop: Header=BB7_793 Depth=1
	s_or_b32 exec_lo, exec_lo, s5
	v_readfirstlane_b32 s5, v0
	s_cmp_eq_u32 s5, 0
	s_cbranch_scc1 .LBB7_792
; %bb.791:                              ;   in Loop: Header=BB7_793 Depth=1
	s_sleep 1
	s_cbranch_execnz .LBB7_793
	s_branch .LBB7_795
.LBB7_792:
	s_branch .LBB7_795
.LBB7_793:                              ; =>This Inner Loop Header: Depth=1
	v_mov_b32_e32 v0, 1
	s_and_saveexec_b32 s5, s4
	s_cbranch_execz .LBB7_790
; %bb.794:                              ;   in Loop: Header=BB7_793 Depth=1
	global_load_dword v0, v[8:9], off offset:20 glc dlc
	s_waitcnt vmcnt(0)
	buffer_gl1_inv
	buffer_gl0_inv
	v_and_b32_e32 v0, 1, v0
	s_branch .LBB7_790
.LBB7_795:
	global_load_dwordx2 v[2:3], v[6:7], off
	s_and_saveexec_b32 s5, s4
	s_cbranch_execz .LBB7_799
; %bb.796:
	v_mov_b32_e32 v8, 0
	s_clause 0x2
	global_load_dwordx2 v[0:1], v8, s[26:27] offset:40
	global_load_dwordx2 v[9:10], v8, s[26:27] offset:24 glc dlc
	global_load_dwordx2 v[6:7], v8, s[26:27]
	s_waitcnt vmcnt(2)
	v_add_co_u32 v11, vcc_lo, v0, 1
	v_add_co_ci_u32_e32 v12, vcc_lo, 0, v1, vcc_lo
	v_add_co_u32 v4, vcc_lo, v11, s6
	v_add_co_ci_u32_e32 v5, vcc_lo, s7, v12, vcc_lo
	v_cmp_eq_u64_e32 vcc_lo, 0, v[4:5]
	v_cndmask_b32_e32 v5, v5, v12, vcc_lo
	v_cndmask_b32_e32 v4, v4, v11, vcc_lo
	v_and_b32_e32 v1, v5, v1
	v_and_b32_e32 v0, v4, v0
	v_mul_lo_u32 v1, v1, 24
	v_mul_hi_u32 v11, v0, 24
	v_mul_lo_u32 v0, v0, 24
	v_add_nc_u32_e32 v1, v11, v1
	s_waitcnt vmcnt(0)
	v_add_co_u32 v0, vcc_lo, v6, v0
	v_mov_b32_e32 v6, v9
	v_add_co_ci_u32_e32 v1, vcc_lo, v7, v1, vcc_lo
	v_mov_b32_e32 v7, v10
	global_store_dwordx2 v[0:1], v[9:10], off
	s_waitcnt_vscnt null, 0x0
	global_atomic_cmpswap_x2 v[6:7], v8, v[4:7], s[26:27] offset:24 glc
	s_waitcnt vmcnt(0)
	v_cmp_ne_u64_e32 vcc_lo, v[6:7], v[9:10]
	s_and_b32 exec_lo, exec_lo, vcc_lo
	s_cbranch_execz .LBB7_799
; %bb.797:
	s_mov_b32 s4, 0
.LBB7_798:                              ; =>This Inner Loop Header: Depth=1
	s_sleep 1
	global_store_dwordx2 v[0:1], v[6:7], off
	s_waitcnt_vscnt null, 0x0
	global_atomic_cmpswap_x2 v[9:10], v8, v[4:7], s[26:27] offset:24 glc
	s_waitcnt vmcnt(0)
	v_cmp_eq_u64_e32 vcc_lo, v[9:10], v[6:7]
	v_mov_b32_e32 v6, v9
	v_mov_b32_e32 v7, v10
	s_or_b32 s4, vcc_lo, s4
	s_andn2_b32 exec_lo, exec_lo, s4
	s_cbranch_execnz .LBB7_798
.LBB7_799:
	s_or_b32 exec_lo, exec_lo, s5
.LBB7_800:
	v_readfirstlane_b32 s4, v38
	s_waitcnt vmcnt(0)
	v_mov_b32_e32 v0, 0
	v_mov_b32_e32 v1, 0
	v_cmp_eq_u32_e64 s4, s4, v38
	s_and_saveexec_b32 s5, s4
	s_cbranch_execz .LBB7_806
; %bb.801:
	v_mov_b32_e32 v4, 0
	s_mov_b32 s6, exec_lo
	global_load_dwordx2 v[7:8], v4, s[26:27] offset:24 glc dlc
	s_waitcnt vmcnt(0)
	buffer_gl1_inv
	buffer_gl0_inv
	s_clause 0x1
	global_load_dwordx2 v[0:1], v4, s[26:27] offset:40
	global_load_dwordx2 v[5:6], v4, s[26:27]
	s_waitcnt vmcnt(1)
	v_and_b32_e32 v1, v1, v8
	v_and_b32_e32 v0, v0, v7
	v_mul_lo_u32 v1, v1, 24
	v_mul_hi_u32 v9, v0, 24
	v_mul_lo_u32 v0, v0, 24
	v_add_nc_u32_e32 v1, v9, v1
	s_waitcnt vmcnt(0)
	v_add_co_u32 v0, vcc_lo, v5, v0
	v_add_co_ci_u32_e32 v1, vcc_lo, v6, v1, vcc_lo
	global_load_dwordx2 v[5:6], v[0:1], off glc dlc
	s_waitcnt vmcnt(0)
	global_atomic_cmpswap_x2 v[0:1], v4, v[5:8], s[26:27] offset:24 glc
	s_waitcnt vmcnt(0)
	buffer_gl1_inv
	buffer_gl0_inv
	v_cmpx_ne_u64_e64 v[0:1], v[7:8]
	s_cbranch_execz .LBB7_805
; %bb.802:
	s_mov_b32 s7, 0
.LBB7_803:                              ; =>This Inner Loop Header: Depth=1
	s_sleep 1
	s_clause 0x1
	global_load_dwordx2 v[5:6], v4, s[26:27] offset:40
	global_load_dwordx2 v[9:10], v4, s[26:27]
	v_mov_b32_e32 v8, v1
	v_mov_b32_e32 v7, v0
	s_waitcnt vmcnt(1)
	v_and_b32_e32 v0, v5, v7
	v_and_b32_e32 v5, v6, v8
	s_waitcnt vmcnt(0)
	v_mad_u64_u32 v[0:1], null, v0, 24, v[9:10]
	v_mad_u64_u32 v[5:6], null, v5, 24, v[1:2]
	v_mov_b32_e32 v1, v5
	global_load_dwordx2 v[5:6], v[0:1], off glc dlc
	s_waitcnt vmcnt(0)
	global_atomic_cmpswap_x2 v[0:1], v4, v[5:8], s[26:27] offset:24 glc
	s_waitcnt vmcnt(0)
	buffer_gl1_inv
	buffer_gl0_inv
	v_cmp_eq_u64_e32 vcc_lo, v[0:1], v[7:8]
	s_or_b32 s7, vcc_lo, s7
	s_andn2_b32 exec_lo, exec_lo, s7
	s_cbranch_execnz .LBB7_803
; %bb.804:
	s_or_b32 exec_lo, exec_lo, s7
.LBB7_805:
	s_or_b32 exec_lo, exec_lo, s6
.LBB7_806:
	s_or_b32 exec_lo, exec_lo, s5
	v_mov_b32_e32 v5, 0
	v_readfirstlane_b32 s6, v0
	v_readfirstlane_b32 s7, v1
	s_mov_b32 s5, exec_lo
	s_clause 0x1
	global_load_dwordx2 v[10:11], v5, s[26:27] offset:40
	global_load_dwordx4 v[6:9], v5, s[26:27]
	s_waitcnt vmcnt(1)
	v_readfirstlane_b32 s8, v10
	v_readfirstlane_b32 s9, v11
	s_and_b64 s[8:9], s[6:7], s[8:9]
	s_mul_i32 s10, s9, 24
	s_mul_hi_u32 s11, s8, 24
	s_mul_i32 s12, s8, 24
	s_add_i32 s11, s11, s10
	s_waitcnt vmcnt(0)
	v_add_co_u32 v10, vcc_lo, v6, s12
	v_add_co_ci_u32_e32 v11, vcc_lo, s11, v7, vcc_lo
	s_and_saveexec_b32 s10, s4
	s_cbranch_execz .LBB7_808
; %bb.807:
	v_mov_b32_e32 v4, s5
	v_mov_b32_e32 v13, v5
	;; [unrolled: 1-line block ×5, first 2 shown]
	global_store_dwordx4 v[10:11], v[12:15], off offset:8
.LBB7_808:
	s_or_b32 exec_lo, exec_lo, s10
	s_lshl_b64 s[8:9], s[8:9], 12
	v_and_or_b32 v2, 0xffffff1d, v2, 34
	v_add_co_u32 v0, vcc_lo, v8, s8
	v_add_co_ci_u32_e32 v1, vcc_lo, s9, v9, vcc_lo
	s_mov_b32 s8, 0
	v_mov_b32_e32 v4, 58
	s_mov_b32 s11, s8
	s_mov_b32 s9, s8
	s_mov_b32 s10, s8
	v_readfirstlane_b32 s12, v0
	v_readfirstlane_b32 s13, v1
	v_mov_b32_e32 v15, s11
	v_mov_b32_e32 v14, s10
	;; [unrolled: 1-line block ×4, first 2 shown]
	global_store_dwordx4 v37, v[2:5], s[12:13]
	global_store_dwordx4 v37, v[12:15], s[12:13] offset:16
	global_store_dwordx4 v37, v[12:15], s[12:13] offset:32
	;; [unrolled: 1-line block ×3, first 2 shown]
	s_and_saveexec_b32 s5, s4
	s_cbranch_execz .LBB7_816
; %bb.809:
	v_mov_b32_e32 v8, 0
	v_mov_b32_e32 v12, s6
	;; [unrolled: 1-line block ×3, first 2 shown]
	s_clause 0x1
	global_load_dwordx2 v[14:15], v8, s[26:27] offset:32 glc dlc
	global_load_dwordx2 v[0:1], v8, s[26:27] offset:40
	s_waitcnt vmcnt(0)
	v_readfirstlane_b32 s8, v0
	v_readfirstlane_b32 s9, v1
	s_and_b64 s[8:9], s[8:9], s[6:7]
	s_mul_i32 s9, s9, 24
	s_mul_hi_u32 s10, s8, 24
	s_mul_i32 s8, s8, 24
	s_add_i32 s10, s10, s9
	v_add_co_u32 v4, vcc_lo, v6, s8
	v_add_co_ci_u32_e32 v5, vcc_lo, s10, v7, vcc_lo
	s_mov_b32 s8, exec_lo
	global_store_dwordx2 v[4:5], v[14:15], off
	s_waitcnt_vscnt null, 0x0
	global_atomic_cmpswap_x2 v[2:3], v8, v[12:15], s[26:27] offset:32 glc
	s_waitcnt vmcnt(0)
	v_cmpx_ne_u64_e64 v[2:3], v[14:15]
	s_cbranch_execz .LBB7_812
; %bb.810:
	s_mov_b32 s9, 0
.LBB7_811:                              ; =>This Inner Loop Header: Depth=1
	v_mov_b32_e32 v0, s6
	v_mov_b32_e32 v1, s7
	s_sleep 1
	global_store_dwordx2 v[4:5], v[2:3], off
	s_waitcnt_vscnt null, 0x0
	global_atomic_cmpswap_x2 v[0:1], v8, v[0:3], s[26:27] offset:32 glc
	s_waitcnt vmcnt(0)
	v_cmp_eq_u64_e32 vcc_lo, v[0:1], v[2:3]
	v_mov_b32_e32 v3, v1
	v_mov_b32_e32 v2, v0
	s_or_b32 s9, vcc_lo, s9
	s_andn2_b32 exec_lo, exec_lo, s9
	s_cbranch_execnz .LBB7_811
.LBB7_812:
	s_or_b32 exec_lo, exec_lo, s8
	v_mov_b32_e32 v3, 0
	s_mov_b32 s9, exec_lo
	s_mov_b32 s8, exec_lo
	v_mbcnt_lo_u32_b32 v2, s9, 0
	global_load_dwordx2 v[0:1], v3, s[26:27] offset:16
	v_cmpx_eq_u32_e32 0, v2
	s_cbranch_execz .LBB7_814
; %bb.813:
	s_bcnt1_i32_b32 s9, s9
	v_mov_b32_e32 v2, s9
	s_waitcnt vmcnt(0)
	global_atomic_add_x2 v[0:1], v[2:3], off offset:8
.LBB7_814:
	s_or_b32 exec_lo, exec_lo, s8
	s_waitcnt vmcnt(0)
	global_load_dwordx2 v[2:3], v[0:1], off offset:16
	s_waitcnt vmcnt(0)
	v_cmp_eq_u64_e32 vcc_lo, 0, v[2:3]
	s_cbranch_vccnz .LBB7_816
; %bb.815:
	global_load_dword v0, v[0:1], off offset:24
	v_mov_b32_e32 v1, 0
	s_waitcnt vmcnt(0)
	v_and_b32_e32 v4, 0x7fffff, v0
	s_waitcnt_vscnt null, 0x0
	global_store_dwordx2 v[2:3], v[0:1], off
	v_readfirstlane_b32 m0, v4
	s_sendmsg sendmsg(MSG_INTERRUPT)
.LBB7_816:
	s_or_b32 exec_lo, exec_lo, s5
	s_branch .LBB7_820
	.p2align	6
.LBB7_817:                              ;   in Loop: Header=BB7_820 Depth=1
	s_or_b32 exec_lo, exec_lo, s5
	v_readfirstlane_b32 s5, v0
	s_cmp_eq_u32 s5, 0
	s_cbranch_scc1 .LBB7_819
; %bb.818:                              ;   in Loop: Header=BB7_820 Depth=1
	s_sleep 1
	s_cbranch_execnz .LBB7_820
	s_branch .LBB7_822
	.p2align	6
.LBB7_819:
	s_branch .LBB7_822
.LBB7_820:                              ; =>This Inner Loop Header: Depth=1
	v_mov_b32_e32 v0, 1
	s_and_saveexec_b32 s5, s4
	s_cbranch_execz .LBB7_817
; %bb.821:                              ;   in Loop: Header=BB7_820 Depth=1
	global_load_dword v0, v[10:11], off offset:20 glc dlc
	s_waitcnt vmcnt(0)
	buffer_gl1_inv
	buffer_gl0_inv
	v_and_b32_e32 v0, 1, v0
	s_branch .LBB7_817
.LBB7_822:
	s_and_saveexec_b32 s5, s4
	s_cbranch_execz .LBB7_826
; %bb.823:
	v_mov_b32_e32 v6, 0
	s_clause 0x2
	global_load_dwordx2 v[2:3], v6, s[26:27] offset:40
	global_load_dwordx2 v[7:8], v6, s[26:27] offset:24 glc dlc
	global_load_dwordx2 v[4:5], v6, s[26:27]
	s_waitcnt vmcnt(2)
	v_add_co_u32 v9, vcc_lo, v2, 1
	v_add_co_ci_u32_e32 v10, vcc_lo, 0, v3, vcc_lo
	v_add_co_u32 v0, vcc_lo, v9, s6
	v_add_co_ci_u32_e32 v1, vcc_lo, s7, v10, vcc_lo
	v_cmp_eq_u64_e32 vcc_lo, 0, v[0:1]
	v_cndmask_b32_e32 v1, v1, v10, vcc_lo
	v_cndmask_b32_e32 v0, v0, v9, vcc_lo
	v_and_b32_e32 v3, v1, v3
	v_and_b32_e32 v2, v0, v2
	v_mul_lo_u32 v3, v3, 24
	v_mul_hi_u32 v9, v2, 24
	v_mul_lo_u32 v2, v2, 24
	v_add_nc_u32_e32 v3, v9, v3
	s_waitcnt vmcnt(0)
	v_add_co_u32 v4, vcc_lo, v4, v2
	v_mov_b32_e32 v2, v7
	v_add_co_ci_u32_e32 v5, vcc_lo, v5, v3, vcc_lo
	v_mov_b32_e32 v3, v8
	global_store_dwordx2 v[4:5], v[7:8], off
	s_waitcnt_vscnt null, 0x0
	global_atomic_cmpswap_x2 v[2:3], v6, v[0:3], s[26:27] offset:24 glc
	s_waitcnt vmcnt(0)
	v_cmp_ne_u64_e32 vcc_lo, v[2:3], v[7:8]
	s_and_b32 exec_lo, exec_lo, vcc_lo
	s_cbranch_execz .LBB7_826
; %bb.824:
	s_mov_b32 s4, 0
.LBB7_825:                              ; =>This Inner Loop Header: Depth=1
	s_sleep 1
	global_store_dwordx2 v[4:5], v[2:3], off
	s_waitcnt_vscnt null, 0x0
	global_atomic_cmpswap_x2 v[7:8], v6, v[0:3], s[26:27] offset:24 glc
	s_waitcnt vmcnt(0)
	v_cmp_eq_u64_e32 vcc_lo, v[7:8], v[2:3]
	v_mov_b32_e32 v2, v7
	v_mov_b32_e32 v3, v8
	s_or_b32 s4, vcc_lo, s4
	s_andn2_b32 exec_lo, exec_lo, s4
	s_cbranch_execnz .LBB7_825
.LBB7_826:
	s_or_b32 exec_lo, exec_lo, s5
	v_readfirstlane_b32 s4, v38
	v_mov_b32_e32 v6, 0
	v_mov_b32_e32 v7, 0
	v_cmp_eq_u32_e64 s4, s4, v38
	s_and_saveexec_b32 s5, s4
	s_cbranch_execz .LBB7_832
; %bb.827:
	v_mov_b32_e32 v0, 0
	s_mov_b32 s6, exec_lo
	global_load_dwordx2 v[3:4], v0, s[26:27] offset:24 glc dlc
	s_waitcnt vmcnt(0)
	buffer_gl1_inv
	buffer_gl0_inv
	s_clause 0x1
	global_load_dwordx2 v[1:2], v0, s[26:27] offset:40
	global_load_dwordx2 v[5:6], v0, s[26:27]
	s_waitcnt vmcnt(1)
	v_and_b32_e32 v2, v2, v4
	v_and_b32_e32 v1, v1, v3
	v_mul_lo_u32 v2, v2, 24
	v_mul_hi_u32 v7, v1, 24
	v_mul_lo_u32 v1, v1, 24
	v_add_nc_u32_e32 v2, v7, v2
	s_waitcnt vmcnt(0)
	v_add_co_u32 v1, vcc_lo, v5, v1
	v_add_co_ci_u32_e32 v2, vcc_lo, v6, v2, vcc_lo
	global_load_dwordx2 v[1:2], v[1:2], off glc dlc
	s_waitcnt vmcnt(0)
	global_atomic_cmpswap_x2 v[6:7], v0, v[1:4], s[26:27] offset:24 glc
	s_waitcnt vmcnt(0)
	buffer_gl1_inv
	buffer_gl0_inv
	v_cmpx_ne_u64_e64 v[6:7], v[3:4]
	s_cbranch_execz .LBB7_831
; %bb.828:
	s_mov_b32 s7, 0
.LBB7_829:                              ; =>This Inner Loop Header: Depth=1
	s_sleep 1
	s_clause 0x1
	global_load_dwordx2 v[1:2], v0, s[26:27] offset:40
	global_load_dwordx2 v[8:9], v0, s[26:27]
	v_mov_b32_e32 v3, v6
	v_mov_b32_e32 v4, v7
	s_waitcnt vmcnt(1)
	v_and_b32_e32 v1, v1, v3
	v_and_b32_e32 v2, v2, v4
	s_waitcnt vmcnt(0)
	v_mad_u64_u32 v[5:6], null, v1, 24, v[8:9]
	v_mov_b32_e32 v1, v6
	v_mad_u64_u32 v[1:2], null, v2, 24, v[1:2]
	v_mov_b32_e32 v6, v1
	global_load_dwordx2 v[1:2], v[5:6], off glc dlc
	s_waitcnt vmcnt(0)
	global_atomic_cmpswap_x2 v[6:7], v0, v[1:4], s[26:27] offset:24 glc
	s_waitcnt vmcnt(0)
	buffer_gl1_inv
	buffer_gl0_inv
	v_cmp_eq_u64_e32 vcc_lo, v[6:7], v[3:4]
	s_or_b32 s7, vcc_lo, s7
	s_andn2_b32 exec_lo, exec_lo, s7
	s_cbranch_execnz .LBB7_829
; %bb.830:
	s_or_b32 exec_lo, exec_lo, s7
.LBB7_831:
	s_or_b32 exec_lo, exec_lo, s6
.LBB7_832:
	s_or_b32 exec_lo, exec_lo, s5
	v_mov_b32_e32 v5, 0
	v_readfirstlane_b32 s6, v6
	v_readfirstlane_b32 s7, v7
	s_mov_b32 s5, exec_lo
	s_clause 0x1
	global_load_dwordx2 v[8:9], v5, s[26:27] offset:40
	global_load_dwordx4 v[0:3], v5, s[26:27]
	s_waitcnt vmcnt(1)
	v_readfirstlane_b32 s8, v8
	v_readfirstlane_b32 s9, v9
	s_and_b64 s[8:9], s[6:7], s[8:9]
	s_mul_i32 s10, s9, 24
	s_mul_hi_u32 s11, s8, 24
	s_mul_i32 s12, s8, 24
	s_add_i32 s11, s11, s10
	s_waitcnt vmcnt(0)
	v_add_co_u32 v8, vcc_lo, v0, s12
	v_add_co_ci_u32_e32 v9, vcc_lo, s11, v1, vcc_lo
	s_and_saveexec_b32 s10, s4
	s_cbranch_execz .LBB7_834
; %bb.833:
	v_mov_b32_e32 v4, s5
	v_mov_b32_e32 v6, 2
	v_mov_b32_e32 v7, 1
	global_store_dwordx4 v[8:9], v[4:7], off offset:8
.LBB7_834:
	s_or_b32 exec_lo, exec_lo, s10
	s_lshl_b64 s[8:9], s[8:9], 12
	v_mov_b32_e32 v4, 33
	v_add_co_u32 v2, vcc_lo, v2, s8
	v_add_co_ci_u32_e32 v3, vcc_lo, s9, v3, vcc_lo
	s_mov_b32 s8, 0
	v_add_co_u32 v10, vcc_lo, v2, v37
	s_mov_b32 s11, s8
	s_mov_b32 s9, s8
	;; [unrolled: 1-line block ×3, first 2 shown]
	v_mov_b32_e32 v6, v5
	v_mov_b32_e32 v7, v5
	v_readfirstlane_b32 s12, v2
	v_readfirstlane_b32 s13, v3
	v_mov_b32_e32 v15, s11
	v_add_co_ci_u32_e32 v11, vcc_lo, 0, v3, vcc_lo
	v_mov_b32_e32 v14, s10
	v_mov_b32_e32 v13, s9
	;; [unrolled: 1-line block ×3, first 2 shown]
	global_store_dwordx4 v37, v[4:7], s[12:13]
	global_store_dwordx4 v37, v[12:15], s[12:13] offset:16
	global_store_dwordx4 v37, v[12:15], s[12:13] offset:32
	;; [unrolled: 1-line block ×3, first 2 shown]
	s_and_saveexec_b32 s5, s4
	s_cbranch_execz .LBB7_842
; %bb.835:
	v_mov_b32_e32 v6, 0
	v_mov_b32_e32 v12, s6
	;; [unrolled: 1-line block ×3, first 2 shown]
	s_clause 0x1
	global_load_dwordx2 v[14:15], v6, s[26:27] offset:32 glc dlc
	global_load_dwordx2 v[2:3], v6, s[26:27] offset:40
	s_waitcnt vmcnt(0)
	v_readfirstlane_b32 s8, v2
	v_readfirstlane_b32 s9, v3
	s_and_b64 s[8:9], s[8:9], s[6:7]
	s_mul_i32 s9, s9, 24
	s_mul_hi_u32 s10, s8, 24
	s_mul_i32 s8, s8, 24
	s_add_i32 s10, s10, s9
	v_add_co_u32 v4, vcc_lo, v0, s8
	v_add_co_ci_u32_e32 v5, vcc_lo, s10, v1, vcc_lo
	s_mov_b32 s8, exec_lo
	global_store_dwordx2 v[4:5], v[14:15], off
	s_waitcnt_vscnt null, 0x0
	global_atomic_cmpswap_x2 v[2:3], v6, v[12:15], s[26:27] offset:32 glc
	s_waitcnt vmcnt(0)
	v_cmpx_ne_u64_e64 v[2:3], v[14:15]
	s_cbranch_execz .LBB7_838
; %bb.836:
	s_mov_b32 s9, 0
.LBB7_837:                              ; =>This Inner Loop Header: Depth=1
	v_mov_b32_e32 v0, s6
	v_mov_b32_e32 v1, s7
	s_sleep 1
	global_store_dwordx2 v[4:5], v[2:3], off
	s_waitcnt_vscnt null, 0x0
	global_atomic_cmpswap_x2 v[0:1], v6, v[0:3], s[26:27] offset:32 glc
	s_waitcnt vmcnt(0)
	v_cmp_eq_u64_e32 vcc_lo, v[0:1], v[2:3]
	v_mov_b32_e32 v3, v1
	v_mov_b32_e32 v2, v0
	s_or_b32 s9, vcc_lo, s9
	s_andn2_b32 exec_lo, exec_lo, s9
	s_cbranch_execnz .LBB7_837
.LBB7_838:
	s_or_b32 exec_lo, exec_lo, s8
	v_mov_b32_e32 v3, 0
	s_mov_b32 s9, exec_lo
	s_mov_b32 s8, exec_lo
	v_mbcnt_lo_u32_b32 v2, s9, 0
	global_load_dwordx2 v[0:1], v3, s[26:27] offset:16
	v_cmpx_eq_u32_e32 0, v2
	s_cbranch_execz .LBB7_840
; %bb.839:
	s_bcnt1_i32_b32 s9, s9
	v_mov_b32_e32 v2, s9
	s_waitcnt vmcnt(0)
	global_atomic_add_x2 v[0:1], v[2:3], off offset:8
.LBB7_840:
	s_or_b32 exec_lo, exec_lo, s8
	s_waitcnt vmcnt(0)
	global_load_dwordx2 v[2:3], v[0:1], off offset:16
	s_waitcnt vmcnt(0)
	v_cmp_eq_u64_e32 vcc_lo, 0, v[2:3]
	s_cbranch_vccnz .LBB7_842
; %bb.841:
	global_load_dword v0, v[0:1], off offset:24
	v_mov_b32_e32 v1, 0
	s_waitcnt vmcnt(0)
	v_and_b32_e32 v4, 0x7fffff, v0
	s_waitcnt_vscnt null, 0x0
	global_store_dwordx2 v[2:3], v[0:1], off
	v_readfirstlane_b32 m0, v4
	s_sendmsg sendmsg(MSG_INTERRUPT)
.LBB7_842:
	s_or_b32 exec_lo, exec_lo, s5
	s_branch .LBB7_846
	.p2align	6
.LBB7_843:                              ;   in Loop: Header=BB7_846 Depth=1
	s_or_b32 exec_lo, exec_lo, s5
	v_readfirstlane_b32 s5, v0
	s_cmp_eq_u32 s5, 0
	s_cbranch_scc1 .LBB7_845
; %bb.844:                              ;   in Loop: Header=BB7_846 Depth=1
	s_sleep 1
	s_cbranch_execnz .LBB7_846
	s_branch .LBB7_848
	.p2align	6
.LBB7_845:
	s_branch .LBB7_848
.LBB7_846:                              ; =>This Inner Loop Header: Depth=1
	v_mov_b32_e32 v0, 1
	s_and_saveexec_b32 s5, s4
	s_cbranch_execz .LBB7_843
; %bb.847:                              ;   in Loop: Header=BB7_846 Depth=1
	global_load_dword v0, v[8:9], off offset:20 glc dlc
	s_waitcnt vmcnt(0)
	buffer_gl1_inv
	buffer_gl0_inv
	v_and_b32_e32 v0, 1, v0
	s_branch .LBB7_843
.LBB7_848:
	global_load_dwordx2 v[0:1], v[10:11], off
	s_and_saveexec_b32 s5, s4
	s_cbranch_execz .LBB7_852
; %bb.849:
	v_mov_b32_e32 v8, 0
	s_clause 0x2
	global_load_dwordx2 v[4:5], v8, s[26:27] offset:40
	global_load_dwordx2 v[9:10], v8, s[26:27] offset:24 glc dlc
	global_load_dwordx2 v[6:7], v8, s[26:27]
	s_waitcnt vmcnt(2)
	v_add_co_u32 v11, vcc_lo, v4, 1
	v_add_co_ci_u32_e32 v12, vcc_lo, 0, v5, vcc_lo
	v_add_co_u32 v2, vcc_lo, v11, s6
	v_add_co_ci_u32_e32 v3, vcc_lo, s7, v12, vcc_lo
	v_cmp_eq_u64_e32 vcc_lo, 0, v[2:3]
	v_cndmask_b32_e32 v3, v3, v12, vcc_lo
	v_cndmask_b32_e32 v2, v2, v11, vcc_lo
	v_and_b32_e32 v5, v3, v5
	v_and_b32_e32 v4, v2, v4
	v_mul_lo_u32 v5, v5, 24
	v_mul_hi_u32 v11, v4, 24
	v_mul_lo_u32 v4, v4, 24
	v_add_nc_u32_e32 v5, v11, v5
	s_waitcnt vmcnt(0)
	v_add_co_u32 v6, vcc_lo, v6, v4
	v_mov_b32_e32 v4, v9
	v_add_co_ci_u32_e32 v7, vcc_lo, v7, v5, vcc_lo
	v_mov_b32_e32 v5, v10
	global_store_dwordx2 v[6:7], v[9:10], off
	s_waitcnt_vscnt null, 0x0
	global_atomic_cmpswap_x2 v[4:5], v8, v[2:5], s[26:27] offset:24 glc
	s_waitcnt vmcnt(0)
	v_cmp_ne_u64_e32 vcc_lo, v[4:5], v[9:10]
	s_and_b32 exec_lo, exec_lo, vcc_lo
	s_cbranch_execz .LBB7_852
; %bb.850:
	s_mov_b32 s4, 0
.LBB7_851:                              ; =>This Inner Loop Header: Depth=1
	s_sleep 1
	global_store_dwordx2 v[6:7], v[4:5], off
	s_waitcnt_vscnt null, 0x0
	global_atomic_cmpswap_x2 v[9:10], v8, v[2:5], s[26:27] offset:24 glc
	s_waitcnt vmcnt(0)
	v_cmp_eq_u64_e32 vcc_lo, v[9:10], v[4:5]
	v_mov_b32_e32 v4, v9
	v_mov_b32_e32 v5, v10
	s_or_b32 s4, vcc_lo, s4
	s_andn2_b32 exec_lo, exec_lo, s4
	s_cbranch_execnz .LBB7_851
.LBB7_852:
	s_or_b32 exec_lo, exec_lo, s5
	s_getpc_b64 s[6:7]
	s_add_u32 s6, s6, .str.7@rel32@lo+4
	s_addc_u32 s7, s7, .str.7@rel32@hi+12
	s_cmp_lg_u64 s[6:7], 0
	s_cbranch_scc0 .LBB7_931
; %bb.853:
	s_waitcnt vmcnt(0)
	v_and_b32_e32 v31, 2, v0
	v_mov_b32_e32 v6, 0
	v_and_b32_e32 v2, -3, v0
	v_mov_b32_e32 v3, v1
	v_mov_b32_e32 v7, 2
	;; [unrolled: 1-line block ×3, first 2 shown]
	s_mov_b64 s[8:9], 4
	s_branch .LBB7_855
.LBB7_854:                              ;   in Loop: Header=BB7_855 Depth=1
	s_or_b32 exec_lo, exec_lo, s5
	s_sub_u32 s8, s8, s10
	s_subb_u32 s9, s9, s11
	s_add_u32 s6, s6, s10
	s_addc_u32 s7, s7, s11
	s_cmp_lg_u64 s[8:9], 0
	s_cbranch_scc0 .LBB7_930
.LBB7_855:                              ; =>This Loop Header: Depth=1
                                        ;     Child Loop BB7_864 Depth 2
                                        ;     Child Loop BB7_860 Depth 2
	;; [unrolled: 1-line block ×11, first 2 shown]
	v_cmp_lt_u64_e64 s4, s[8:9], 56
	v_cmp_gt_u64_e64 s5, s[8:9], 7
                                        ; implicit-def: $vgpr11_vgpr12
                                        ; implicit-def: $sgpr17
	s_and_b32 s4, s4, exec_lo
	s_cselect_b32 s11, s9, 0
	s_cselect_b32 s10, s8, 56
	s_and_b32 vcc_lo, exec_lo, s5
	s_mov_b32 s4, -1
	s_cbranch_vccz .LBB7_862
; %bb.856:                              ;   in Loop: Header=BB7_855 Depth=1
	s_andn2_b32 vcc_lo, exec_lo, s4
	s_mov_b64 s[4:5], s[6:7]
	s_cbranch_vccz .LBB7_866
.LBB7_857:                              ;   in Loop: Header=BB7_855 Depth=1
	s_cmp_gt_u32 s17, 7
	s_cbranch_scc1 .LBB7_867
.LBB7_858:                              ;   in Loop: Header=BB7_855 Depth=1
	v_mov_b32_e32 v13, 0
	v_mov_b32_e32 v14, 0
	s_cmp_eq_u32 s17, 0
	s_cbranch_scc1 .LBB7_861
; %bb.859:                              ;   in Loop: Header=BB7_855 Depth=1
	s_mov_b64 s[12:13], 0
	s_mov_b64 s[14:15], 0
.LBB7_860:                              ;   Parent Loop BB7_855 Depth=1
                                        ; =>  This Inner Loop Header: Depth=2
	s_add_u32 s18, s4, s14
	s_addc_u32 s19, s5, s15
	s_add_u32 s14, s14, 1
	global_load_ubyte v4, v6, s[18:19]
	s_addc_u32 s15, s15, 0
	s_waitcnt vmcnt(0)
	v_and_b32_e32 v5, 0xffff, v4
	v_lshlrev_b64 v[4:5], s12, v[5:6]
	s_add_u32 s12, s12, 8
	s_addc_u32 s13, s13, 0
	s_cmp_lg_u32 s17, s14
	v_or_b32_e32 v13, v4, v13
	v_or_b32_e32 v14, v5, v14
	s_cbranch_scc1 .LBB7_860
.LBB7_861:                              ;   in Loop: Header=BB7_855 Depth=1
	s_mov_b32 s18, 0
	s_cbranch_execz .LBB7_868
	s_branch .LBB7_869
.LBB7_862:                              ;   in Loop: Header=BB7_855 Depth=1
	v_mov_b32_e32 v11, 0
	v_mov_b32_e32 v12, 0
	s_cmp_eq_u64 s[8:9], 0
	s_mov_b64 s[4:5], 0
	s_cbranch_scc1 .LBB7_865
; %bb.863:                              ;   in Loop: Header=BB7_855 Depth=1
	v_mov_b32_e32 v11, 0
	v_mov_b32_e32 v12, 0
	s_lshl_b64 s[12:13], s[10:11], 3
	s_mov_b64 s[14:15], s[6:7]
.LBB7_864:                              ;   Parent Loop BB7_855 Depth=1
                                        ; =>  This Inner Loop Header: Depth=2
	global_load_ubyte v4, v6, s[14:15]
	s_waitcnt vmcnt(0)
	v_and_b32_e32 v5, 0xffff, v4
	v_lshlrev_b64 v[4:5], s4, v[5:6]
	s_add_u32 s4, s4, 8
	s_addc_u32 s5, s5, 0
	s_add_u32 s14, s14, 1
	s_addc_u32 s15, s15, 0
	s_cmp_lg_u32 s12, s4
	v_or_b32_e32 v11, v4, v11
	v_or_b32_e32 v12, v5, v12
	s_cbranch_scc1 .LBB7_864
.LBB7_865:                              ;   in Loop: Header=BB7_855 Depth=1
	s_mov_b32 s17, 0
	s_mov_b64 s[4:5], s[6:7]
	s_cbranch_execnz .LBB7_857
.LBB7_866:                              ;   in Loop: Header=BB7_855 Depth=1
	global_load_dwordx2 v[11:12], v6, s[6:7]
	s_add_i32 s17, s10, -8
	s_add_u32 s4, s6, 8
	s_addc_u32 s5, s7, 0
	s_cmp_gt_u32 s17, 7
	s_cbranch_scc0 .LBB7_858
.LBB7_867:                              ;   in Loop: Header=BB7_855 Depth=1
                                        ; implicit-def: $vgpr13_vgpr14
                                        ; implicit-def: $sgpr18
.LBB7_868:                              ;   in Loop: Header=BB7_855 Depth=1
	global_load_dwordx2 v[13:14], v6, s[4:5]
	s_add_i32 s18, s17, -8
	s_add_u32 s4, s4, 8
	s_addc_u32 s5, s5, 0
.LBB7_869:                              ;   in Loop: Header=BB7_855 Depth=1
	s_cmp_gt_u32 s18, 7
	s_cbranch_scc1 .LBB7_874
; %bb.870:                              ;   in Loop: Header=BB7_855 Depth=1
	v_mov_b32_e32 v15, 0
	v_mov_b32_e32 v16, 0
	s_cmp_eq_u32 s18, 0
	s_cbranch_scc1 .LBB7_873
; %bb.871:                              ;   in Loop: Header=BB7_855 Depth=1
	s_mov_b64 s[12:13], 0
	s_mov_b64 s[14:15], 0
.LBB7_872:                              ;   Parent Loop BB7_855 Depth=1
                                        ; =>  This Inner Loop Header: Depth=2
	s_add_u32 s20, s4, s14
	s_addc_u32 s21, s5, s15
	s_add_u32 s14, s14, 1
	global_load_ubyte v4, v6, s[20:21]
	s_addc_u32 s15, s15, 0
	s_waitcnt vmcnt(0)
	v_and_b32_e32 v5, 0xffff, v4
	v_lshlrev_b64 v[4:5], s12, v[5:6]
	s_add_u32 s12, s12, 8
	s_addc_u32 s13, s13, 0
	s_cmp_lg_u32 s18, s14
	v_or_b32_e32 v15, v4, v15
	v_or_b32_e32 v16, v5, v16
	s_cbranch_scc1 .LBB7_872
.LBB7_873:                              ;   in Loop: Header=BB7_855 Depth=1
	s_mov_b32 s17, 0
	s_cbranch_execz .LBB7_875
	s_branch .LBB7_876
.LBB7_874:                              ;   in Loop: Header=BB7_855 Depth=1
                                        ; implicit-def: $sgpr17
.LBB7_875:                              ;   in Loop: Header=BB7_855 Depth=1
	global_load_dwordx2 v[15:16], v6, s[4:5]
	s_add_i32 s17, s18, -8
	s_add_u32 s4, s4, 8
	s_addc_u32 s5, s5, 0
.LBB7_876:                              ;   in Loop: Header=BB7_855 Depth=1
	s_cmp_gt_u32 s17, 7
	s_cbranch_scc1 .LBB7_881
; %bb.877:                              ;   in Loop: Header=BB7_855 Depth=1
	v_mov_b32_e32 v17, 0
	v_mov_b32_e32 v18, 0
	s_cmp_eq_u32 s17, 0
	s_cbranch_scc1 .LBB7_880
; %bb.878:                              ;   in Loop: Header=BB7_855 Depth=1
	s_mov_b64 s[12:13], 0
	s_mov_b64 s[14:15], 0
.LBB7_879:                              ;   Parent Loop BB7_855 Depth=1
                                        ; =>  This Inner Loop Header: Depth=2
	s_add_u32 s18, s4, s14
	s_addc_u32 s19, s5, s15
	s_add_u32 s14, s14, 1
	global_load_ubyte v4, v6, s[18:19]
	s_addc_u32 s15, s15, 0
	s_waitcnt vmcnt(0)
	v_and_b32_e32 v5, 0xffff, v4
	v_lshlrev_b64 v[4:5], s12, v[5:6]
	s_add_u32 s12, s12, 8
	s_addc_u32 s13, s13, 0
	s_cmp_lg_u32 s17, s14
	v_or_b32_e32 v17, v4, v17
	v_or_b32_e32 v18, v5, v18
	s_cbranch_scc1 .LBB7_879
.LBB7_880:                              ;   in Loop: Header=BB7_855 Depth=1
	s_mov_b32 s18, 0
	s_cbranch_execz .LBB7_882
	s_branch .LBB7_883
.LBB7_881:                              ;   in Loop: Header=BB7_855 Depth=1
                                        ; implicit-def: $vgpr17_vgpr18
                                        ; implicit-def: $sgpr18
.LBB7_882:                              ;   in Loop: Header=BB7_855 Depth=1
	global_load_dwordx2 v[17:18], v6, s[4:5]
	s_add_i32 s18, s17, -8
	s_add_u32 s4, s4, 8
	s_addc_u32 s5, s5, 0
.LBB7_883:                              ;   in Loop: Header=BB7_855 Depth=1
	s_cmp_gt_u32 s18, 7
	s_cbranch_scc1 .LBB7_888
; %bb.884:                              ;   in Loop: Header=BB7_855 Depth=1
	v_mov_b32_e32 v19, 0
	v_mov_b32_e32 v20, 0
	s_cmp_eq_u32 s18, 0
	s_cbranch_scc1 .LBB7_887
; %bb.885:                              ;   in Loop: Header=BB7_855 Depth=1
	s_mov_b64 s[12:13], 0
	s_mov_b64 s[14:15], 0
.LBB7_886:                              ;   Parent Loop BB7_855 Depth=1
                                        ; =>  This Inner Loop Header: Depth=2
	s_add_u32 s20, s4, s14
	s_addc_u32 s21, s5, s15
	s_add_u32 s14, s14, 1
	global_load_ubyte v4, v6, s[20:21]
	s_addc_u32 s15, s15, 0
	s_waitcnt vmcnt(0)
	v_and_b32_e32 v5, 0xffff, v4
	v_lshlrev_b64 v[4:5], s12, v[5:6]
	s_add_u32 s12, s12, 8
	s_addc_u32 s13, s13, 0
	s_cmp_lg_u32 s18, s14
	v_or_b32_e32 v19, v4, v19
	v_or_b32_e32 v20, v5, v20
	s_cbranch_scc1 .LBB7_886
.LBB7_887:                              ;   in Loop: Header=BB7_855 Depth=1
	s_mov_b32 s17, 0
	s_cbranch_execz .LBB7_889
	s_branch .LBB7_890
.LBB7_888:                              ;   in Loop: Header=BB7_855 Depth=1
                                        ; implicit-def: $sgpr17
.LBB7_889:                              ;   in Loop: Header=BB7_855 Depth=1
	global_load_dwordx2 v[19:20], v6, s[4:5]
	s_add_i32 s17, s18, -8
	s_add_u32 s4, s4, 8
	s_addc_u32 s5, s5, 0
.LBB7_890:                              ;   in Loop: Header=BB7_855 Depth=1
	s_cmp_gt_u32 s17, 7
	s_cbranch_scc1 .LBB7_895
; %bb.891:                              ;   in Loop: Header=BB7_855 Depth=1
	v_mov_b32_e32 v21, 0
	v_mov_b32_e32 v22, 0
	s_cmp_eq_u32 s17, 0
	s_cbranch_scc1 .LBB7_894
; %bb.892:                              ;   in Loop: Header=BB7_855 Depth=1
	s_mov_b64 s[12:13], 0
	s_mov_b64 s[14:15], 0
.LBB7_893:                              ;   Parent Loop BB7_855 Depth=1
                                        ; =>  This Inner Loop Header: Depth=2
	s_add_u32 s18, s4, s14
	s_addc_u32 s19, s5, s15
	s_add_u32 s14, s14, 1
	global_load_ubyte v4, v6, s[18:19]
	s_addc_u32 s15, s15, 0
	s_waitcnt vmcnt(0)
	v_and_b32_e32 v5, 0xffff, v4
	v_lshlrev_b64 v[4:5], s12, v[5:6]
	s_add_u32 s12, s12, 8
	s_addc_u32 s13, s13, 0
	s_cmp_lg_u32 s17, s14
	v_or_b32_e32 v21, v4, v21
	v_or_b32_e32 v22, v5, v22
	s_cbranch_scc1 .LBB7_893
.LBB7_894:                              ;   in Loop: Header=BB7_855 Depth=1
	s_mov_b32 s18, 0
	s_cbranch_execz .LBB7_896
	s_branch .LBB7_897
.LBB7_895:                              ;   in Loop: Header=BB7_855 Depth=1
                                        ; implicit-def: $vgpr21_vgpr22
                                        ; implicit-def: $sgpr18
.LBB7_896:                              ;   in Loop: Header=BB7_855 Depth=1
	global_load_dwordx2 v[21:22], v6, s[4:5]
	s_add_i32 s18, s17, -8
	s_add_u32 s4, s4, 8
	s_addc_u32 s5, s5, 0
.LBB7_897:                              ;   in Loop: Header=BB7_855 Depth=1
	s_cmp_gt_u32 s18, 7
	s_cbranch_scc1 .LBB7_902
; %bb.898:                              ;   in Loop: Header=BB7_855 Depth=1
	v_mov_b32_e32 v23, 0
	v_mov_b32_e32 v24, 0
	s_cmp_eq_u32 s18, 0
	s_cbranch_scc1 .LBB7_901
; %bb.899:                              ;   in Loop: Header=BB7_855 Depth=1
	s_mov_b64 s[12:13], 0
	s_mov_b64 s[14:15], s[4:5]
.LBB7_900:                              ;   Parent Loop BB7_855 Depth=1
                                        ; =>  This Inner Loop Header: Depth=2
	global_load_ubyte v4, v6, s[14:15]
	s_add_i32 s18, s18, -1
	s_waitcnt vmcnt(0)
	v_and_b32_e32 v5, 0xffff, v4
	v_lshlrev_b64 v[4:5], s12, v[5:6]
	s_add_u32 s12, s12, 8
	s_addc_u32 s13, s13, 0
	s_add_u32 s14, s14, 1
	s_addc_u32 s15, s15, 0
	s_cmp_lg_u32 s18, 0
	v_or_b32_e32 v23, v4, v23
	v_or_b32_e32 v24, v5, v24
	s_cbranch_scc1 .LBB7_900
.LBB7_901:                              ;   in Loop: Header=BB7_855 Depth=1
	s_cbranch_execz .LBB7_903
	s_branch .LBB7_904
.LBB7_902:                              ;   in Loop: Header=BB7_855 Depth=1
.LBB7_903:                              ;   in Loop: Header=BB7_855 Depth=1
	global_load_dwordx2 v[23:24], v6, s[4:5]
.LBB7_904:                              ;   in Loop: Header=BB7_855 Depth=1
	v_readfirstlane_b32 s4, v38
	s_waitcnt vmcnt(0)
	v_mov_b32_e32 v4, 0
	v_mov_b32_e32 v5, 0
	v_cmp_eq_u32_e64 s4, s4, v38
	s_and_saveexec_b32 s5, s4
	s_cbranch_execz .LBB7_910
; %bb.905:                              ;   in Loop: Header=BB7_855 Depth=1
	global_load_dwordx2 v[27:28], v6, s[26:27] offset:24 glc dlc
	s_waitcnt vmcnt(0)
	buffer_gl1_inv
	buffer_gl0_inv
	s_clause 0x1
	global_load_dwordx2 v[4:5], v6, s[26:27] offset:40
	global_load_dwordx2 v[9:10], v6, s[26:27]
	s_mov_b32 s12, exec_lo
	s_waitcnt vmcnt(1)
	v_and_b32_e32 v5, v5, v28
	v_and_b32_e32 v4, v4, v27
	v_mul_lo_u32 v5, v5, 24
	v_mul_hi_u32 v25, v4, 24
	v_mul_lo_u32 v4, v4, 24
	v_add_nc_u32_e32 v5, v25, v5
	s_waitcnt vmcnt(0)
	v_add_co_u32 v4, vcc_lo, v9, v4
	v_add_co_ci_u32_e32 v5, vcc_lo, v10, v5, vcc_lo
	global_load_dwordx2 v[25:26], v[4:5], off glc dlc
	s_waitcnt vmcnt(0)
	global_atomic_cmpswap_x2 v[4:5], v6, v[25:28], s[26:27] offset:24 glc
	s_waitcnt vmcnt(0)
	buffer_gl1_inv
	buffer_gl0_inv
	v_cmpx_ne_u64_e64 v[4:5], v[27:28]
	s_cbranch_execz .LBB7_909
; %bb.906:                              ;   in Loop: Header=BB7_855 Depth=1
	s_mov_b32 s13, 0
	.p2align	6
.LBB7_907:                              ;   Parent Loop BB7_855 Depth=1
                                        ; =>  This Inner Loop Header: Depth=2
	s_sleep 1
	s_clause 0x1
	global_load_dwordx2 v[9:10], v6, s[26:27] offset:40
	global_load_dwordx2 v[25:26], v6, s[26:27]
	v_mov_b32_e32 v28, v5
	v_mov_b32_e32 v27, v4
	s_waitcnt vmcnt(1)
	v_and_b32_e32 v4, v9, v27
	v_and_b32_e32 v9, v10, v28
	s_waitcnt vmcnt(0)
	v_mad_u64_u32 v[4:5], null, v4, 24, v[25:26]
	v_mad_u64_u32 v[9:10], null, v9, 24, v[5:6]
	v_mov_b32_e32 v5, v9
	global_load_dwordx2 v[25:26], v[4:5], off glc dlc
	s_waitcnt vmcnt(0)
	global_atomic_cmpswap_x2 v[4:5], v6, v[25:28], s[26:27] offset:24 glc
	s_waitcnt vmcnt(0)
	buffer_gl1_inv
	buffer_gl0_inv
	v_cmp_eq_u64_e32 vcc_lo, v[4:5], v[27:28]
	s_or_b32 s13, vcc_lo, s13
	s_andn2_b32 exec_lo, exec_lo, s13
	s_cbranch_execnz .LBB7_907
; %bb.908:                              ;   in Loop: Header=BB7_855 Depth=1
	s_or_b32 exec_lo, exec_lo, s13
.LBB7_909:                              ;   in Loop: Header=BB7_855 Depth=1
	s_or_b32 exec_lo, exec_lo, s12
.LBB7_910:                              ;   in Loop: Header=BB7_855 Depth=1
	s_or_b32 exec_lo, exec_lo, s5
	s_clause 0x1
	global_load_dwordx2 v[9:10], v6, s[26:27] offset:40
	global_load_dwordx4 v[25:28], v6, s[26:27]
	v_readfirstlane_b32 s12, v4
	v_readfirstlane_b32 s13, v5
	s_mov_b32 s5, exec_lo
	s_waitcnt vmcnt(1)
	v_readfirstlane_b32 s14, v9
	v_readfirstlane_b32 s15, v10
	s_and_b64 s[14:15], s[12:13], s[14:15]
	s_mul_i32 s17, s15, 24
	s_mul_hi_u32 s18, s14, 24
	s_mul_i32 s19, s14, 24
	s_add_i32 s18, s18, s17
	s_waitcnt vmcnt(0)
	v_add_co_u32 v29, vcc_lo, v25, s19
	v_add_co_ci_u32_e32 v30, vcc_lo, s18, v26, vcc_lo
	s_and_saveexec_b32 s17, s4
	s_cbranch_execz .LBB7_912
; %bb.911:                              ;   in Loop: Header=BB7_855 Depth=1
	v_mov_b32_e32 v5, s5
	global_store_dwordx4 v[29:30], v[5:8], off offset:8
.LBB7_912:                              ;   in Loop: Header=BB7_855 Depth=1
	s_or_b32 exec_lo, exec_lo, s17
	s_lshl_b64 s[14:15], s[14:15], 12
	v_cmp_gt_u64_e64 vcc_lo, s[8:9], 56
	v_or_b32_e32 v5, v2, v31
	v_add_co_u32 v27, s5, v27, s14
	v_add_co_ci_u32_e64 v28, s5, s15, v28, s5
	s_lshl_b32 s5, s10, 2
	v_or_b32_e32 v4, 0, v3
	v_cndmask_b32_e32 v2, v5, v2, vcc_lo
	s_add_i32 s5, s5, 28
	v_readfirstlane_b32 s14, v27
	s_and_b32 s5, s5, 0x1e0
	v_cndmask_b32_e32 v10, v4, v3, vcc_lo
	v_readfirstlane_b32 s15, v28
	v_and_or_b32 v9, 0xffffff1f, v2, s5
	global_store_dwordx4 v37, v[9:12], s[14:15]
	global_store_dwordx4 v37, v[13:16], s[14:15] offset:16
	global_store_dwordx4 v37, v[17:20], s[14:15] offset:32
	;; [unrolled: 1-line block ×3, first 2 shown]
	s_and_saveexec_b32 s5, s4
	s_cbranch_execz .LBB7_920
; %bb.913:                              ;   in Loop: Header=BB7_855 Depth=1
	s_clause 0x1
	global_load_dwordx2 v[13:14], v6, s[26:27] offset:32 glc dlc
	global_load_dwordx2 v[2:3], v6, s[26:27] offset:40
	v_mov_b32_e32 v11, s12
	v_mov_b32_e32 v12, s13
	s_waitcnt vmcnt(0)
	v_readfirstlane_b32 s14, v2
	v_readfirstlane_b32 s15, v3
	s_and_b64 s[14:15], s[14:15], s[12:13]
	s_mul_i32 s15, s15, 24
	s_mul_hi_u32 s17, s14, 24
	s_mul_i32 s14, s14, 24
	s_add_i32 s17, s17, s15
	v_add_co_u32 v9, vcc_lo, v25, s14
	v_add_co_ci_u32_e32 v10, vcc_lo, s17, v26, vcc_lo
	s_mov_b32 s14, exec_lo
	global_store_dwordx2 v[9:10], v[13:14], off
	s_waitcnt_vscnt null, 0x0
	global_atomic_cmpswap_x2 v[4:5], v6, v[11:14], s[26:27] offset:32 glc
	s_waitcnt vmcnt(0)
	v_cmpx_ne_u64_e64 v[4:5], v[13:14]
	s_cbranch_execz .LBB7_916
; %bb.914:                              ;   in Loop: Header=BB7_855 Depth=1
	s_mov_b32 s15, 0
.LBB7_915:                              ;   Parent Loop BB7_855 Depth=1
                                        ; =>  This Inner Loop Header: Depth=2
	v_mov_b32_e32 v2, s12
	v_mov_b32_e32 v3, s13
	s_sleep 1
	global_store_dwordx2 v[9:10], v[4:5], off
	s_waitcnt_vscnt null, 0x0
	global_atomic_cmpswap_x2 v[2:3], v6, v[2:5], s[26:27] offset:32 glc
	s_waitcnt vmcnt(0)
	v_cmp_eq_u64_e32 vcc_lo, v[2:3], v[4:5]
	v_mov_b32_e32 v5, v3
	v_mov_b32_e32 v4, v2
	s_or_b32 s15, vcc_lo, s15
	s_andn2_b32 exec_lo, exec_lo, s15
	s_cbranch_execnz .LBB7_915
.LBB7_916:                              ;   in Loop: Header=BB7_855 Depth=1
	s_or_b32 exec_lo, exec_lo, s14
	global_load_dwordx2 v[2:3], v6, s[26:27] offset:16
	s_mov_b32 s15, exec_lo
	s_mov_b32 s14, exec_lo
	v_mbcnt_lo_u32_b32 v4, s15, 0
	v_cmpx_eq_u32_e32 0, v4
	s_cbranch_execz .LBB7_918
; %bb.917:                              ;   in Loop: Header=BB7_855 Depth=1
	s_bcnt1_i32_b32 s15, s15
	v_mov_b32_e32 v5, s15
	s_waitcnt vmcnt(0)
	global_atomic_add_x2 v[2:3], v[5:6], off offset:8
.LBB7_918:                              ;   in Loop: Header=BB7_855 Depth=1
	s_or_b32 exec_lo, exec_lo, s14
	s_waitcnt vmcnt(0)
	global_load_dwordx2 v[9:10], v[2:3], off offset:16
	s_waitcnt vmcnt(0)
	v_cmp_eq_u64_e32 vcc_lo, 0, v[9:10]
	s_cbranch_vccnz .LBB7_920
; %bb.919:                              ;   in Loop: Header=BB7_855 Depth=1
	global_load_dword v5, v[2:3], off offset:24
	s_waitcnt vmcnt(0)
	v_and_b32_e32 v2, 0x7fffff, v5
	s_waitcnt_vscnt null, 0x0
	global_store_dwordx2 v[9:10], v[5:6], off
	v_readfirstlane_b32 m0, v2
	s_sendmsg sendmsg(MSG_INTERRUPT)
.LBB7_920:                              ;   in Loop: Header=BB7_855 Depth=1
	s_or_b32 exec_lo, exec_lo, s5
	v_add_co_u32 v2, vcc_lo, v27, v37
	v_add_co_ci_u32_e32 v3, vcc_lo, 0, v28, vcc_lo
	s_branch .LBB7_924
	.p2align	6
.LBB7_921:                              ;   in Loop: Header=BB7_924 Depth=2
	s_or_b32 exec_lo, exec_lo, s5
	v_readfirstlane_b32 s5, v4
	s_cmp_eq_u32 s5, 0
	s_cbranch_scc1 .LBB7_923
; %bb.922:                              ;   in Loop: Header=BB7_924 Depth=2
	s_sleep 1
	s_cbranch_execnz .LBB7_924
	s_branch .LBB7_926
	.p2align	6
.LBB7_923:                              ;   in Loop: Header=BB7_855 Depth=1
	s_branch .LBB7_926
.LBB7_924:                              ;   Parent Loop BB7_855 Depth=1
                                        ; =>  This Inner Loop Header: Depth=2
	v_mov_b32_e32 v4, 1
	s_and_saveexec_b32 s5, s4
	s_cbranch_execz .LBB7_921
; %bb.925:                              ;   in Loop: Header=BB7_924 Depth=2
	global_load_dword v4, v[29:30], off offset:20 glc dlc
	s_waitcnt vmcnt(0)
	buffer_gl1_inv
	buffer_gl0_inv
	v_and_b32_e32 v4, 1, v4
	s_branch .LBB7_921
.LBB7_926:                              ;   in Loop: Header=BB7_855 Depth=1
	global_load_dwordx4 v[2:5], v[2:3], off
	s_and_saveexec_b32 s5, s4
	s_cbranch_execz .LBB7_854
; %bb.927:                              ;   in Loop: Header=BB7_855 Depth=1
	s_clause 0x2
	global_load_dwordx2 v[4:5], v6, s[26:27] offset:40
	global_load_dwordx2 v[13:14], v6, s[26:27] offset:24 glc dlc
	global_load_dwordx2 v[11:12], v6, s[26:27]
	s_waitcnt vmcnt(2)
	v_add_co_u32 v15, vcc_lo, v4, 1
	v_add_co_ci_u32_e32 v16, vcc_lo, 0, v5, vcc_lo
	v_add_co_u32 v9, vcc_lo, v15, s12
	v_add_co_ci_u32_e32 v10, vcc_lo, s13, v16, vcc_lo
	v_cmp_eq_u64_e32 vcc_lo, 0, v[9:10]
	v_cndmask_b32_e32 v10, v10, v16, vcc_lo
	v_cndmask_b32_e32 v9, v9, v15, vcc_lo
	v_and_b32_e32 v5, v10, v5
	v_and_b32_e32 v4, v9, v4
	v_mul_lo_u32 v5, v5, 24
	v_mul_hi_u32 v15, v4, 24
	v_mul_lo_u32 v4, v4, 24
	v_add_nc_u32_e32 v5, v15, v5
	s_waitcnt vmcnt(0)
	v_add_co_u32 v4, vcc_lo, v11, v4
	v_mov_b32_e32 v11, v13
	v_add_co_ci_u32_e32 v5, vcc_lo, v12, v5, vcc_lo
	v_mov_b32_e32 v12, v14
	global_store_dwordx2 v[4:5], v[13:14], off
	s_waitcnt_vscnt null, 0x0
	global_atomic_cmpswap_x2 v[11:12], v6, v[9:12], s[26:27] offset:24 glc
	s_waitcnt vmcnt(0)
	v_cmp_ne_u64_e32 vcc_lo, v[11:12], v[13:14]
	s_and_b32 exec_lo, exec_lo, vcc_lo
	s_cbranch_execz .LBB7_854
; %bb.928:                              ;   in Loop: Header=BB7_855 Depth=1
	s_mov_b32 s4, 0
.LBB7_929:                              ;   Parent Loop BB7_855 Depth=1
                                        ; =>  This Inner Loop Header: Depth=2
	s_sleep 1
	global_store_dwordx2 v[4:5], v[11:12], off
	s_waitcnt_vscnt null, 0x0
	global_atomic_cmpswap_x2 v[13:14], v6, v[9:12], s[26:27] offset:24 glc
	s_waitcnt vmcnt(0)
	v_cmp_eq_u64_e32 vcc_lo, v[13:14], v[11:12]
	v_mov_b32_e32 v11, v13
	v_mov_b32_e32 v12, v14
	s_or_b32 s4, vcc_lo, s4
	s_andn2_b32 exec_lo, exec_lo, s4
	s_cbranch_execnz .LBB7_929
	s_branch .LBB7_854
.LBB7_930:
	s_mov_b32 s4, 0
	s_branch .LBB7_932
.LBB7_931:
	s_mov_b32 s4, -1
                                        ; implicit-def: $vgpr2_vgpr3
.LBB7_932:
	s_and_b32 vcc_lo, exec_lo, s4
	s_cbranch_vccz .LBB7_960
; %bb.933:
	v_readfirstlane_b32 s4, v38
	v_mov_b32_e32 v8, 0
	v_mov_b32_e32 v9, 0
	v_cmp_eq_u32_e64 s4, s4, v38
	s_and_saveexec_b32 s5, s4
	s_cbranch_execz .LBB7_939
; %bb.934:
	s_waitcnt vmcnt(0)
	v_mov_b32_e32 v2, 0
	s_mov_b32 s6, exec_lo
	global_load_dwordx2 v[5:6], v2, s[26:27] offset:24 glc dlc
	s_waitcnt vmcnt(0)
	buffer_gl1_inv
	buffer_gl0_inv
	s_clause 0x1
	global_load_dwordx2 v[3:4], v2, s[26:27] offset:40
	global_load_dwordx2 v[7:8], v2, s[26:27]
	s_waitcnt vmcnt(1)
	v_and_b32_e32 v4, v4, v6
	v_and_b32_e32 v3, v3, v5
	v_mul_lo_u32 v4, v4, 24
	v_mul_hi_u32 v9, v3, 24
	v_mul_lo_u32 v3, v3, 24
	v_add_nc_u32_e32 v4, v9, v4
	s_waitcnt vmcnt(0)
	v_add_co_u32 v3, vcc_lo, v7, v3
	v_add_co_ci_u32_e32 v4, vcc_lo, v8, v4, vcc_lo
	global_load_dwordx2 v[3:4], v[3:4], off glc dlc
	s_waitcnt vmcnt(0)
	global_atomic_cmpswap_x2 v[8:9], v2, v[3:6], s[26:27] offset:24 glc
	s_waitcnt vmcnt(0)
	buffer_gl1_inv
	buffer_gl0_inv
	v_cmpx_ne_u64_e64 v[8:9], v[5:6]
	s_cbranch_execz .LBB7_938
; %bb.935:
	s_mov_b32 s7, 0
.LBB7_936:                              ; =>This Inner Loop Header: Depth=1
	s_sleep 1
	s_clause 0x1
	global_load_dwordx2 v[3:4], v2, s[26:27] offset:40
	global_load_dwordx2 v[10:11], v2, s[26:27]
	v_mov_b32_e32 v5, v8
	v_mov_b32_e32 v6, v9
	s_waitcnt vmcnt(1)
	v_and_b32_e32 v3, v3, v5
	v_and_b32_e32 v4, v4, v6
	s_waitcnt vmcnt(0)
	v_mad_u64_u32 v[7:8], null, v3, 24, v[10:11]
	v_mov_b32_e32 v3, v8
	v_mad_u64_u32 v[3:4], null, v4, 24, v[3:4]
	v_mov_b32_e32 v8, v3
	global_load_dwordx2 v[3:4], v[7:8], off glc dlc
	s_waitcnt vmcnt(0)
	global_atomic_cmpswap_x2 v[8:9], v2, v[3:6], s[26:27] offset:24 glc
	s_waitcnt vmcnt(0)
	buffer_gl1_inv
	buffer_gl0_inv
	v_cmp_eq_u64_e32 vcc_lo, v[8:9], v[5:6]
	s_or_b32 s7, vcc_lo, s7
	s_andn2_b32 exec_lo, exec_lo, s7
	s_cbranch_execnz .LBB7_936
; %bb.937:
	s_or_b32 exec_lo, exec_lo, s7
.LBB7_938:
	s_or_b32 exec_lo, exec_lo, s6
.LBB7_939:
	s_or_b32 exec_lo, exec_lo, s5
	s_waitcnt vmcnt(0)
	v_mov_b32_e32 v2, 0
	v_readfirstlane_b32 s6, v8
	v_readfirstlane_b32 s7, v9
	s_mov_b32 s5, exec_lo
	s_clause 0x1
	global_load_dwordx2 v[10:11], v2, s[26:27] offset:40
	global_load_dwordx4 v[4:7], v2, s[26:27]
	s_waitcnt vmcnt(1)
	v_readfirstlane_b32 s8, v10
	v_readfirstlane_b32 s9, v11
	s_and_b64 s[8:9], s[6:7], s[8:9]
	s_mul_i32 s10, s9, 24
	s_mul_hi_u32 s11, s8, 24
	s_mul_i32 s12, s8, 24
	s_add_i32 s11, s11, s10
	s_waitcnt vmcnt(0)
	v_add_co_u32 v8, vcc_lo, v4, s12
	v_add_co_ci_u32_e32 v9, vcc_lo, s11, v5, vcc_lo
	s_and_saveexec_b32 s10, s4
	s_cbranch_execz .LBB7_941
; %bb.940:
	v_mov_b32_e32 v10, s5
	v_mov_b32_e32 v11, v2
	;; [unrolled: 1-line block ×4, first 2 shown]
	global_store_dwordx4 v[8:9], v[10:13], off offset:8
.LBB7_941:
	s_or_b32 exec_lo, exec_lo, s10
	s_lshl_b64 s[8:9], s[8:9], 12
	v_and_or_b32 v0, 0xffffff1f, v0, 32
	v_add_co_u32 v6, vcc_lo, v6, s8
	v_add_co_ci_u32_e32 v7, vcc_lo, s9, v7, vcc_lo
	s_mov_b32 s8, 0
	v_readfirstlane_b32 s12, v6
	s_mov_b32 s11, s8
	v_add_co_u32 v6, vcc_lo, v6, v37
	s_mov_b32 s9, s8
	s_mov_b32 s10, s8
	v_mov_b32_e32 v3, v2
	v_readfirstlane_b32 s13, v7
	v_mov_b32_e32 v13, s11
	v_add_co_ci_u32_e32 v7, vcc_lo, 0, v7, vcc_lo
	v_mov_b32_e32 v12, s10
	v_mov_b32_e32 v11, s9
	;; [unrolled: 1-line block ×3, first 2 shown]
	global_store_dwordx4 v37, v[0:3], s[12:13]
	global_store_dwordx4 v37, v[10:13], s[12:13] offset:16
	global_store_dwordx4 v37, v[10:13], s[12:13] offset:32
	;; [unrolled: 1-line block ×3, first 2 shown]
	s_and_saveexec_b32 s5, s4
	s_cbranch_execz .LBB7_949
; %bb.942:
	v_mov_b32_e32 v10, 0
	v_mov_b32_e32 v11, s6
	v_mov_b32_e32 v12, s7
	s_clause 0x1
	global_load_dwordx2 v[13:14], v10, s[26:27] offset:32 glc dlc
	global_load_dwordx2 v[0:1], v10, s[26:27] offset:40
	s_waitcnt vmcnt(0)
	v_readfirstlane_b32 s8, v0
	v_readfirstlane_b32 s9, v1
	s_and_b64 s[8:9], s[8:9], s[6:7]
	s_mul_i32 s9, s9, 24
	s_mul_hi_u32 s10, s8, 24
	s_mul_i32 s8, s8, 24
	s_add_i32 s10, s10, s9
	v_add_co_u32 v4, vcc_lo, v4, s8
	v_add_co_ci_u32_e32 v5, vcc_lo, s10, v5, vcc_lo
	s_mov_b32 s8, exec_lo
	global_store_dwordx2 v[4:5], v[13:14], off
	s_waitcnt_vscnt null, 0x0
	global_atomic_cmpswap_x2 v[2:3], v10, v[11:14], s[26:27] offset:32 glc
	s_waitcnt vmcnt(0)
	v_cmpx_ne_u64_e64 v[2:3], v[13:14]
	s_cbranch_execz .LBB7_945
; %bb.943:
	s_mov_b32 s9, 0
.LBB7_944:                              ; =>This Inner Loop Header: Depth=1
	v_mov_b32_e32 v0, s6
	v_mov_b32_e32 v1, s7
	s_sleep 1
	global_store_dwordx2 v[4:5], v[2:3], off
	s_waitcnt_vscnt null, 0x0
	global_atomic_cmpswap_x2 v[0:1], v10, v[0:3], s[26:27] offset:32 glc
	s_waitcnt vmcnt(0)
	v_cmp_eq_u64_e32 vcc_lo, v[0:1], v[2:3]
	v_mov_b32_e32 v3, v1
	v_mov_b32_e32 v2, v0
	s_or_b32 s9, vcc_lo, s9
	s_andn2_b32 exec_lo, exec_lo, s9
	s_cbranch_execnz .LBB7_944
.LBB7_945:
	s_or_b32 exec_lo, exec_lo, s8
	v_mov_b32_e32 v3, 0
	s_mov_b32 s9, exec_lo
	s_mov_b32 s8, exec_lo
	v_mbcnt_lo_u32_b32 v2, s9, 0
	global_load_dwordx2 v[0:1], v3, s[26:27] offset:16
	v_cmpx_eq_u32_e32 0, v2
	s_cbranch_execz .LBB7_947
; %bb.946:
	s_bcnt1_i32_b32 s9, s9
	v_mov_b32_e32 v2, s9
	s_waitcnt vmcnt(0)
	global_atomic_add_x2 v[0:1], v[2:3], off offset:8
.LBB7_947:
	s_or_b32 exec_lo, exec_lo, s8
	s_waitcnt vmcnt(0)
	global_load_dwordx2 v[2:3], v[0:1], off offset:16
	s_waitcnt vmcnt(0)
	v_cmp_eq_u64_e32 vcc_lo, 0, v[2:3]
	s_cbranch_vccnz .LBB7_949
; %bb.948:
	global_load_dword v0, v[0:1], off offset:24
	v_mov_b32_e32 v1, 0
	s_waitcnt vmcnt(0)
	v_and_b32_e32 v4, 0x7fffff, v0
	s_waitcnt_vscnt null, 0x0
	global_store_dwordx2 v[2:3], v[0:1], off
	v_readfirstlane_b32 m0, v4
	s_sendmsg sendmsg(MSG_INTERRUPT)
.LBB7_949:
	s_or_b32 exec_lo, exec_lo, s5
	s_branch .LBB7_953
	.p2align	6
.LBB7_950:                              ;   in Loop: Header=BB7_953 Depth=1
	s_or_b32 exec_lo, exec_lo, s5
	v_readfirstlane_b32 s5, v0
	s_cmp_eq_u32 s5, 0
	s_cbranch_scc1 .LBB7_952
; %bb.951:                              ;   in Loop: Header=BB7_953 Depth=1
	s_sleep 1
	s_cbranch_execnz .LBB7_953
	s_branch .LBB7_955
.LBB7_952:
	s_branch .LBB7_955
.LBB7_953:                              ; =>This Inner Loop Header: Depth=1
	v_mov_b32_e32 v0, 1
	s_and_saveexec_b32 s5, s4
	s_cbranch_execz .LBB7_950
; %bb.954:                              ;   in Loop: Header=BB7_953 Depth=1
	global_load_dword v0, v[8:9], off offset:20 glc dlc
	s_waitcnt vmcnt(0)
	buffer_gl1_inv
	buffer_gl0_inv
	v_and_b32_e32 v0, 1, v0
	s_branch .LBB7_950
.LBB7_955:
	global_load_dwordx2 v[2:3], v[6:7], off
	s_and_saveexec_b32 s5, s4
	s_cbranch_execz .LBB7_959
; %bb.956:
	v_mov_b32_e32 v8, 0
	s_clause 0x2
	global_load_dwordx2 v[0:1], v8, s[26:27] offset:40
	global_load_dwordx2 v[9:10], v8, s[26:27] offset:24 glc dlc
	global_load_dwordx2 v[6:7], v8, s[26:27]
	s_waitcnt vmcnt(2)
	v_add_co_u32 v11, vcc_lo, v0, 1
	v_add_co_ci_u32_e32 v12, vcc_lo, 0, v1, vcc_lo
	v_add_co_u32 v4, vcc_lo, v11, s6
	v_add_co_ci_u32_e32 v5, vcc_lo, s7, v12, vcc_lo
	v_cmp_eq_u64_e32 vcc_lo, 0, v[4:5]
	v_cndmask_b32_e32 v5, v5, v12, vcc_lo
	v_cndmask_b32_e32 v4, v4, v11, vcc_lo
	v_and_b32_e32 v1, v5, v1
	v_and_b32_e32 v0, v4, v0
	v_mul_lo_u32 v1, v1, 24
	v_mul_hi_u32 v11, v0, 24
	v_mul_lo_u32 v0, v0, 24
	v_add_nc_u32_e32 v1, v11, v1
	s_waitcnt vmcnt(0)
	v_add_co_u32 v0, vcc_lo, v6, v0
	v_mov_b32_e32 v6, v9
	v_add_co_ci_u32_e32 v1, vcc_lo, v7, v1, vcc_lo
	v_mov_b32_e32 v7, v10
	global_store_dwordx2 v[0:1], v[9:10], off
	s_waitcnt_vscnt null, 0x0
	global_atomic_cmpswap_x2 v[6:7], v8, v[4:7], s[26:27] offset:24 glc
	s_waitcnt vmcnt(0)
	v_cmp_ne_u64_e32 vcc_lo, v[6:7], v[9:10]
	s_and_b32 exec_lo, exec_lo, vcc_lo
	s_cbranch_execz .LBB7_959
; %bb.957:
	s_mov_b32 s4, 0
.LBB7_958:                              ; =>This Inner Loop Header: Depth=1
	s_sleep 1
	global_store_dwordx2 v[0:1], v[6:7], off
	s_waitcnt_vscnt null, 0x0
	global_atomic_cmpswap_x2 v[9:10], v8, v[4:7], s[26:27] offset:24 glc
	s_waitcnt vmcnt(0)
	v_cmp_eq_u64_e32 vcc_lo, v[9:10], v[6:7]
	v_mov_b32_e32 v6, v9
	v_mov_b32_e32 v7, v10
	s_or_b32 s4, vcc_lo, s4
	s_andn2_b32 exec_lo, exec_lo, s4
	s_cbranch_execnz .LBB7_958
.LBB7_959:
	s_or_b32 exec_lo, exec_lo, s5
.LBB7_960:
	v_readfirstlane_b32 s4, v38
	s_waitcnt vmcnt(0)
	v_mov_b32_e32 v0, 0
	v_mov_b32_e32 v1, 0
	v_cmp_eq_u32_e64 s4, s4, v38
	s_and_saveexec_b32 s5, s4
	s_cbranch_execz .LBB7_966
; %bb.961:
	v_mov_b32_e32 v4, 0
	s_mov_b32 s6, exec_lo
	global_load_dwordx2 v[7:8], v4, s[26:27] offset:24 glc dlc
	s_waitcnt vmcnt(0)
	buffer_gl1_inv
	buffer_gl0_inv
	s_clause 0x1
	global_load_dwordx2 v[0:1], v4, s[26:27] offset:40
	global_load_dwordx2 v[5:6], v4, s[26:27]
	s_waitcnt vmcnt(1)
	v_and_b32_e32 v1, v1, v8
	v_and_b32_e32 v0, v0, v7
	v_mul_lo_u32 v1, v1, 24
	v_mul_hi_u32 v9, v0, 24
	v_mul_lo_u32 v0, v0, 24
	v_add_nc_u32_e32 v1, v9, v1
	s_waitcnt vmcnt(0)
	v_add_co_u32 v0, vcc_lo, v5, v0
	v_add_co_ci_u32_e32 v1, vcc_lo, v6, v1, vcc_lo
	global_load_dwordx2 v[5:6], v[0:1], off glc dlc
	s_waitcnt vmcnt(0)
	global_atomic_cmpswap_x2 v[0:1], v4, v[5:8], s[26:27] offset:24 glc
	s_waitcnt vmcnt(0)
	buffer_gl1_inv
	buffer_gl0_inv
	v_cmpx_ne_u64_e64 v[0:1], v[7:8]
	s_cbranch_execz .LBB7_965
; %bb.962:
	s_mov_b32 s7, 0
.LBB7_963:                              ; =>This Inner Loop Header: Depth=1
	s_sleep 1
	s_clause 0x1
	global_load_dwordx2 v[5:6], v4, s[26:27] offset:40
	global_load_dwordx2 v[9:10], v4, s[26:27]
	v_mov_b32_e32 v8, v1
	v_mov_b32_e32 v7, v0
	s_waitcnt vmcnt(1)
	v_and_b32_e32 v0, v5, v7
	v_and_b32_e32 v5, v6, v8
	s_waitcnt vmcnt(0)
	v_mad_u64_u32 v[0:1], null, v0, 24, v[9:10]
	v_mad_u64_u32 v[5:6], null, v5, 24, v[1:2]
	v_mov_b32_e32 v1, v5
	global_load_dwordx2 v[5:6], v[0:1], off glc dlc
	s_waitcnt vmcnt(0)
	global_atomic_cmpswap_x2 v[0:1], v4, v[5:8], s[26:27] offset:24 glc
	s_waitcnt vmcnt(0)
	buffer_gl1_inv
	buffer_gl0_inv
	v_cmp_eq_u64_e32 vcc_lo, v[0:1], v[7:8]
	s_or_b32 s7, vcc_lo, s7
	s_andn2_b32 exec_lo, exec_lo, s7
	s_cbranch_execnz .LBB7_963
; %bb.964:
	s_or_b32 exec_lo, exec_lo, s7
.LBB7_965:
	s_or_b32 exec_lo, exec_lo, s6
.LBB7_966:
	s_or_b32 exec_lo, exec_lo, s5
	v_mov_b32_e32 v5, 0
	v_readfirstlane_b32 s6, v0
	v_readfirstlane_b32 s7, v1
	s_mov_b32 s5, exec_lo
	s_clause 0x1
	global_load_dwordx2 v[10:11], v5, s[26:27] offset:40
	global_load_dwordx4 v[6:9], v5, s[26:27]
	s_waitcnt vmcnt(1)
	v_readfirstlane_b32 s8, v10
	v_readfirstlane_b32 s9, v11
	s_and_b64 s[8:9], s[6:7], s[8:9]
	s_mul_i32 s10, s9, 24
	s_mul_hi_u32 s11, s8, 24
	s_mul_i32 s12, s8, 24
	s_add_i32 s11, s11, s10
	s_waitcnt vmcnt(0)
	v_add_co_u32 v10, vcc_lo, v6, s12
	v_add_co_ci_u32_e32 v11, vcc_lo, s11, v7, vcc_lo
	s_and_saveexec_b32 s10, s4
	s_cbranch_execz .LBB7_968
; %bb.967:
	v_mov_b32_e32 v4, s5
	v_mov_b32_e32 v13, v5
	;; [unrolled: 1-line block ×5, first 2 shown]
	global_store_dwordx4 v[10:11], v[12:15], off offset:8
.LBB7_968:
	s_or_b32 exec_lo, exec_lo, s10
	s_lshl_b64 s[8:9], s[8:9], 12
	v_and_or_b32 v2, 0xffffff1d, v2, 34
	v_add_co_u32 v0, vcc_lo, v8, s8
	v_add_co_ci_u32_e32 v1, vcc_lo, s9, v9, vcc_lo
	s_mov_b32 s8, 0
	v_mov_b32_e32 v4, 0x306
	s_mov_b32 s11, s8
	s_mov_b32 s9, s8
	;; [unrolled: 1-line block ×3, first 2 shown]
	v_readfirstlane_b32 s12, v0
	v_readfirstlane_b32 s13, v1
	v_mov_b32_e32 v15, s11
	v_mov_b32_e32 v14, s10
	;; [unrolled: 1-line block ×4, first 2 shown]
	global_store_dwordx4 v37, v[2:5], s[12:13]
	global_store_dwordx4 v37, v[12:15], s[12:13] offset:16
	global_store_dwordx4 v37, v[12:15], s[12:13] offset:32
	;; [unrolled: 1-line block ×3, first 2 shown]
	s_and_saveexec_b32 s5, s4
	s_cbranch_execz .LBB7_976
; %bb.969:
	v_mov_b32_e32 v8, 0
	v_mov_b32_e32 v12, s6
	;; [unrolled: 1-line block ×3, first 2 shown]
	s_clause 0x1
	global_load_dwordx2 v[14:15], v8, s[26:27] offset:32 glc dlc
	global_load_dwordx2 v[0:1], v8, s[26:27] offset:40
	s_waitcnt vmcnt(0)
	v_readfirstlane_b32 s8, v0
	v_readfirstlane_b32 s9, v1
	s_and_b64 s[8:9], s[8:9], s[6:7]
	s_mul_i32 s9, s9, 24
	s_mul_hi_u32 s10, s8, 24
	s_mul_i32 s8, s8, 24
	s_add_i32 s10, s10, s9
	v_add_co_u32 v4, vcc_lo, v6, s8
	v_add_co_ci_u32_e32 v5, vcc_lo, s10, v7, vcc_lo
	s_mov_b32 s8, exec_lo
	global_store_dwordx2 v[4:5], v[14:15], off
	s_waitcnt_vscnt null, 0x0
	global_atomic_cmpswap_x2 v[2:3], v8, v[12:15], s[26:27] offset:32 glc
	s_waitcnt vmcnt(0)
	v_cmpx_ne_u64_e64 v[2:3], v[14:15]
	s_cbranch_execz .LBB7_972
; %bb.970:
	s_mov_b32 s9, 0
.LBB7_971:                              ; =>This Inner Loop Header: Depth=1
	v_mov_b32_e32 v0, s6
	v_mov_b32_e32 v1, s7
	s_sleep 1
	global_store_dwordx2 v[4:5], v[2:3], off
	s_waitcnt_vscnt null, 0x0
	global_atomic_cmpswap_x2 v[0:1], v8, v[0:3], s[26:27] offset:32 glc
	s_waitcnt vmcnt(0)
	v_cmp_eq_u64_e32 vcc_lo, v[0:1], v[2:3]
	v_mov_b32_e32 v3, v1
	v_mov_b32_e32 v2, v0
	s_or_b32 s9, vcc_lo, s9
	s_andn2_b32 exec_lo, exec_lo, s9
	s_cbranch_execnz .LBB7_971
.LBB7_972:
	s_or_b32 exec_lo, exec_lo, s8
	v_mov_b32_e32 v3, 0
	s_mov_b32 s9, exec_lo
	s_mov_b32 s8, exec_lo
	v_mbcnt_lo_u32_b32 v2, s9, 0
	global_load_dwordx2 v[0:1], v3, s[26:27] offset:16
	v_cmpx_eq_u32_e32 0, v2
	s_cbranch_execz .LBB7_974
; %bb.973:
	s_bcnt1_i32_b32 s9, s9
	v_mov_b32_e32 v2, s9
	s_waitcnt vmcnt(0)
	global_atomic_add_x2 v[0:1], v[2:3], off offset:8
.LBB7_974:
	s_or_b32 exec_lo, exec_lo, s8
	s_waitcnt vmcnt(0)
	global_load_dwordx2 v[2:3], v[0:1], off offset:16
	s_waitcnt vmcnt(0)
	v_cmp_eq_u64_e32 vcc_lo, 0, v[2:3]
	s_cbranch_vccnz .LBB7_976
; %bb.975:
	global_load_dword v0, v[0:1], off offset:24
	v_mov_b32_e32 v1, 0
	s_waitcnt vmcnt(0)
	v_and_b32_e32 v4, 0x7fffff, v0
	s_waitcnt_vscnt null, 0x0
	global_store_dwordx2 v[2:3], v[0:1], off
	v_readfirstlane_b32 m0, v4
	s_sendmsg sendmsg(MSG_INTERRUPT)
.LBB7_976:
	s_or_b32 exec_lo, exec_lo, s5
	s_branch .LBB7_980
	.p2align	6
.LBB7_977:                              ;   in Loop: Header=BB7_980 Depth=1
	s_or_b32 exec_lo, exec_lo, s5
	v_readfirstlane_b32 s5, v0
	s_cmp_eq_u32 s5, 0
	s_cbranch_scc1 .LBB7_979
; %bb.978:                              ;   in Loop: Header=BB7_980 Depth=1
	s_sleep 1
	s_cbranch_execnz .LBB7_980
	s_branch .LBB7_982
	.p2align	6
.LBB7_979:
	s_branch .LBB7_982
.LBB7_980:                              ; =>This Inner Loop Header: Depth=1
	v_mov_b32_e32 v0, 1
	s_and_saveexec_b32 s5, s4
	s_cbranch_execz .LBB7_977
; %bb.981:                              ;   in Loop: Header=BB7_980 Depth=1
	global_load_dword v0, v[10:11], off offset:20 glc dlc
	s_waitcnt vmcnt(0)
	buffer_gl1_inv
	buffer_gl0_inv
	v_and_b32_e32 v0, 1, v0
	s_branch .LBB7_977
.LBB7_982:
	s_and_saveexec_b32 s5, s4
	s_cbranch_execz .LBB7_986
; %bb.983:
	v_mov_b32_e32 v6, 0
	s_clause 0x2
	global_load_dwordx2 v[2:3], v6, s[26:27] offset:40
	global_load_dwordx2 v[7:8], v6, s[26:27] offset:24 glc dlc
	global_load_dwordx2 v[4:5], v6, s[26:27]
	s_waitcnt vmcnt(2)
	v_add_co_u32 v9, vcc_lo, v2, 1
	v_add_co_ci_u32_e32 v10, vcc_lo, 0, v3, vcc_lo
	v_add_co_u32 v0, vcc_lo, v9, s6
	v_add_co_ci_u32_e32 v1, vcc_lo, s7, v10, vcc_lo
	v_cmp_eq_u64_e32 vcc_lo, 0, v[0:1]
	v_cndmask_b32_e32 v1, v1, v10, vcc_lo
	v_cndmask_b32_e32 v0, v0, v9, vcc_lo
	v_and_b32_e32 v3, v1, v3
	v_and_b32_e32 v2, v0, v2
	v_mul_lo_u32 v3, v3, 24
	v_mul_hi_u32 v9, v2, 24
	v_mul_lo_u32 v2, v2, 24
	v_add_nc_u32_e32 v3, v9, v3
	s_waitcnt vmcnt(0)
	v_add_co_u32 v4, vcc_lo, v4, v2
	v_mov_b32_e32 v2, v7
	v_add_co_ci_u32_e32 v5, vcc_lo, v5, v3, vcc_lo
	v_mov_b32_e32 v3, v8
	global_store_dwordx2 v[4:5], v[7:8], off
	s_waitcnt_vscnt null, 0x0
	global_atomic_cmpswap_x2 v[2:3], v6, v[0:3], s[26:27] offset:24 glc
	s_waitcnt vmcnt(0)
	v_cmp_ne_u64_e32 vcc_lo, v[2:3], v[7:8]
	s_and_b32 exec_lo, exec_lo, vcc_lo
	s_cbranch_execz .LBB7_986
; %bb.984:
	s_mov_b32 s4, 0
.LBB7_985:                              ; =>This Inner Loop Header: Depth=1
	s_sleep 1
	global_store_dwordx2 v[4:5], v[2:3], off
	s_waitcnt_vscnt null, 0x0
	global_atomic_cmpswap_x2 v[7:8], v6, v[0:3], s[26:27] offset:24 glc
	s_waitcnt vmcnt(0)
	v_cmp_eq_u64_e32 vcc_lo, v[7:8], v[2:3]
	v_mov_b32_e32 v2, v7
	v_mov_b32_e32 v3, v8
	s_or_b32 s4, vcc_lo, s4
	s_andn2_b32 exec_lo, exec_lo, s4
	s_cbranch_execnz .LBB7_985
.LBB7_986:
	s_or_b32 exec_lo, exec_lo, s5
	v_readfirstlane_b32 s4, v38
	v_mov_b32_e32 v6, 0
	v_mov_b32_e32 v7, 0
	v_cmp_eq_u32_e64 s4, s4, v38
	s_and_saveexec_b32 s5, s4
	s_cbranch_execz .LBB7_992
; %bb.987:
	v_mov_b32_e32 v0, 0
	s_mov_b32 s6, exec_lo
	global_load_dwordx2 v[3:4], v0, s[26:27] offset:24 glc dlc
	s_waitcnt vmcnt(0)
	buffer_gl1_inv
	buffer_gl0_inv
	s_clause 0x1
	global_load_dwordx2 v[1:2], v0, s[26:27] offset:40
	global_load_dwordx2 v[5:6], v0, s[26:27]
	s_waitcnt vmcnt(1)
	v_and_b32_e32 v2, v2, v4
	v_and_b32_e32 v1, v1, v3
	v_mul_lo_u32 v2, v2, 24
	v_mul_hi_u32 v7, v1, 24
	v_mul_lo_u32 v1, v1, 24
	v_add_nc_u32_e32 v2, v7, v2
	s_waitcnt vmcnt(0)
	v_add_co_u32 v1, vcc_lo, v5, v1
	v_add_co_ci_u32_e32 v2, vcc_lo, v6, v2, vcc_lo
	global_load_dwordx2 v[1:2], v[1:2], off glc dlc
	s_waitcnt vmcnt(0)
	global_atomic_cmpswap_x2 v[6:7], v0, v[1:4], s[26:27] offset:24 glc
	s_waitcnt vmcnt(0)
	buffer_gl1_inv
	buffer_gl0_inv
	v_cmpx_ne_u64_e64 v[6:7], v[3:4]
	s_cbranch_execz .LBB7_991
; %bb.988:
	s_mov_b32 s7, 0
.LBB7_989:                              ; =>This Inner Loop Header: Depth=1
	s_sleep 1
	s_clause 0x1
	global_load_dwordx2 v[1:2], v0, s[26:27] offset:40
	global_load_dwordx2 v[8:9], v0, s[26:27]
	v_mov_b32_e32 v3, v6
	v_mov_b32_e32 v4, v7
	s_waitcnt vmcnt(1)
	v_and_b32_e32 v1, v1, v3
	v_and_b32_e32 v2, v2, v4
	s_waitcnt vmcnt(0)
	v_mad_u64_u32 v[5:6], null, v1, 24, v[8:9]
	v_mov_b32_e32 v1, v6
	v_mad_u64_u32 v[1:2], null, v2, 24, v[1:2]
	v_mov_b32_e32 v6, v1
	global_load_dwordx2 v[1:2], v[5:6], off glc dlc
	s_waitcnt vmcnt(0)
	global_atomic_cmpswap_x2 v[6:7], v0, v[1:4], s[26:27] offset:24 glc
	s_waitcnt vmcnt(0)
	buffer_gl1_inv
	buffer_gl0_inv
	v_cmp_eq_u64_e32 vcc_lo, v[6:7], v[3:4]
	s_or_b32 s7, vcc_lo, s7
	s_andn2_b32 exec_lo, exec_lo, s7
	s_cbranch_execnz .LBB7_989
; %bb.990:
	s_or_b32 exec_lo, exec_lo, s7
.LBB7_991:
	s_or_b32 exec_lo, exec_lo, s6
.LBB7_992:
	s_or_b32 exec_lo, exec_lo, s5
	v_mov_b32_e32 v5, 0
	v_readfirstlane_b32 s6, v6
	v_readfirstlane_b32 s7, v7
	s_mov_b32 s5, exec_lo
	s_clause 0x1
	global_load_dwordx2 v[8:9], v5, s[26:27] offset:40
	global_load_dwordx4 v[0:3], v5, s[26:27]
	s_waitcnt vmcnt(1)
	v_readfirstlane_b32 s8, v8
	v_readfirstlane_b32 s9, v9
	s_and_b64 s[8:9], s[6:7], s[8:9]
	s_mul_i32 s10, s9, 24
	s_mul_hi_u32 s11, s8, 24
	s_mul_i32 s12, s8, 24
	s_add_i32 s11, s11, s10
	s_waitcnt vmcnt(0)
	v_add_co_u32 v8, vcc_lo, v0, s12
	v_add_co_ci_u32_e32 v9, vcc_lo, s11, v1, vcc_lo
	s_and_saveexec_b32 s10, s4
	s_cbranch_execz .LBB7_994
; %bb.993:
	v_mov_b32_e32 v4, s5
	v_mov_b32_e32 v6, 2
	v_mov_b32_e32 v7, 1
	global_store_dwordx4 v[8:9], v[4:7], off offset:8
.LBB7_994:
	s_or_b32 exec_lo, exec_lo, s10
	s_lshl_b64 s[8:9], s[8:9], 12
	v_mov_b32_e32 v4, 33
	v_add_co_u32 v2, vcc_lo, v2, s8
	v_add_co_ci_u32_e32 v3, vcc_lo, s9, v3, vcc_lo
	s_mov_b32 s8, 0
	v_add_co_u32 v10, vcc_lo, v2, v37
	s_mov_b32 s11, s8
	s_mov_b32 s9, s8
	;; [unrolled: 1-line block ×3, first 2 shown]
	v_mov_b32_e32 v6, v5
	v_mov_b32_e32 v7, v5
	v_readfirstlane_b32 s12, v2
	v_readfirstlane_b32 s13, v3
	v_mov_b32_e32 v15, s11
	v_add_co_ci_u32_e32 v11, vcc_lo, 0, v3, vcc_lo
	v_mov_b32_e32 v14, s10
	v_mov_b32_e32 v13, s9
	;; [unrolled: 1-line block ×3, first 2 shown]
	global_store_dwordx4 v37, v[4:7], s[12:13]
	global_store_dwordx4 v37, v[12:15], s[12:13] offset:16
	global_store_dwordx4 v37, v[12:15], s[12:13] offset:32
	;; [unrolled: 1-line block ×3, first 2 shown]
	s_and_saveexec_b32 s5, s4
	s_cbranch_execz .LBB7_1002
; %bb.995:
	v_mov_b32_e32 v6, 0
	v_mov_b32_e32 v12, s6
	;; [unrolled: 1-line block ×3, first 2 shown]
	s_clause 0x1
	global_load_dwordx2 v[14:15], v6, s[26:27] offset:32 glc dlc
	global_load_dwordx2 v[2:3], v6, s[26:27] offset:40
	s_waitcnt vmcnt(0)
	v_readfirstlane_b32 s8, v2
	v_readfirstlane_b32 s9, v3
	s_and_b64 s[8:9], s[8:9], s[6:7]
	s_mul_i32 s9, s9, 24
	s_mul_hi_u32 s10, s8, 24
	s_mul_i32 s8, s8, 24
	s_add_i32 s10, s10, s9
	v_add_co_u32 v4, vcc_lo, v0, s8
	v_add_co_ci_u32_e32 v5, vcc_lo, s10, v1, vcc_lo
	s_mov_b32 s8, exec_lo
	global_store_dwordx2 v[4:5], v[14:15], off
	s_waitcnt_vscnt null, 0x0
	global_atomic_cmpswap_x2 v[2:3], v6, v[12:15], s[26:27] offset:32 glc
	s_waitcnt vmcnt(0)
	v_cmpx_ne_u64_e64 v[2:3], v[14:15]
	s_cbranch_execz .LBB7_998
; %bb.996:
	s_mov_b32 s9, 0
.LBB7_997:                              ; =>This Inner Loop Header: Depth=1
	v_mov_b32_e32 v0, s6
	v_mov_b32_e32 v1, s7
	s_sleep 1
	global_store_dwordx2 v[4:5], v[2:3], off
	s_waitcnt_vscnt null, 0x0
	global_atomic_cmpswap_x2 v[0:1], v6, v[0:3], s[26:27] offset:32 glc
	s_waitcnt vmcnt(0)
	v_cmp_eq_u64_e32 vcc_lo, v[0:1], v[2:3]
	v_mov_b32_e32 v3, v1
	v_mov_b32_e32 v2, v0
	s_or_b32 s9, vcc_lo, s9
	s_andn2_b32 exec_lo, exec_lo, s9
	s_cbranch_execnz .LBB7_997
.LBB7_998:
	s_or_b32 exec_lo, exec_lo, s8
	v_mov_b32_e32 v3, 0
	s_mov_b32 s9, exec_lo
	s_mov_b32 s8, exec_lo
	v_mbcnt_lo_u32_b32 v2, s9, 0
	global_load_dwordx2 v[0:1], v3, s[26:27] offset:16
	v_cmpx_eq_u32_e32 0, v2
	s_cbranch_execz .LBB7_1000
; %bb.999:
	s_bcnt1_i32_b32 s9, s9
	v_mov_b32_e32 v2, s9
	s_waitcnt vmcnt(0)
	global_atomic_add_x2 v[0:1], v[2:3], off offset:8
.LBB7_1000:
	s_or_b32 exec_lo, exec_lo, s8
	s_waitcnt vmcnt(0)
	global_load_dwordx2 v[2:3], v[0:1], off offset:16
	s_waitcnt vmcnt(0)
	v_cmp_eq_u64_e32 vcc_lo, 0, v[2:3]
	s_cbranch_vccnz .LBB7_1002
; %bb.1001:
	global_load_dword v0, v[0:1], off offset:24
	v_mov_b32_e32 v1, 0
	s_waitcnt vmcnt(0)
	v_and_b32_e32 v4, 0x7fffff, v0
	s_waitcnt_vscnt null, 0x0
	global_store_dwordx2 v[2:3], v[0:1], off
	v_readfirstlane_b32 m0, v4
	s_sendmsg sendmsg(MSG_INTERRUPT)
.LBB7_1002:
	s_or_b32 exec_lo, exec_lo, s5
	s_branch .LBB7_1006
	.p2align	6
.LBB7_1003:                             ;   in Loop: Header=BB7_1006 Depth=1
	s_or_b32 exec_lo, exec_lo, s5
	v_readfirstlane_b32 s5, v0
	s_cmp_eq_u32 s5, 0
	s_cbranch_scc1 .LBB7_1005
; %bb.1004:                             ;   in Loop: Header=BB7_1006 Depth=1
	s_sleep 1
	s_cbranch_execnz .LBB7_1006
	s_branch .LBB7_1008
	.p2align	6
.LBB7_1005:
	s_branch .LBB7_1008
.LBB7_1006:                             ; =>This Inner Loop Header: Depth=1
	v_mov_b32_e32 v0, 1
	s_and_saveexec_b32 s5, s4
	s_cbranch_execz .LBB7_1003
; %bb.1007:                             ;   in Loop: Header=BB7_1006 Depth=1
	global_load_dword v0, v[8:9], off offset:20 glc dlc
	s_waitcnt vmcnt(0)
	buffer_gl1_inv
	buffer_gl0_inv
	v_and_b32_e32 v0, 1, v0
	s_branch .LBB7_1003
.LBB7_1008:
	global_load_dwordx2 v[0:1], v[10:11], off
	s_and_saveexec_b32 s5, s4
	s_cbranch_execz .LBB7_1012
; %bb.1009:
	v_mov_b32_e32 v8, 0
	s_clause 0x2
	global_load_dwordx2 v[4:5], v8, s[26:27] offset:40
	global_load_dwordx2 v[9:10], v8, s[26:27] offset:24 glc dlc
	global_load_dwordx2 v[6:7], v8, s[26:27]
	s_waitcnt vmcnt(2)
	v_add_co_u32 v11, vcc_lo, v4, 1
	v_add_co_ci_u32_e32 v12, vcc_lo, 0, v5, vcc_lo
	v_add_co_u32 v2, vcc_lo, v11, s6
	v_add_co_ci_u32_e32 v3, vcc_lo, s7, v12, vcc_lo
	v_cmp_eq_u64_e32 vcc_lo, 0, v[2:3]
	v_cndmask_b32_e32 v3, v3, v12, vcc_lo
	v_cndmask_b32_e32 v2, v2, v11, vcc_lo
	v_and_b32_e32 v5, v3, v5
	v_and_b32_e32 v4, v2, v4
	v_mul_lo_u32 v5, v5, 24
	v_mul_hi_u32 v11, v4, 24
	v_mul_lo_u32 v4, v4, 24
	v_add_nc_u32_e32 v5, v11, v5
	s_waitcnt vmcnt(0)
	v_add_co_u32 v6, vcc_lo, v6, v4
	v_mov_b32_e32 v4, v9
	v_add_co_ci_u32_e32 v7, vcc_lo, v7, v5, vcc_lo
	v_mov_b32_e32 v5, v10
	global_store_dwordx2 v[6:7], v[9:10], off
	s_waitcnt_vscnt null, 0x0
	global_atomic_cmpswap_x2 v[4:5], v8, v[2:5], s[26:27] offset:24 glc
	s_waitcnt vmcnt(0)
	v_cmp_ne_u64_e32 vcc_lo, v[4:5], v[9:10]
	s_and_b32 exec_lo, exec_lo, vcc_lo
	s_cbranch_execz .LBB7_1012
; %bb.1010:
	s_mov_b32 s4, 0
.LBB7_1011:                             ; =>This Inner Loop Header: Depth=1
	s_sleep 1
	global_store_dwordx2 v[6:7], v[4:5], off
	s_waitcnt_vscnt null, 0x0
	global_atomic_cmpswap_x2 v[9:10], v8, v[2:5], s[26:27] offset:24 glc
	s_waitcnt vmcnt(0)
	v_cmp_eq_u64_e32 vcc_lo, v[9:10], v[4:5]
	v_mov_b32_e32 v4, v9
	v_mov_b32_e32 v5, v10
	s_or_b32 s4, vcc_lo, s4
	s_andn2_b32 exec_lo, exec_lo, s4
	s_cbranch_execnz .LBB7_1011
.LBB7_1012:
	s_or_b32 exec_lo, exec_lo, s5
	s_and_b32 vcc_lo, exec_lo, s33
	s_cbranch_vccz .LBB7_1091
; %bb.1013:
	s_waitcnt vmcnt(0)
	v_and_b32_e32 v31, 2, v0
	v_mov_b32_e32 v6, 0
	v_and_b32_e32 v2, -3, v0
	v_mov_b32_e32 v3, v1
	v_mov_b32_e32 v7, 2
	;; [unrolled: 1-line block ×3, first 2 shown]
	s_mov_b64 s[8:9], 3
	s_getpc_b64 s[6:7]
	s_add_u32 s6, s6, .str.6@rel32@lo+4
	s_addc_u32 s7, s7, .str.6@rel32@hi+12
	s_branch .LBB7_1015
.LBB7_1014:                             ;   in Loop: Header=BB7_1015 Depth=1
	s_or_b32 exec_lo, exec_lo, s5
	s_sub_u32 s8, s8, s10
	s_subb_u32 s9, s9, s11
	s_add_u32 s6, s6, s10
	s_addc_u32 s7, s7, s11
	s_cmp_lg_u64 s[8:9], 0
	s_cbranch_scc0 .LBB7_1090
.LBB7_1015:                             ; =>This Loop Header: Depth=1
                                        ;     Child Loop BB7_1024 Depth 2
                                        ;     Child Loop BB7_1020 Depth 2
	;; [unrolled: 1-line block ×11, first 2 shown]
	v_cmp_lt_u64_e64 s4, s[8:9], 56
	v_cmp_gt_u64_e64 s5, s[8:9], 7
                                        ; implicit-def: $vgpr11_vgpr12
                                        ; implicit-def: $sgpr17
	s_and_b32 s4, s4, exec_lo
	s_cselect_b32 s11, s9, 0
	s_cselect_b32 s10, s8, 56
	s_and_b32 vcc_lo, exec_lo, s5
	s_mov_b32 s4, -1
	s_cbranch_vccz .LBB7_1022
; %bb.1016:                             ;   in Loop: Header=BB7_1015 Depth=1
	s_andn2_b32 vcc_lo, exec_lo, s4
	s_mov_b64 s[4:5], s[6:7]
	s_cbranch_vccz .LBB7_1026
.LBB7_1017:                             ;   in Loop: Header=BB7_1015 Depth=1
	s_cmp_gt_u32 s17, 7
	s_cbranch_scc1 .LBB7_1027
.LBB7_1018:                             ;   in Loop: Header=BB7_1015 Depth=1
	v_mov_b32_e32 v13, 0
	v_mov_b32_e32 v14, 0
	s_cmp_eq_u32 s17, 0
	s_cbranch_scc1 .LBB7_1021
; %bb.1019:                             ;   in Loop: Header=BB7_1015 Depth=1
	s_mov_b64 s[12:13], 0
	s_mov_b64 s[14:15], 0
.LBB7_1020:                             ;   Parent Loop BB7_1015 Depth=1
                                        ; =>  This Inner Loop Header: Depth=2
	s_add_u32 s18, s4, s14
	s_addc_u32 s19, s5, s15
	s_add_u32 s14, s14, 1
	global_load_ubyte v4, v6, s[18:19]
	s_addc_u32 s15, s15, 0
	s_waitcnt vmcnt(0)
	v_and_b32_e32 v5, 0xffff, v4
	v_lshlrev_b64 v[4:5], s12, v[5:6]
	s_add_u32 s12, s12, 8
	s_addc_u32 s13, s13, 0
	s_cmp_lg_u32 s17, s14
	v_or_b32_e32 v13, v4, v13
	v_or_b32_e32 v14, v5, v14
	s_cbranch_scc1 .LBB7_1020
.LBB7_1021:                             ;   in Loop: Header=BB7_1015 Depth=1
	s_mov_b32 s18, 0
	s_cbranch_execz .LBB7_1028
	s_branch .LBB7_1029
.LBB7_1022:                             ;   in Loop: Header=BB7_1015 Depth=1
	v_mov_b32_e32 v11, 0
	v_mov_b32_e32 v12, 0
	s_cmp_eq_u64 s[8:9], 0
	s_mov_b64 s[4:5], 0
	s_cbranch_scc1 .LBB7_1025
; %bb.1023:                             ;   in Loop: Header=BB7_1015 Depth=1
	v_mov_b32_e32 v11, 0
	v_mov_b32_e32 v12, 0
	s_lshl_b64 s[12:13], s[10:11], 3
	s_mov_b64 s[14:15], s[6:7]
.LBB7_1024:                             ;   Parent Loop BB7_1015 Depth=1
                                        ; =>  This Inner Loop Header: Depth=2
	global_load_ubyte v4, v6, s[14:15]
	s_waitcnt vmcnt(0)
	v_and_b32_e32 v5, 0xffff, v4
	v_lshlrev_b64 v[4:5], s4, v[5:6]
	s_add_u32 s4, s4, 8
	s_addc_u32 s5, s5, 0
	s_add_u32 s14, s14, 1
	s_addc_u32 s15, s15, 0
	s_cmp_lg_u32 s12, s4
	v_or_b32_e32 v11, v4, v11
	v_or_b32_e32 v12, v5, v12
	s_cbranch_scc1 .LBB7_1024
.LBB7_1025:                             ;   in Loop: Header=BB7_1015 Depth=1
	s_mov_b32 s17, 0
	s_mov_b64 s[4:5], s[6:7]
	s_cbranch_execnz .LBB7_1017
.LBB7_1026:                             ;   in Loop: Header=BB7_1015 Depth=1
	global_load_dwordx2 v[11:12], v6, s[6:7]
	s_add_i32 s17, s10, -8
	s_add_u32 s4, s6, 8
	s_addc_u32 s5, s7, 0
	s_cmp_gt_u32 s17, 7
	s_cbranch_scc0 .LBB7_1018
.LBB7_1027:                             ;   in Loop: Header=BB7_1015 Depth=1
                                        ; implicit-def: $vgpr13_vgpr14
                                        ; implicit-def: $sgpr18
.LBB7_1028:                             ;   in Loop: Header=BB7_1015 Depth=1
	global_load_dwordx2 v[13:14], v6, s[4:5]
	s_add_i32 s18, s17, -8
	s_add_u32 s4, s4, 8
	s_addc_u32 s5, s5, 0
.LBB7_1029:                             ;   in Loop: Header=BB7_1015 Depth=1
	s_cmp_gt_u32 s18, 7
	s_cbranch_scc1 .LBB7_1034
; %bb.1030:                             ;   in Loop: Header=BB7_1015 Depth=1
	v_mov_b32_e32 v15, 0
	v_mov_b32_e32 v16, 0
	s_cmp_eq_u32 s18, 0
	s_cbranch_scc1 .LBB7_1033
; %bb.1031:                             ;   in Loop: Header=BB7_1015 Depth=1
	s_mov_b64 s[12:13], 0
	s_mov_b64 s[14:15], 0
.LBB7_1032:                             ;   Parent Loop BB7_1015 Depth=1
                                        ; =>  This Inner Loop Header: Depth=2
	s_add_u32 s20, s4, s14
	s_addc_u32 s21, s5, s15
	s_add_u32 s14, s14, 1
	global_load_ubyte v4, v6, s[20:21]
	s_addc_u32 s15, s15, 0
	s_waitcnt vmcnt(0)
	v_and_b32_e32 v5, 0xffff, v4
	v_lshlrev_b64 v[4:5], s12, v[5:6]
	s_add_u32 s12, s12, 8
	s_addc_u32 s13, s13, 0
	s_cmp_lg_u32 s18, s14
	v_or_b32_e32 v15, v4, v15
	v_or_b32_e32 v16, v5, v16
	s_cbranch_scc1 .LBB7_1032
.LBB7_1033:                             ;   in Loop: Header=BB7_1015 Depth=1
	s_mov_b32 s17, 0
	s_cbranch_execz .LBB7_1035
	s_branch .LBB7_1036
.LBB7_1034:                             ;   in Loop: Header=BB7_1015 Depth=1
                                        ; implicit-def: $sgpr17
.LBB7_1035:                             ;   in Loop: Header=BB7_1015 Depth=1
	global_load_dwordx2 v[15:16], v6, s[4:5]
	s_add_i32 s17, s18, -8
	s_add_u32 s4, s4, 8
	s_addc_u32 s5, s5, 0
.LBB7_1036:                             ;   in Loop: Header=BB7_1015 Depth=1
	s_cmp_gt_u32 s17, 7
	s_cbranch_scc1 .LBB7_1041
; %bb.1037:                             ;   in Loop: Header=BB7_1015 Depth=1
	v_mov_b32_e32 v17, 0
	v_mov_b32_e32 v18, 0
	s_cmp_eq_u32 s17, 0
	s_cbranch_scc1 .LBB7_1040
; %bb.1038:                             ;   in Loop: Header=BB7_1015 Depth=1
	s_mov_b64 s[12:13], 0
	s_mov_b64 s[14:15], 0
.LBB7_1039:                             ;   Parent Loop BB7_1015 Depth=1
                                        ; =>  This Inner Loop Header: Depth=2
	s_add_u32 s18, s4, s14
	s_addc_u32 s19, s5, s15
	s_add_u32 s14, s14, 1
	global_load_ubyte v4, v6, s[18:19]
	s_addc_u32 s15, s15, 0
	s_waitcnt vmcnt(0)
	v_and_b32_e32 v5, 0xffff, v4
	v_lshlrev_b64 v[4:5], s12, v[5:6]
	s_add_u32 s12, s12, 8
	s_addc_u32 s13, s13, 0
	s_cmp_lg_u32 s17, s14
	v_or_b32_e32 v17, v4, v17
	v_or_b32_e32 v18, v5, v18
	s_cbranch_scc1 .LBB7_1039
.LBB7_1040:                             ;   in Loop: Header=BB7_1015 Depth=1
	s_mov_b32 s18, 0
	s_cbranch_execz .LBB7_1042
	s_branch .LBB7_1043
.LBB7_1041:                             ;   in Loop: Header=BB7_1015 Depth=1
                                        ; implicit-def: $vgpr17_vgpr18
                                        ; implicit-def: $sgpr18
.LBB7_1042:                             ;   in Loop: Header=BB7_1015 Depth=1
	global_load_dwordx2 v[17:18], v6, s[4:5]
	s_add_i32 s18, s17, -8
	s_add_u32 s4, s4, 8
	s_addc_u32 s5, s5, 0
.LBB7_1043:                             ;   in Loop: Header=BB7_1015 Depth=1
	s_cmp_gt_u32 s18, 7
	s_cbranch_scc1 .LBB7_1048
; %bb.1044:                             ;   in Loop: Header=BB7_1015 Depth=1
	v_mov_b32_e32 v19, 0
	v_mov_b32_e32 v20, 0
	s_cmp_eq_u32 s18, 0
	s_cbranch_scc1 .LBB7_1047
; %bb.1045:                             ;   in Loop: Header=BB7_1015 Depth=1
	s_mov_b64 s[12:13], 0
	s_mov_b64 s[14:15], 0
.LBB7_1046:                             ;   Parent Loop BB7_1015 Depth=1
                                        ; =>  This Inner Loop Header: Depth=2
	s_add_u32 s20, s4, s14
	s_addc_u32 s21, s5, s15
	s_add_u32 s14, s14, 1
	global_load_ubyte v4, v6, s[20:21]
	s_addc_u32 s15, s15, 0
	s_waitcnt vmcnt(0)
	v_and_b32_e32 v5, 0xffff, v4
	v_lshlrev_b64 v[4:5], s12, v[5:6]
	s_add_u32 s12, s12, 8
	s_addc_u32 s13, s13, 0
	s_cmp_lg_u32 s18, s14
	v_or_b32_e32 v19, v4, v19
	v_or_b32_e32 v20, v5, v20
	s_cbranch_scc1 .LBB7_1046
.LBB7_1047:                             ;   in Loop: Header=BB7_1015 Depth=1
	s_mov_b32 s17, 0
	s_cbranch_execz .LBB7_1049
	s_branch .LBB7_1050
.LBB7_1048:                             ;   in Loop: Header=BB7_1015 Depth=1
                                        ; implicit-def: $sgpr17
.LBB7_1049:                             ;   in Loop: Header=BB7_1015 Depth=1
	global_load_dwordx2 v[19:20], v6, s[4:5]
	s_add_i32 s17, s18, -8
	s_add_u32 s4, s4, 8
	s_addc_u32 s5, s5, 0
.LBB7_1050:                             ;   in Loop: Header=BB7_1015 Depth=1
	s_cmp_gt_u32 s17, 7
	s_cbranch_scc1 .LBB7_1055
; %bb.1051:                             ;   in Loop: Header=BB7_1015 Depth=1
	v_mov_b32_e32 v21, 0
	v_mov_b32_e32 v22, 0
	s_cmp_eq_u32 s17, 0
	s_cbranch_scc1 .LBB7_1054
; %bb.1052:                             ;   in Loop: Header=BB7_1015 Depth=1
	s_mov_b64 s[12:13], 0
	s_mov_b64 s[14:15], 0
.LBB7_1053:                             ;   Parent Loop BB7_1015 Depth=1
                                        ; =>  This Inner Loop Header: Depth=2
	s_add_u32 s18, s4, s14
	s_addc_u32 s19, s5, s15
	s_add_u32 s14, s14, 1
	global_load_ubyte v4, v6, s[18:19]
	s_addc_u32 s15, s15, 0
	s_waitcnt vmcnt(0)
	v_and_b32_e32 v5, 0xffff, v4
	v_lshlrev_b64 v[4:5], s12, v[5:6]
	s_add_u32 s12, s12, 8
	s_addc_u32 s13, s13, 0
	s_cmp_lg_u32 s17, s14
	v_or_b32_e32 v21, v4, v21
	v_or_b32_e32 v22, v5, v22
	s_cbranch_scc1 .LBB7_1053
.LBB7_1054:                             ;   in Loop: Header=BB7_1015 Depth=1
	s_mov_b32 s18, 0
	s_cbranch_execz .LBB7_1056
	s_branch .LBB7_1057
.LBB7_1055:                             ;   in Loop: Header=BB7_1015 Depth=1
                                        ; implicit-def: $vgpr21_vgpr22
                                        ; implicit-def: $sgpr18
.LBB7_1056:                             ;   in Loop: Header=BB7_1015 Depth=1
	global_load_dwordx2 v[21:22], v6, s[4:5]
	s_add_i32 s18, s17, -8
	s_add_u32 s4, s4, 8
	s_addc_u32 s5, s5, 0
.LBB7_1057:                             ;   in Loop: Header=BB7_1015 Depth=1
	s_cmp_gt_u32 s18, 7
	s_cbranch_scc1 .LBB7_1062
; %bb.1058:                             ;   in Loop: Header=BB7_1015 Depth=1
	v_mov_b32_e32 v23, 0
	v_mov_b32_e32 v24, 0
	s_cmp_eq_u32 s18, 0
	s_cbranch_scc1 .LBB7_1061
; %bb.1059:                             ;   in Loop: Header=BB7_1015 Depth=1
	s_mov_b64 s[12:13], 0
	s_mov_b64 s[14:15], s[4:5]
.LBB7_1060:                             ;   Parent Loop BB7_1015 Depth=1
                                        ; =>  This Inner Loop Header: Depth=2
	global_load_ubyte v4, v6, s[14:15]
	s_add_i32 s18, s18, -1
	s_waitcnt vmcnt(0)
	v_and_b32_e32 v5, 0xffff, v4
	v_lshlrev_b64 v[4:5], s12, v[5:6]
	s_add_u32 s12, s12, 8
	s_addc_u32 s13, s13, 0
	s_add_u32 s14, s14, 1
	s_addc_u32 s15, s15, 0
	s_cmp_lg_u32 s18, 0
	v_or_b32_e32 v23, v4, v23
	v_or_b32_e32 v24, v5, v24
	s_cbranch_scc1 .LBB7_1060
.LBB7_1061:                             ;   in Loop: Header=BB7_1015 Depth=1
	s_cbranch_execz .LBB7_1063
	s_branch .LBB7_1064
.LBB7_1062:                             ;   in Loop: Header=BB7_1015 Depth=1
.LBB7_1063:                             ;   in Loop: Header=BB7_1015 Depth=1
	global_load_dwordx2 v[23:24], v6, s[4:5]
.LBB7_1064:                             ;   in Loop: Header=BB7_1015 Depth=1
	v_readfirstlane_b32 s4, v38
	s_waitcnt vmcnt(0)
	v_mov_b32_e32 v4, 0
	v_mov_b32_e32 v5, 0
	v_cmp_eq_u32_e64 s4, s4, v38
	s_and_saveexec_b32 s5, s4
	s_cbranch_execz .LBB7_1070
; %bb.1065:                             ;   in Loop: Header=BB7_1015 Depth=1
	global_load_dwordx2 v[27:28], v6, s[26:27] offset:24 glc dlc
	s_waitcnt vmcnt(0)
	buffer_gl1_inv
	buffer_gl0_inv
	s_clause 0x1
	global_load_dwordx2 v[4:5], v6, s[26:27] offset:40
	global_load_dwordx2 v[9:10], v6, s[26:27]
	s_mov_b32 s12, exec_lo
	s_waitcnt vmcnt(1)
	v_and_b32_e32 v5, v5, v28
	v_and_b32_e32 v4, v4, v27
	v_mul_lo_u32 v5, v5, 24
	v_mul_hi_u32 v25, v4, 24
	v_mul_lo_u32 v4, v4, 24
	v_add_nc_u32_e32 v5, v25, v5
	s_waitcnt vmcnt(0)
	v_add_co_u32 v4, vcc_lo, v9, v4
	v_add_co_ci_u32_e32 v5, vcc_lo, v10, v5, vcc_lo
	global_load_dwordx2 v[25:26], v[4:5], off glc dlc
	s_waitcnt vmcnt(0)
	global_atomic_cmpswap_x2 v[4:5], v6, v[25:28], s[26:27] offset:24 glc
	s_waitcnt vmcnt(0)
	buffer_gl1_inv
	buffer_gl0_inv
	v_cmpx_ne_u64_e64 v[4:5], v[27:28]
	s_cbranch_execz .LBB7_1069
; %bb.1066:                             ;   in Loop: Header=BB7_1015 Depth=1
	s_mov_b32 s13, 0
	.p2align	6
.LBB7_1067:                             ;   Parent Loop BB7_1015 Depth=1
                                        ; =>  This Inner Loop Header: Depth=2
	s_sleep 1
	s_clause 0x1
	global_load_dwordx2 v[9:10], v6, s[26:27] offset:40
	global_load_dwordx2 v[25:26], v6, s[26:27]
	v_mov_b32_e32 v28, v5
	v_mov_b32_e32 v27, v4
	s_waitcnt vmcnt(1)
	v_and_b32_e32 v4, v9, v27
	v_and_b32_e32 v9, v10, v28
	s_waitcnt vmcnt(0)
	v_mad_u64_u32 v[4:5], null, v4, 24, v[25:26]
	v_mad_u64_u32 v[9:10], null, v9, 24, v[5:6]
	v_mov_b32_e32 v5, v9
	global_load_dwordx2 v[25:26], v[4:5], off glc dlc
	s_waitcnt vmcnt(0)
	global_atomic_cmpswap_x2 v[4:5], v6, v[25:28], s[26:27] offset:24 glc
	s_waitcnt vmcnt(0)
	buffer_gl1_inv
	buffer_gl0_inv
	v_cmp_eq_u64_e32 vcc_lo, v[4:5], v[27:28]
	s_or_b32 s13, vcc_lo, s13
	s_andn2_b32 exec_lo, exec_lo, s13
	s_cbranch_execnz .LBB7_1067
; %bb.1068:                             ;   in Loop: Header=BB7_1015 Depth=1
	s_or_b32 exec_lo, exec_lo, s13
.LBB7_1069:                             ;   in Loop: Header=BB7_1015 Depth=1
	s_or_b32 exec_lo, exec_lo, s12
.LBB7_1070:                             ;   in Loop: Header=BB7_1015 Depth=1
	s_or_b32 exec_lo, exec_lo, s5
	s_clause 0x1
	global_load_dwordx2 v[9:10], v6, s[26:27] offset:40
	global_load_dwordx4 v[25:28], v6, s[26:27]
	v_readfirstlane_b32 s12, v4
	v_readfirstlane_b32 s13, v5
	s_mov_b32 s5, exec_lo
	s_waitcnt vmcnt(1)
	v_readfirstlane_b32 s14, v9
	v_readfirstlane_b32 s15, v10
	s_and_b64 s[14:15], s[12:13], s[14:15]
	s_mul_i32 s17, s15, 24
	s_mul_hi_u32 s18, s14, 24
	s_mul_i32 s19, s14, 24
	s_add_i32 s18, s18, s17
	s_waitcnt vmcnt(0)
	v_add_co_u32 v29, vcc_lo, v25, s19
	v_add_co_ci_u32_e32 v30, vcc_lo, s18, v26, vcc_lo
	s_and_saveexec_b32 s17, s4
	s_cbranch_execz .LBB7_1072
; %bb.1071:                             ;   in Loop: Header=BB7_1015 Depth=1
	v_mov_b32_e32 v5, s5
	global_store_dwordx4 v[29:30], v[5:8], off offset:8
.LBB7_1072:                             ;   in Loop: Header=BB7_1015 Depth=1
	s_or_b32 exec_lo, exec_lo, s17
	s_lshl_b64 s[14:15], s[14:15], 12
	v_cmp_gt_u64_e64 vcc_lo, s[8:9], 56
	v_or_b32_e32 v5, v2, v31
	v_add_co_u32 v27, s5, v27, s14
	v_add_co_ci_u32_e64 v28, s5, s15, v28, s5
	s_lshl_b32 s5, s10, 2
	v_or_b32_e32 v4, 0, v3
	v_cndmask_b32_e32 v2, v5, v2, vcc_lo
	s_add_i32 s5, s5, 28
	v_readfirstlane_b32 s14, v27
	s_and_b32 s5, s5, 0x1e0
	v_cndmask_b32_e32 v10, v4, v3, vcc_lo
	v_readfirstlane_b32 s15, v28
	v_and_or_b32 v9, 0xffffff1f, v2, s5
	global_store_dwordx4 v37, v[9:12], s[14:15]
	global_store_dwordx4 v37, v[13:16], s[14:15] offset:16
	global_store_dwordx4 v37, v[17:20], s[14:15] offset:32
	;; [unrolled: 1-line block ×3, first 2 shown]
	s_and_saveexec_b32 s5, s4
	s_cbranch_execz .LBB7_1080
; %bb.1073:                             ;   in Loop: Header=BB7_1015 Depth=1
	s_clause 0x1
	global_load_dwordx2 v[13:14], v6, s[26:27] offset:32 glc dlc
	global_load_dwordx2 v[2:3], v6, s[26:27] offset:40
	v_mov_b32_e32 v11, s12
	v_mov_b32_e32 v12, s13
	s_waitcnt vmcnt(0)
	v_readfirstlane_b32 s14, v2
	v_readfirstlane_b32 s15, v3
	s_and_b64 s[14:15], s[14:15], s[12:13]
	s_mul_i32 s15, s15, 24
	s_mul_hi_u32 s17, s14, 24
	s_mul_i32 s14, s14, 24
	s_add_i32 s17, s17, s15
	v_add_co_u32 v9, vcc_lo, v25, s14
	v_add_co_ci_u32_e32 v10, vcc_lo, s17, v26, vcc_lo
	s_mov_b32 s14, exec_lo
	global_store_dwordx2 v[9:10], v[13:14], off
	s_waitcnt_vscnt null, 0x0
	global_atomic_cmpswap_x2 v[4:5], v6, v[11:14], s[26:27] offset:32 glc
	s_waitcnt vmcnt(0)
	v_cmpx_ne_u64_e64 v[4:5], v[13:14]
	s_cbranch_execz .LBB7_1076
; %bb.1074:                             ;   in Loop: Header=BB7_1015 Depth=1
	s_mov_b32 s15, 0
.LBB7_1075:                             ;   Parent Loop BB7_1015 Depth=1
                                        ; =>  This Inner Loop Header: Depth=2
	v_mov_b32_e32 v2, s12
	v_mov_b32_e32 v3, s13
	s_sleep 1
	global_store_dwordx2 v[9:10], v[4:5], off
	s_waitcnt_vscnt null, 0x0
	global_atomic_cmpswap_x2 v[2:3], v6, v[2:5], s[26:27] offset:32 glc
	s_waitcnt vmcnt(0)
	v_cmp_eq_u64_e32 vcc_lo, v[2:3], v[4:5]
	v_mov_b32_e32 v5, v3
	v_mov_b32_e32 v4, v2
	s_or_b32 s15, vcc_lo, s15
	s_andn2_b32 exec_lo, exec_lo, s15
	s_cbranch_execnz .LBB7_1075
.LBB7_1076:                             ;   in Loop: Header=BB7_1015 Depth=1
	s_or_b32 exec_lo, exec_lo, s14
	global_load_dwordx2 v[2:3], v6, s[26:27] offset:16
	s_mov_b32 s15, exec_lo
	s_mov_b32 s14, exec_lo
	v_mbcnt_lo_u32_b32 v4, s15, 0
	v_cmpx_eq_u32_e32 0, v4
	s_cbranch_execz .LBB7_1078
; %bb.1077:                             ;   in Loop: Header=BB7_1015 Depth=1
	s_bcnt1_i32_b32 s15, s15
	v_mov_b32_e32 v5, s15
	s_waitcnt vmcnt(0)
	global_atomic_add_x2 v[2:3], v[5:6], off offset:8
.LBB7_1078:                             ;   in Loop: Header=BB7_1015 Depth=1
	s_or_b32 exec_lo, exec_lo, s14
	s_waitcnt vmcnt(0)
	global_load_dwordx2 v[9:10], v[2:3], off offset:16
	s_waitcnt vmcnt(0)
	v_cmp_eq_u64_e32 vcc_lo, 0, v[9:10]
	s_cbranch_vccnz .LBB7_1080
; %bb.1079:                             ;   in Loop: Header=BB7_1015 Depth=1
	global_load_dword v5, v[2:3], off offset:24
	s_waitcnt vmcnt(0)
	v_and_b32_e32 v2, 0x7fffff, v5
	s_waitcnt_vscnt null, 0x0
	global_store_dwordx2 v[9:10], v[5:6], off
	v_readfirstlane_b32 m0, v2
	s_sendmsg sendmsg(MSG_INTERRUPT)
.LBB7_1080:                             ;   in Loop: Header=BB7_1015 Depth=1
	s_or_b32 exec_lo, exec_lo, s5
	v_add_co_u32 v2, vcc_lo, v27, v37
	v_add_co_ci_u32_e32 v3, vcc_lo, 0, v28, vcc_lo
	s_branch .LBB7_1084
	.p2align	6
.LBB7_1081:                             ;   in Loop: Header=BB7_1084 Depth=2
	s_or_b32 exec_lo, exec_lo, s5
	v_readfirstlane_b32 s5, v4
	s_cmp_eq_u32 s5, 0
	s_cbranch_scc1 .LBB7_1083
; %bb.1082:                             ;   in Loop: Header=BB7_1084 Depth=2
	s_sleep 1
	s_cbranch_execnz .LBB7_1084
	s_branch .LBB7_1086
	.p2align	6
.LBB7_1083:                             ;   in Loop: Header=BB7_1015 Depth=1
	s_branch .LBB7_1086
.LBB7_1084:                             ;   Parent Loop BB7_1015 Depth=1
                                        ; =>  This Inner Loop Header: Depth=2
	v_mov_b32_e32 v4, 1
	s_and_saveexec_b32 s5, s4
	s_cbranch_execz .LBB7_1081
; %bb.1085:                             ;   in Loop: Header=BB7_1084 Depth=2
	global_load_dword v4, v[29:30], off offset:20 glc dlc
	s_waitcnt vmcnt(0)
	buffer_gl1_inv
	buffer_gl0_inv
	v_and_b32_e32 v4, 1, v4
	s_branch .LBB7_1081
.LBB7_1086:                             ;   in Loop: Header=BB7_1015 Depth=1
	global_load_dwordx4 v[2:5], v[2:3], off
	s_and_saveexec_b32 s5, s4
	s_cbranch_execz .LBB7_1014
; %bb.1087:                             ;   in Loop: Header=BB7_1015 Depth=1
	s_clause 0x2
	global_load_dwordx2 v[4:5], v6, s[26:27] offset:40
	global_load_dwordx2 v[13:14], v6, s[26:27] offset:24 glc dlc
	global_load_dwordx2 v[11:12], v6, s[26:27]
	s_waitcnt vmcnt(2)
	v_add_co_u32 v15, vcc_lo, v4, 1
	v_add_co_ci_u32_e32 v16, vcc_lo, 0, v5, vcc_lo
	v_add_co_u32 v9, vcc_lo, v15, s12
	v_add_co_ci_u32_e32 v10, vcc_lo, s13, v16, vcc_lo
	v_cmp_eq_u64_e32 vcc_lo, 0, v[9:10]
	v_cndmask_b32_e32 v10, v10, v16, vcc_lo
	v_cndmask_b32_e32 v9, v9, v15, vcc_lo
	v_and_b32_e32 v5, v10, v5
	v_and_b32_e32 v4, v9, v4
	v_mul_lo_u32 v5, v5, 24
	v_mul_hi_u32 v15, v4, 24
	v_mul_lo_u32 v4, v4, 24
	v_add_nc_u32_e32 v5, v15, v5
	s_waitcnt vmcnt(0)
	v_add_co_u32 v4, vcc_lo, v11, v4
	v_mov_b32_e32 v11, v13
	v_add_co_ci_u32_e32 v5, vcc_lo, v12, v5, vcc_lo
	v_mov_b32_e32 v12, v14
	global_store_dwordx2 v[4:5], v[13:14], off
	s_waitcnt_vscnt null, 0x0
	global_atomic_cmpswap_x2 v[11:12], v6, v[9:12], s[26:27] offset:24 glc
	s_waitcnt vmcnt(0)
	v_cmp_ne_u64_e32 vcc_lo, v[11:12], v[13:14]
	s_and_b32 exec_lo, exec_lo, vcc_lo
	s_cbranch_execz .LBB7_1014
; %bb.1088:                             ;   in Loop: Header=BB7_1015 Depth=1
	s_mov_b32 s4, 0
.LBB7_1089:                             ;   Parent Loop BB7_1015 Depth=1
                                        ; =>  This Inner Loop Header: Depth=2
	s_sleep 1
	global_store_dwordx2 v[4:5], v[11:12], off
	s_waitcnt_vscnt null, 0x0
	global_atomic_cmpswap_x2 v[13:14], v6, v[9:12], s[26:27] offset:24 glc
	s_waitcnt vmcnt(0)
	v_cmp_eq_u64_e32 vcc_lo, v[13:14], v[11:12]
	v_mov_b32_e32 v11, v13
	v_mov_b32_e32 v12, v14
	s_or_b32 s4, vcc_lo, s4
	s_andn2_b32 exec_lo, exec_lo, s4
	s_cbranch_execnz .LBB7_1089
	s_branch .LBB7_1014
.LBB7_1090:
	s_mov_b32 s4, 0
	s_branch .LBB7_1092
.LBB7_1091:
	s_mov_b32 s4, -1
                                        ; implicit-def: $vgpr2_vgpr3
.LBB7_1092:
	s_and_b32 vcc_lo, exec_lo, s4
	s_cbranch_vccz .LBB7_1120
; %bb.1093:
	v_readfirstlane_b32 s4, v38
	v_mov_b32_e32 v8, 0
	v_mov_b32_e32 v9, 0
	v_cmp_eq_u32_e64 s4, s4, v38
	s_and_saveexec_b32 s5, s4
	s_cbranch_execz .LBB7_1099
; %bb.1094:
	s_waitcnt vmcnt(0)
	v_mov_b32_e32 v2, 0
	s_mov_b32 s6, exec_lo
	global_load_dwordx2 v[5:6], v2, s[26:27] offset:24 glc dlc
	s_waitcnt vmcnt(0)
	buffer_gl1_inv
	buffer_gl0_inv
	s_clause 0x1
	global_load_dwordx2 v[3:4], v2, s[26:27] offset:40
	global_load_dwordx2 v[7:8], v2, s[26:27]
	s_waitcnt vmcnt(1)
	v_and_b32_e32 v4, v4, v6
	v_and_b32_e32 v3, v3, v5
	v_mul_lo_u32 v4, v4, 24
	v_mul_hi_u32 v9, v3, 24
	v_mul_lo_u32 v3, v3, 24
	v_add_nc_u32_e32 v4, v9, v4
	s_waitcnt vmcnt(0)
	v_add_co_u32 v3, vcc_lo, v7, v3
	v_add_co_ci_u32_e32 v4, vcc_lo, v8, v4, vcc_lo
	global_load_dwordx2 v[3:4], v[3:4], off glc dlc
	s_waitcnt vmcnt(0)
	global_atomic_cmpswap_x2 v[8:9], v2, v[3:6], s[26:27] offset:24 glc
	s_waitcnt vmcnt(0)
	buffer_gl1_inv
	buffer_gl0_inv
	v_cmpx_ne_u64_e64 v[8:9], v[5:6]
	s_cbranch_execz .LBB7_1098
; %bb.1095:
	s_mov_b32 s7, 0
.LBB7_1096:                             ; =>This Inner Loop Header: Depth=1
	s_sleep 1
	s_clause 0x1
	global_load_dwordx2 v[3:4], v2, s[26:27] offset:40
	global_load_dwordx2 v[10:11], v2, s[26:27]
	v_mov_b32_e32 v5, v8
	v_mov_b32_e32 v6, v9
	s_waitcnt vmcnt(1)
	v_and_b32_e32 v3, v3, v5
	v_and_b32_e32 v4, v4, v6
	s_waitcnt vmcnt(0)
	v_mad_u64_u32 v[7:8], null, v3, 24, v[10:11]
	v_mov_b32_e32 v3, v8
	v_mad_u64_u32 v[3:4], null, v4, 24, v[3:4]
	v_mov_b32_e32 v8, v3
	global_load_dwordx2 v[3:4], v[7:8], off glc dlc
	s_waitcnt vmcnt(0)
	global_atomic_cmpswap_x2 v[8:9], v2, v[3:6], s[26:27] offset:24 glc
	s_waitcnt vmcnt(0)
	buffer_gl1_inv
	buffer_gl0_inv
	v_cmp_eq_u64_e32 vcc_lo, v[8:9], v[5:6]
	s_or_b32 s7, vcc_lo, s7
	s_andn2_b32 exec_lo, exec_lo, s7
	s_cbranch_execnz .LBB7_1096
; %bb.1097:
	s_or_b32 exec_lo, exec_lo, s7
.LBB7_1098:
	s_or_b32 exec_lo, exec_lo, s6
.LBB7_1099:
	s_or_b32 exec_lo, exec_lo, s5
	s_waitcnt vmcnt(0)
	v_mov_b32_e32 v2, 0
	v_readfirstlane_b32 s6, v8
	v_readfirstlane_b32 s7, v9
	s_mov_b32 s5, exec_lo
	s_clause 0x1
	global_load_dwordx2 v[10:11], v2, s[26:27] offset:40
	global_load_dwordx4 v[4:7], v2, s[26:27]
	s_waitcnt vmcnt(1)
	v_readfirstlane_b32 s8, v10
	v_readfirstlane_b32 s9, v11
	s_and_b64 s[8:9], s[6:7], s[8:9]
	s_mul_i32 s10, s9, 24
	s_mul_hi_u32 s11, s8, 24
	s_mul_i32 s12, s8, 24
	s_add_i32 s11, s11, s10
	s_waitcnt vmcnt(0)
	v_add_co_u32 v8, vcc_lo, v4, s12
	v_add_co_ci_u32_e32 v9, vcc_lo, s11, v5, vcc_lo
	s_and_saveexec_b32 s10, s4
	s_cbranch_execz .LBB7_1101
; %bb.1100:
	v_mov_b32_e32 v10, s5
	v_mov_b32_e32 v11, v2
	v_mov_b32_e32 v12, 2
	v_mov_b32_e32 v13, 1
	global_store_dwordx4 v[8:9], v[10:13], off offset:8
.LBB7_1101:
	s_or_b32 exec_lo, exec_lo, s10
	s_lshl_b64 s[8:9], s[8:9], 12
	v_and_or_b32 v0, 0xffffff1f, v0, 32
	v_add_co_u32 v6, vcc_lo, v6, s8
	v_add_co_ci_u32_e32 v7, vcc_lo, s9, v7, vcc_lo
	s_mov_b32 s8, 0
	v_readfirstlane_b32 s12, v6
	s_mov_b32 s11, s8
	v_add_co_u32 v6, vcc_lo, v6, v37
	s_mov_b32 s9, s8
	s_mov_b32 s10, s8
	v_mov_b32_e32 v3, v2
	v_readfirstlane_b32 s13, v7
	v_mov_b32_e32 v13, s11
	v_add_co_ci_u32_e32 v7, vcc_lo, 0, v7, vcc_lo
	v_mov_b32_e32 v12, s10
	v_mov_b32_e32 v11, s9
	;; [unrolled: 1-line block ×3, first 2 shown]
	global_store_dwordx4 v37, v[0:3], s[12:13]
	global_store_dwordx4 v37, v[10:13], s[12:13] offset:16
	global_store_dwordx4 v37, v[10:13], s[12:13] offset:32
	;; [unrolled: 1-line block ×3, first 2 shown]
	s_and_saveexec_b32 s5, s4
	s_cbranch_execz .LBB7_1109
; %bb.1102:
	v_mov_b32_e32 v10, 0
	v_mov_b32_e32 v11, s6
	;; [unrolled: 1-line block ×3, first 2 shown]
	s_clause 0x1
	global_load_dwordx2 v[13:14], v10, s[26:27] offset:32 glc dlc
	global_load_dwordx2 v[0:1], v10, s[26:27] offset:40
	s_waitcnt vmcnt(0)
	v_readfirstlane_b32 s8, v0
	v_readfirstlane_b32 s9, v1
	s_and_b64 s[8:9], s[8:9], s[6:7]
	s_mul_i32 s9, s9, 24
	s_mul_hi_u32 s10, s8, 24
	s_mul_i32 s8, s8, 24
	s_add_i32 s10, s10, s9
	v_add_co_u32 v4, vcc_lo, v4, s8
	v_add_co_ci_u32_e32 v5, vcc_lo, s10, v5, vcc_lo
	s_mov_b32 s8, exec_lo
	global_store_dwordx2 v[4:5], v[13:14], off
	s_waitcnt_vscnt null, 0x0
	global_atomic_cmpswap_x2 v[2:3], v10, v[11:14], s[26:27] offset:32 glc
	s_waitcnt vmcnt(0)
	v_cmpx_ne_u64_e64 v[2:3], v[13:14]
	s_cbranch_execz .LBB7_1105
; %bb.1103:
	s_mov_b32 s9, 0
.LBB7_1104:                             ; =>This Inner Loop Header: Depth=1
	v_mov_b32_e32 v0, s6
	v_mov_b32_e32 v1, s7
	s_sleep 1
	global_store_dwordx2 v[4:5], v[2:3], off
	s_waitcnt_vscnt null, 0x0
	global_atomic_cmpswap_x2 v[0:1], v10, v[0:3], s[26:27] offset:32 glc
	s_waitcnt vmcnt(0)
	v_cmp_eq_u64_e32 vcc_lo, v[0:1], v[2:3]
	v_mov_b32_e32 v3, v1
	v_mov_b32_e32 v2, v0
	s_or_b32 s9, vcc_lo, s9
	s_andn2_b32 exec_lo, exec_lo, s9
	s_cbranch_execnz .LBB7_1104
.LBB7_1105:
	s_or_b32 exec_lo, exec_lo, s8
	v_mov_b32_e32 v3, 0
	s_mov_b32 s9, exec_lo
	s_mov_b32 s8, exec_lo
	v_mbcnt_lo_u32_b32 v2, s9, 0
	global_load_dwordx2 v[0:1], v3, s[26:27] offset:16
	v_cmpx_eq_u32_e32 0, v2
	s_cbranch_execz .LBB7_1107
; %bb.1106:
	s_bcnt1_i32_b32 s9, s9
	v_mov_b32_e32 v2, s9
	s_waitcnt vmcnt(0)
	global_atomic_add_x2 v[0:1], v[2:3], off offset:8
.LBB7_1107:
	s_or_b32 exec_lo, exec_lo, s8
	s_waitcnt vmcnt(0)
	global_load_dwordx2 v[2:3], v[0:1], off offset:16
	s_waitcnt vmcnt(0)
	v_cmp_eq_u64_e32 vcc_lo, 0, v[2:3]
	s_cbranch_vccnz .LBB7_1109
; %bb.1108:
	global_load_dword v0, v[0:1], off offset:24
	v_mov_b32_e32 v1, 0
	s_waitcnt vmcnt(0)
	v_and_b32_e32 v4, 0x7fffff, v0
	s_waitcnt_vscnt null, 0x0
	global_store_dwordx2 v[2:3], v[0:1], off
	v_readfirstlane_b32 m0, v4
	s_sendmsg sendmsg(MSG_INTERRUPT)
.LBB7_1109:
	s_or_b32 exec_lo, exec_lo, s5
	s_branch .LBB7_1113
	.p2align	6
.LBB7_1110:                             ;   in Loop: Header=BB7_1113 Depth=1
	s_or_b32 exec_lo, exec_lo, s5
	v_readfirstlane_b32 s5, v0
	s_cmp_eq_u32 s5, 0
	s_cbranch_scc1 .LBB7_1112
; %bb.1111:                             ;   in Loop: Header=BB7_1113 Depth=1
	s_sleep 1
	s_cbranch_execnz .LBB7_1113
	s_branch .LBB7_1115
.LBB7_1112:
	s_branch .LBB7_1115
.LBB7_1113:                             ; =>This Inner Loop Header: Depth=1
	v_mov_b32_e32 v0, 1
	s_and_saveexec_b32 s5, s4
	s_cbranch_execz .LBB7_1110
; %bb.1114:                             ;   in Loop: Header=BB7_1113 Depth=1
	global_load_dword v0, v[8:9], off offset:20 glc dlc
	s_waitcnt vmcnt(0)
	buffer_gl1_inv
	buffer_gl0_inv
	v_and_b32_e32 v0, 1, v0
	s_branch .LBB7_1110
.LBB7_1115:
	global_load_dwordx2 v[2:3], v[6:7], off
	s_and_saveexec_b32 s5, s4
	s_cbranch_execz .LBB7_1119
; %bb.1116:
	v_mov_b32_e32 v8, 0
	s_clause 0x2
	global_load_dwordx2 v[0:1], v8, s[26:27] offset:40
	global_load_dwordx2 v[9:10], v8, s[26:27] offset:24 glc dlc
	global_load_dwordx2 v[6:7], v8, s[26:27]
	s_waitcnt vmcnt(2)
	v_add_co_u32 v11, vcc_lo, v0, 1
	v_add_co_ci_u32_e32 v12, vcc_lo, 0, v1, vcc_lo
	v_add_co_u32 v4, vcc_lo, v11, s6
	v_add_co_ci_u32_e32 v5, vcc_lo, s7, v12, vcc_lo
	v_cmp_eq_u64_e32 vcc_lo, 0, v[4:5]
	v_cndmask_b32_e32 v5, v5, v12, vcc_lo
	v_cndmask_b32_e32 v4, v4, v11, vcc_lo
	v_and_b32_e32 v1, v5, v1
	v_and_b32_e32 v0, v4, v0
	v_mul_lo_u32 v1, v1, 24
	v_mul_hi_u32 v11, v0, 24
	v_mul_lo_u32 v0, v0, 24
	v_add_nc_u32_e32 v1, v11, v1
	s_waitcnt vmcnt(0)
	v_add_co_u32 v0, vcc_lo, v6, v0
	v_mov_b32_e32 v6, v9
	v_add_co_ci_u32_e32 v1, vcc_lo, v7, v1, vcc_lo
	v_mov_b32_e32 v7, v10
	global_store_dwordx2 v[0:1], v[9:10], off
	s_waitcnt_vscnt null, 0x0
	global_atomic_cmpswap_x2 v[6:7], v8, v[4:7], s[26:27] offset:24 glc
	s_waitcnt vmcnt(0)
	v_cmp_ne_u64_e32 vcc_lo, v[6:7], v[9:10]
	s_and_b32 exec_lo, exec_lo, vcc_lo
	s_cbranch_execz .LBB7_1119
; %bb.1117:
	s_mov_b32 s4, 0
.LBB7_1118:                             ; =>This Inner Loop Header: Depth=1
	s_sleep 1
	global_store_dwordx2 v[0:1], v[6:7], off
	s_waitcnt_vscnt null, 0x0
	global_atomic_cmpswap_x2 v[9:10], v8, v[4:7], s[26:27] offset:24 glc
	s_waitcnt vmcnt(0)
	v_cmp_eq_u64_e32 vcc_lo, v[9:10], v[6:7]
	v_mov_b32_e32 v6, v9
	v_mov_b32_e32 v7, v10
	s_or_b32 s4, vcc_lo, s4
	s_andn2_b32 exec_lo, exec_lo, s4
	s_cbranch_execnz .LBB7_1118
.LBB7_1119:
	s_or_b32 exec_lo, exec_lo, s5
.LBB7_1120:
	v_readfirstlane_b32 s4, v38
	s_waitcnt vmcnt(0)
	v_mov_b32_e32 v0, 0
	v_mov_b32_e32 v1, 0
	v_cmp_eq_u32_e64 s4, s4, v38
	s_and_saveexec_b32 s5, s4
	s_cbranch_execz .LBB7_1126
; %bb.1121:
	v_mov_b32_e32 v4, 0
	s_mov_b32 s6, exec_lo
	global_load_dwordx2 v[7:8], v4, s[26:27] offset:24 glc dlc
	s_waitcnt vmcnt(0)
	buffer_gl1_inv
	buffer_gl0_inv
	s_clause 0x1
	global_load_dwordx2 v[0:1], v4, s[26:27] offset:40
	global_load_dwordx2 v[5:6], v4, s[26:27]
	s_waitcnt vmcnt(1)
	v_and_b32_e32 v1, v1, v8
	v_and_b32_e32 v0, v0, v7
	v_mul_lo_u32 v1, v1, 24
	v_mul_hi_u32 v9, v0, 24
	v_mul_lo_u32 v0, v0, 24
	v_add_nc_u32_e32 v1, v9, v1
	s_waitcnt vmcnt(0)
	v_add_co_u32 v0, vcc_lo, v5, v0
	v_add_co_ci_u32_e32 v1, vcc_lo, v6, v1, vcc_lo
	global_load_dwordx2 v[5:6], v[0:1], off glc dlc
	s_waitcnt vmcnt(0)
	global_atomic_cmpswap_x2 v[0:1], v4, v[5:8], s[26:27] offset:24 glc
	s_waitcnt vmcnt(0)
	buffer_gl1_inv
	buffer_gl0_inv
	v_cmpx_ne_u64_e64 v[0:1], v[7:8]
	s_cbranch_execz .LBB7_1125
; %bb.1122:
	s_mov_b32 s7, 0
.LBB7_1123:                             ; =>This Inner Loop Header: Depth=1
	s_sleep 1
	s_clause 0x1
	global_load_dwordx2 v[5:6], v4, s[26:27] offset:40
	global_load_dwordx2 v[9:10], v4, s[26:27]
	v_mov_b32_e32 v8, v1
	v_mov_b32_e32 v7, v0
	s_waitcnt vmcnt(1)
	v_and_b32_e32 v0, v5, v7
	v_and_b32_e32 v5, v6, v8
	s_waitcnt vmcnt(0)
	v_mad_u64_u32 v[0:1], null, v0, 24, v[9:10]
	v_mad_u64_u32 v[5:6], null, v5, 24, v[1:2]
	v_mov_b32_e32 v1, v5
	global_load_dwordx2 v[5:6], v[0:1], off glc dlc
	s_waitcnt vmcnt(0)
	global_atomic_cmpswap_x2 v[0:1], v4, v[5:8], s[26:27] offset:24 glc
	s_waitcnt vmcnt(0)
	buffer_gl1_inv
	buffer_gl0_inv
	v_cmp_eq_u64_e32 vcc_lo, v[0:1], v[7:8]
	s_or_b32 s7, vcc_lo, s7
	s_andn2_b32 exec_lo, exec_lo, s7
	s_cbranch_execnz .LBB7_1123
; %bb.1124:
	s_or_b32 exec_lo, exec_lo, s7
.LBB7_1125:
	s_or_b32 exec_lo, exec_lo, s6
.LBB7_1126:
	s_or_b32 exec_lo, exec_lo, s5
	v_mov_b32_e32 v5, 0
	v_readfirstlane_b32 s6, v0
	v_readfirstlane_b32 s7, v1
	s_mov_b32 s5, exec_lo
	s_clause 0x1
	global_load_dwordx2 v[10:11], v5, s[26:27] offset:40
	global_load_dwordx4 v[6:9], v5, s[26:27]
	s_waitcnt vmcnt(1)
	v_readfirstlane_b32 s8, v10
	v_readfirstlane_b32 s9, v11
	s_and_b64 s[8:9], s[6:7], s[8:9]
	s_mul_i32 s10, s9, 24
	s_mul_hi_u32 s11, s8, 24
	s_mul_i32 s12, s8, 24
	s_add_i32 s11, s11, s10
	s_waitcnt vmcnt(0)
	v_add_co_u32 v10, vcc_lo, v6, s12
	v_add_co_ci_u32_e32 v11, vcc_lo, s11, v7, vcc_lo
	s_and_saveexec_b32 s10, s4
	s_cbranch_execz .LBB7_1128
; %bb.1127:
	v_mov_b32_e32 v4, s5
	v_mov_b32_e32 v13, v5
	;; [unrolled: 1-line block ×5, first 2 shown]
	global_store_dwordx4 v[10:11], v[12:15], off offset:8
.LBB7_1128:
	s_or_b32 exec_lo, exec_lo, s10
	s_lshl_b64 s[8:9], s[8:9], 12
	v_and_or_b32 v2, 0xffffff1d, v2, 34
	v_add_co_u32 v0, vcc_lo, v8, s8
	v_add_co_ci_u32_e32 v1, vcc_lo, s9, v9, vcc_lo
	s_mov_b32 s8, 0
	v_mov_b32_e32 v4, 58
	s_mov_b32 s11, s8
	s_mov_b32 s9, s8
	;; [unrolled: 1-line block ×3, first 2 shown]
	v_readfirstlane_b32 s12, v0
	v_readfirstlane_b32 s13, v1
	v_mov_b32_e32 v15, s11
	v_mov_b32_e32 v14, s10
	;; [unrolled: 1-line block ×4, first 2 shown]
	global_store_dwordx4 v37, v[2:5], s[12:13]
	global_store_dwordx4 v37, v[12:15], s[12:13] offset:16
	global_store_dwordx4 v37, v[12:15], s[12:13] offset:32
	;; [unrolled: 1-line block ×3, first 2 shown]
	s_and_saveexec_b32 s5, s4
	s_cbranch_execz .LBB7_1136
; %bb.1129:
	v_mov_b32_e32 v8, 0
	v_mov_b32_e32 v12, s6
	;; [unrolled: 1-line block ×3, first 2 shown]
	s_clause 0x1
	global_load_dwordx2 v[14:15], v8, s[26:27] offset:32 glc dlc
	global_load_dwordx2 v[0:1], v8, s[26:27] offset:40
	s_waitcnt vmcnt(0)
	v_readfirstlane_b32 s8, v0
	v_readfirstlane_b32 s9, v1
	s_and_b64 s[8:9], s[8:9], s[6:7]
	s_mul_i32 s9, s9, 24
	s_mul_hi_u32 s10, s8, 24
	s_mul_i32 s8, s8, 24
	s_add_i32 s10, s10, s9
	v_add_co_u32 v4, vcc_lo, v6, s8
	v_add_co_ci_u32_e32 v5, vcc_lo, s10, v7, vcc_lo
	s_mov_b32 s8, exec_lo
	global_store_dwordx2 v[4:5], v[14:15], off
	s_waitcnt_vscnt null, 0x0
	global_atomic_cmpswap_x2 v[2:3], v8, v[12:15], s[26:27] offset:32 glc
	s_waitcnt vmcnt(0)
	v_cmpx_ne_u64_e64 v[2:3], v[14:15]
	s_cbranch_execz .LBB7_1132
; %bb.1130:
	s_mov_b32 s9, 0
.LBB7_1131:                             ; =>This Inner Loop Header: Depth=1
	v_mov_b32_e32 v0, s6
	v_mov_b32_e32 v1, s7
	s_sleep 1
	global_store_dwordx2 v[4:5], v[2:3], off
	s_waitcnt_vscnt null, 0x0
	global_atomic_cmpswap_x2 v[0:1], v8, v[0:3], s[26:27] offset:32 glc
	s_waitcnt vmcnt(0)
	v_cmp_eq_u64_e32 vcc_lo, v[0:1], v[2:3]
	v_mov_b32_e32 v3, v1
	v_mov_b32_e32 v2, v0
	s_or_b32 s9, vcc_lo, s9
	s_andn2_b32 exec_lo, exec_lo, s9
	s_cbranch_execnz .LBB7_1131
.LBB7_1132:
	s_or_b32 exec_lo, exec_lo, s8
	v_mov_b32_e32 v3, 0
	s_mov_b32 s9, exec_lo
	s_mov_b32 s8, exec_lo
	v_mbcnt_lo_u32_b32 v2, s9, 0
	global_load_dwordx2 v[0:1], v3, s[26:27] offset:16
	v_cmpx_eq_u32_e32 0, v2
	s_cbranch_execz .LBB7_1134
; %bb.1133:
	s_bcnt1_i32_b32 s9, s9
	v_mov_b32_e32 v2, s9
	s_waitcnt vmcnt(0)
	global_atomic_add_x2 v[0:1], v[2:3], off offset:8
.LBB7_1134:
	s_or_b32 exec_lo, exec_lo, s8
	s_waitcnt vmcnt(0)
	global_load_dwordx2 v[2:3], v[0:1], off offset:16
	s_waitcnt vmcnt(0)
	v_cmp_eq_u64_e32 vcc_lo, 0, v[2:3]
	s_cbranch_vccnz .LBB7_1136
; %bb.1135:
	global_load_dword v0, v[0:1], off offset:24
	v_mov_b32_e32 v1, 0
	s_waitcnt vmcnt(0)
	v_and_b32_e32 v4, 0x7fffff, v0
	s_waitcnt_vscnt null, 0x0
	global_store_dwordx2 v[2:3], v[0:1], off
	v_readfirstlane_b32 m0, v4
	s_sendmsg sendmsg(MSG_INTERRUPT)
.LBB7_1136:
	s_or_b32 exec_lo, exec_lo, s5
	s_branch .LBB7_1140
	.p2align	6
.LBB7_1137:                             ;   in Loop: Header=BB7_1140 Depth=1
	s_or_b32 exec_lo, exec_lo, s5
	v_readfirstlane_b32 s5, v0
	s_cmp_eq_u32 s5, 0
	s_cbranch_scc1 .LBB7_1139
; %bb.1138:                             ;   in Loop: Header=BB7_1140 Depth=1
	s_sleep 1
	s_cbranch_execnz .LBB7_1140
	s_branch .LBB7_1142
	.p2align	6
.LBB7_1139:
	s_branch .LBB7_1142
.LBB7_1140:                             ; =>This Inner Loop Header: Depth=1
	v_mov_b32_e32 v0, 1
	s_and_saveexec_b32 s5, s4
	s_cbranch_execz .LBB7_1137
; %bb.1141:                             ;   in Loop: Header=BB7_1140 Depth=1
	global_load_dword v0, v[10:11], off offset:20 glc dlc
	s_waitcnt vmcnt(0)
	buffer_gl1_inv
	buffer_gl0_inv
	v_and_b32_e32 v0, 1, v0
	s_branch .LBB7_1137
.LBB7_1142:
	s_and_saveexec_b32 s5, s4
	s_cbranch_execz .LBB7_1146
; %bb.1143:
	v_mov_b32_e32 v6, 0
	s_clause 0x2
	global_load_dwordx2 v[2:3], v6, s[26:27] offset:40
	global_load_dwordx2 v[7:8], v6, s[26:27] offset:24 glc dlc
	global_load_dwordx2 v[4:5], v6, s[26:27]
	s_waitcnt vmcnt(2)
	v_add_co_u32 v9, vcc_lo, v2, 1
	v_add_co_ci_u32_e32 v10, vcc_lo, 0, v3, vcc_lo
	v_add_co_u32 v0, vcc_lo, v9, s6
	v_add_co_ci_u32_e32 v1, vcc_lo, s7, v10, vcc_lo
	v_cmp_eq_u64_e32 vcc_lo, 0, v[0:1]
	v_cndmask_b32_e32 v1, v1, v10, vcc_lo
	v_cndmask_b32_e32 v0, v0, v9, vcc_lo
	v_and_b32_e32 v3, v1, v3
	v_and_b32_e32 v2, v0, v2
	v_mul_lo_u32 v3, v3, 24
	v_mul_hi_u32 v9, v2, 24
	v_mul_lo_u32 v2, v2, 24
	v_add_nc_u32_e32 v3, v9, v3
	s_waitcnt vmcnt(0)
	v_add_co_u32 v4, vcc_lo, v4, v2
	v_mov_b32_e32 v2, v7
	v_add_co_ci_u32_e32 v5, vcc_lo, v5, v3, vcc_lo
	v_mov_b32_e32 v3, v8
	global_store_dwordx2 v[4:5], v[7:8], off
	s_waitcnt_vscnt null, 0x0
	global_atomic_cmpswap_x2 v[2:3], v6, v[0:3], s[26:27] offset:24 glc
	s_waitcnt vmcnt(0)
	v_cmp_ne_u64_e32 vcc_lo, v[2:3], v[7:8]
	s_and_b32 exec_lo, exec_lo, vcc_lo
	s_cbranch_execz .LBB7_1146
; %bb.1144:
	s_mov_b32 s4, 0
.LBB7_1145:                             ; =>This Inner Loop Header: Depth=1
	s_sleep 1
	global_store_dwordx2 v[4:5], v[2:3], off
	s_waitcnt_vscnt null, 0x0
	global_atomic_cmpswap_x2 v[7:8], v6, v[0:3], s[26:27] offset:24 glc
	s_waitcnt vmcnt(0)
	v_cmp_eq_u64_e32 vcc_lo, v[7:8], v[2:3]
	v_mov_b32_e32 v2, v7
	v_mov_b32_e32 v3, v8
	s_or_b32 s4, vcc_lo, s4
	s_andn2_b32 exec_lo, exec_lo, s4
	s_cbranch_execnz .LBB7_1145
.LBB7_1146:
	s_or_b32 exec_lo, exec_lo, s5
	v_readfirstlane_b32 s4, v38
	v_mov_b32_e32 v6, 0
	v_mov_b32_e32 v7, 0
	v_cmp_eq_u32_e64 s4, s4, v38
	s_and_saveexec_b32 s5, s4
	s_cbranch_execz .LBB7_1152
; %bb.1147:
	v_mov_b32_e32 v0, 0
	s_mov_b32 s6, exec_lo
	global_load_dwordx2 v[3:4], v0, s[26:27] offset:24 glc dlc
	s_waitcnt vmcnt(0)
	buffer_gl1_inv
	buffer_gl0_inv
	s_clause 0x1
	global_load_dwordx2 v[1:2], v0, s[26:27] offset:40
	global_load_dwordx2 v[5:6], v0, s[26:27]
	s_waitcnt vmcnt(1)
	v_and_b32_e32 v2, v2, v4
	v_and_b32_e32 v1, v1, v3
	v_mul_lo_u32 v2, v2, 24
	v_mul_hi_u32 v7, v1, 24
	v_mul_lo_u32 v1, v1, 24
	v_add_nc_u32_e32 v2, v7, v2
	s_waitcnt vmcnt(0)
	v_add_co_u32 v1, vcc_lo, v5, v1
	v_add_co_ci_u32_e32 v2, vcc_lo, v6, v2, vcc_lo
	global_load_dwordx2 v[1:2], v[1:2], off glc dlc
	s_waitcnt vmcnt(0)
	global_atomic_cmpswap_x2 v[6:7], v0, v[1:4], s[26:27] offset:24 glc
	s_waitcnt vmcnt(0)
	buffer_gl1_inv
	buffer_gl0_inv
	v_cmpx_ne_u64_e64 v[6:7], v[3:4]
	s_cbranch_execz .LBB7_1151
; %bb.1148:
	s_mov_b32 s7, 0
.LBB7_1149:                             ; =>This Inner Loop Header: Depth=1
	s_sleep 1
	s_clause 0x1
	global_load_dwordx2 v[1:2], v0, s[26:27] offset:40
	global_load_dwordx2 v[8:9], v0, s[26:27]
	v_mov_b32_e32 v3, v6
	v_mov_b32_e32 v4, v7
	s_waitcnt vmcnt(1)
	v_and_b32_e32 v1, v1, v3
	v_and_b32_e32 v2, v2, v4
	s_waitcnt vmcnt(0)
	v_mad_u64_u32 v[5:6], null, v1, 24, v[8:9]
	v_mov_b32_e32 v1, v6
	v_mad_u64_u32 v[1:2], null, v2, 24, v[1:2]
	v_mov_b32_e32 v6, v1
	global_load_dwordx2 v[1:2], v[5:6], off glc dlc
	s_waitcnt vmcnt(0)
	global_atomic_cmpswap_x2 v[6:7], v0, v[1:4], s[26:27] offset:24 glc
	s_waitcnt vmcnt(0)
	buffer_gl1_inv
	buffer_gl0_inv
	v_cmp_eq_u64_e32 vcc_lo, v[6:7], v[3:4]
	s_or_b32 s7, vcc_lo, s7
	s_andn2_b32 exec_lo, exec_lo, s7
	s_cbranch_execnz .LBB7_1149
; %bb.1150:
	s_or_b32 exec_lo, exec_lo, s7
.LBB7_1151:
	s_or_b32 exec_lo, exec_lo, s6
.LBB7_1152:
	s_or_b32 exec_lo, exec_lo, s5
	v_mov_b32_e32 v5, 0
	v_readfirstlane_b32 s6, v6
	v_readfirstlane_b32 s7, v7
	s_mov_b32 s5, exec_lo
	s_clause 0x1
	global_load_dwordx2 v[8:9], v5, s[26:27] offset:40
	global_load_dwordx4 v[0:3], v5, s[26:27]
	s_waitcnt vmcnt(1)
	v_readfirstlane_b32 s8, v8
	v_readfirstlane_b32 s9, v9
	s_and_b64 s[8:9], s[6:7], s[8:9]
	s_mul_i32 s10, s9, 24
	s_mul_hi_u32 s11, s8, 24
	s_mul_i32 s12, s8, 24
	s_add_i32 s11, s11, s10
	s_waitcnt vmcnt(0)
	v_add_co_u32 v8, vcc_lo, v0, s12
	v_add_co_ci_u32_e32 v9, vcc_lo, s11, v1, vcc_lo
	s_and_saveexec_b32 s10, s4
	s_cbranch_execz .LBB7_1154
; %bb.1153:
	v_mov_b32_e32 v4, s5
	v_mov_b32_e32 v6, 2
	v_mov_b32_e32 v7, 1
	global_store_dwordx4 v[8:9], v[4:7], off offset:8
.LBB7_1154:
	s_or_b32 exec_lo, exec_lo, s10
	s_lshl_b64 s[8:9], s[8:9], 12
	v_mov_b32_e32 v4, 33
	v_add_co_u32 v2, vcc_lo, v2, s8
	v_add_co_ci_u32_e32 v3, vcc_lo, s9, v3, vcc_lo
	s_mov_b32 s8, 0
	v_add_co_u32 v10, vcc_lo, v2, v37
	s_mov_b32 s11, s8
	s_mov_b32 s9, s8
	;; [unrolled: 1-line block ×3, first 2 shown]
	v_mov_b32_e32 v6, v5
	v_mov_b32_e32 v7, v5
	v_readfirstlane_b32 s12, v2
	v_readfirstlane_b32 s13, v3
	v_mov_b32_e32 v15, s11
	v_add_co_ci_u32_e32 v11, vcc_lo, 0, v3, vcc_lo
	v_mov_b32_e32 v14, s10
	v_mov_b32_e32 v13, s9
	;; [unrolled: 1-line block ×3, first 2 shown]
	global_store_dwordx4 v37, v[4:7], s[12:13]
	global_store_dwordx4 v37, v[12:15], s[12:13] offset:16
	global_store_dwordx4 v37, v[12:15], s[12:13] offset:32
	global_store_dwordx4 v37, v[12:15], s[12:13] offset:48
	s_and_saveexec_b32 s5, s4
	s_cbranch_execz .LBB7_1162
; %bb.1155:
	v_mov_b32_e32 v6, 0
	v_mov_b32_e32 v12, s6
	;; [unrolled: 1-line block ×3, first 2 shown]
	s_clause 0x1
	global_load_dwordx2 v[14:15], v6, s[26:27] offset:32 glc dlc
	global_load_dwordx2 v[2:3], v6, s[26:27] offset:40
	s_waitcnt vmcnt(0)
	v_readfirstlane_b32 s8, v2
	v_readfirstlane_b32 s9, v3
	s_and_b64 s[8:9], s[8:9], s[6:7]
	s_mul_i32 s9, s9, 24
	s_mul_hi_u32 s10, s8, 24
	s_mul_i32 s8, s8, 24
	s_add_i32 s10, s10, s9
	v_add_co_u32 v4, vcc_lo, v0, s8
	v_add_co_ci_u32_e32 v5, vcc_lo, s10, v1, vcc_lo
	s_mov_b32 s8, exec_lo
	global_store_dwordx2 v[4:5], v[14:15], off
	s_waitcnt_vscnt null, 0x0
	global_atomic_cmpswap_x2 v[2:3], v6, v[12:15], s[26:27] offset:32 glc
	s_waitcnt vmcnt(0)
	v_cmpx_ne_u64_e64 v[2:3], v[14:15]
	s_cbranch_execz .LBB7_1158
; %bb.1156:
	s_mov_b32 s9, 0
.LBB7_1157:                             ; =>This Inner Loop Header: Depth=1
	v_mov_b32_e32 v0, s6
	v_mov_b32_e32 v1, s7
	s_sleep 1
	global_store_dwordx2 v[4:5], v[2:3], off
	s_waitcnt_vscnt null, 0x0
	global_atomic_cmpswap_x2 v[0:1], v6, v[0:3], s[26:27] offset:32 glc
	s_waitcnt vmcnt(0)
	v_cmp_eq_u64_e32 vcc_lo, v[0:1], v[2:3]
	v_mov_b32_e32 v3, v1
	v_mov_b32_e32 v2, v0
	s_or_b32 s9, vcc_lo, s9
	s_andn2_b32 exec_lo, exec_lo, s9
	s_cbranch_execnz .LBB7_1157
.LBB7_1158:
	s_or_b32 exec_lo, exec_lo, s8
	v_mov_b32_e32 v3, 0
	s_mov_b32 s9, exec_lo
	s_mov_b32 s8, exec_lo
	v_mbcnt_lo_u32_b32 v2, s9, 0
	global_load_dwordx2 v[0:1], v3, s[26:27] offset:16
	v_cmpx_eq_u32_e32 0, v2
	s_cbranch_execz .LBB7_1160
; %bb.1159:
	s_bcnt1_i32_b32 s9, s9
	v_mov_b32_e32 v2, s9
	s_waitcnt vmcnt(0)
	global_atomic_add_x2 v[0:1], v[2:3], off offset:8
.LBB7_1160:
	s_or_b32 exec_lo, exec_lo, s8
	s_waitcnt vmcnt(0)
	global_load_dwordx2 v[2:3], v[0:1], off offset:16
	s_waitcnt vmcnt(0)
	v_cmp_eq_u64_e32 vcc_lo, 0, v[2:3]
	s_cbranch_vccnz .LBB7_1162
; %bb.1161:
	global_load_dword v0, v[0:1], off offset:24
	v_mov_b32_e32 v1, 0
	s_waitcnt vmcnt(0)
	v_and_b32_e32 v4, 0x7fffff, v0
	s_waitcnt_vscnt null, 0x0
	global_store_dwordx2 v[2:3], v[0:1], off
	v_readfirstlane_b32 m0, v4
	s_sendmsg sendmsg(MSG_INTERRUPT)
.LBB7_1162:
	s_or_b32 exec_lo, exec_lo, s5
	s_branch .LBB7_1166
	.p2align	6
.LBB7_1163:                             ;   in Loop: Header=BB7_1166 Depth=1
	s_or_b32 exec_lo, exec_lo, s5
	v_readfirstlane_b32 s5, v0
	s_cmp_eq_u32 s5, 0
	s_cbranch_scc1 .LBB7_1165
; %bb.1164:                             ;   in Loop: Header=BB7_1166 Depth=1
	s_sleep 1
	s_cbranch_execnz .LBB7_1166
	s_branch .LBB7_1168
	.p2align	6
.LBB7_1165:
	s_branch .LBB7_1168
.LBB7_1166:                             ; =>This Inner Loop Header: Depth=1
	v_mov_b32_e32 v0, 1
	s_and_saveexec_b32 s5, s4
	s_cbranch_execz .LBB7_1163
; %bb.1167:                             ;   in Loop: Header=BB7_1166 Depth=1
	global_load_dword v0, v[8:9], off offset:20 glc dlc
	s_waitcnt vmcnt(0)
	buffer_gl1_inv
	buffer_gl0_inv
	v_and_b32_e32 v0, 1, v0
	s_branch .LBB7_1163
.LBB7_1168:
	global_load_dwordx2 v[0:1], v[10:11], off
	s_and_saveexec_b32 s5, s4
	s_cbranch_execz .LBB7_1172
; %bb.1169:
	v_mov_b32_e32 v8, 0
	s_clause 0x2
	global_load_dwordx2 v[4:5], v8, s[26:27] offset:40
	global_load_dwordx2 v[9:10], v8, s[26:27] offset:24 glc dlc
	global_load_dwordx2 v[6:7], v8, s[26:27]
	s_waitcnt vmcnt(2)
	v_add_co_u32 v11, vcc_lo, v4, 1
	v_add_co_ci_u32_e32 v12, vcc_lo, 0, v5, vcc_lo
	v_add_co_u32 v2, vcc_lo, v11, s6
	v_add_co_ci_u32_e32 v3, vcc_lo, s7, v12, vcc_lo
	v_cmp_eq_u64_e32 vcc_lo, 0, v[2:3]
	v_cndmask_b32_e32 v3, v3, v12, vcc_lo
	v_cndmask_b32_e32 v2, v2, v11, vcc_lo
	v_and_b32_e32 v5, v3, v5
	v_and_b32_e32 v4, v2, v4
	v_mul_lo_u32 v5, v5, 24
	v_mul_hi_u32 v11, v4, 24
	v_mul_lo_u32 v4, v4, 24
	v_add_nc_u32_e32 v5, v11, v5
	s_waitcnt vmcnt(0)
	v_add_co_u32 v6, vcc_lo, v6, v4
	v_mov_b32_e32 v4, v9
	v_add_co_ci_u32_e32 v7, vcc_lo, v7, v5, vcc_lo
	v_mov_b32_e32 v5, v10
	global_store_dwordx2 v[6:7], v[9:10], off
	s_waitcnt_vscnt null, 0x0
	global_atomic_cmpswap_x2 v[4:5], v8, v[2:5], s[26:27] offset:24 glc
	s_waitcnt vmcnt(0)
	v_cmp_ne_u64_e32 vcc_lo, v[4:5], v[9:10]
	s_and_b32 exec_lo, exec_lo, vcc_lo
	s_cbranch_execz .LBB7_1172
; %bb.1170:
	s_mov_b32 s4, 0
.LBB7_1171:                             ; =>This Inner Loop Header: Depth=1
	s_sleep 1
	global_store_dwordx2 v[6:7], v[4:5], off
	s_waitcnt_vscnt null, 0x0
	global_atomic_cmpswap_x2 v[9:10], v8, v[2:5], s[26:27] offset:24 glc
	s_waitcnt vmcnt(0)
	v_cmp_eq_u64_e32 vcc_lo, v[9:10], v[4:5]
	v_mov_b32_e32 v4, v9
	v_mov_b32_e32 v5, v10
	s_or_b32 s4, vcc_lo, s4
	s_andn2_b32 exec_lo, exec_lo, s4
	s_cbranch_execnz .LBB7_1171
.LBB7_1172:
	s_or_b32 exec_lo, exec_lo, s5
	s_and_b32 vcc_lo, exec_lo, s33
	s_cbranch_vccz .LBB7_1251
; %bb.1173:
	s_waitcnt vmcnt(0)
	v_and_b32_e32 v31, 2, v0
	v_mov_b32_e32 v6, 0
	v_and_b32_e32 v2, -3, v0
	v_mov_b32_e32 v3, v1
	v_mov_b32_e32 v7, 2
	;; [unrolled: 1-line block ×3, first 2 shown]
	s_mov_b64 s[8:9], 3
	s_getpc_b64 s[6:7]
	s_add_u32 s6, s6, .str.6@rel32@lo+4
	s_addc_u32 s7, s7, .str.6@rel32@hi+12
	s_branch .LBB7_1175
.LBB7_1174:                             ;   in Loop: Header=BB7_1175 Depth=1
	s_or_b32 exec_lo, exec_lo, s5
	s_sub_u32 s8, s8, s10
	s_subb_u32 s9, s9, s11
	s_add_u32 s6, s6, s10
	s_addc_u32 s7, s7, s11
	s_cmp_lg_u64 s[8:9], 0
	s_cbranch_scc0 .LBB7_1250
.LBB7_1175:                             ; =>This Loop Header: Depth=1
                                        ;     Child Loop BB7_1184 Depth 2
                                        ;     Child Loop BB7_1180 Depth 2
	;; [unrolled: 1-line block ×11, first 2 shown]
	v_cmp_lt_u64_e64 s4, s[8:9], 56
	v_cmp_gt_u64_e64 s5, s[8:9], 7
                                        ; implicit-def: $vgpr11_vgpr12
                                        ; implicit-def: $sgpr17
	s_and_b32 s4, s4, exec_lo
	s_cselect_b32 s11, s9, 0
	s_cselect_b32 s10, s8, 56
	s_and_b32 vcc_lo, exec_lo, s5
	s_mov_b32 s4, -1
	s_cbranch_vccz .LBB7_1182
; %bb.1176:                             ;   in Loop: Header=BB7_1175 Depth=1
	s_andn2_b32 vcc_lo, exec_lo, s4
	s_mov_b64 s[4:5], s[6:7]
	s_cbranch_vccz .LBB7_1186
.LBB7_1177:                             ;   in Loop: Header=BB7_1175 Depth=1
	s_cmp_gt_u32 s17, 7
	s_cbranch_scc1 .LBB7_1187
.LBB7_1178:                             ;   in Loop: Header=BB7_1175 Depth=1
	v_mov_b32_e32 v13, 0
	v_mov_b32_e32 v14, 0
	s_cmp_eq_u32 s17, 0
	s_cbranch_scc1 .LBB7_1181
; %bb.1179:                             ;   in Loop: Header=BB7_1175 Depth=1
	s_mov_b64 s[12:13], 0
	s_mov_b64 s[14:15], 0
.LBB7_1180:                             ;   Parent Loop BB7_1175 Depth=1
                                        ; =>  This Inner Loop Header: Depth=2
	s_add_u32 s18, s4, s14
	s_addc_u32 s19, s5, s15
	s_add_u32 s14, s14, 1
	global_load_ubyte v4, v6, s[18:19]
	s_addc_u32 s15, s15, 0
	s_waitcnt vmcnt(0)
	v_and_b32_e32 v5, 0xffff, v4
	v_lshlrev_b64 v[4:5], s12, v[5:6]
	s_add_u32 s12, s12, 8
	s_addc_u32 s13, s13, 0
	s_cmp_lg_u32 s17, s14
	v_or_b32_e32 v13, v4, v13
	v_or_b32_e32 v14, v5, v14
	s_cbranch_scc1 .LBB7_1180
.LBB7_1181:                             ;   in Loop: Header=BB7_1175 Depth=1
	s_mov_b32 s18, 0
	s_cbranch_execz .LBB7_1188
	s_branch .LBB7_1189
.LBB7_1182:                             ;   in Loop: Header=BB7_1175 Depth=1
	v_mov_b32_e32 v11, 0
	v_mov_b32_e32 v12, 0
	s_cmp_eq_u64 s[8:9], 0
	s_mov_b64 s[4:5], 0
	s_cbranch_scc1 .LBB7_1185
; %bb.1183:                             ;   in Loop: Header=BB7_1175 Depth=1
	v_mov_b32_e32 v11, 0
	v_mov_b32_e32 v12, 0
	s_lshl_b64 s[12:13], s[10:11], 3
	s_mov_b64 s[14:15], s[6:7]
.LBB7_1184:                             ;   Parent Loop BB7_1175 Depth=1
                                        ; =>  This Inner Loop Header: Depth=2
	global_load_ubyte v4, v6, s[14:15]
	s_waitcnt vmcnt(0)
	v_and_b32_e32 v5, 0xffff, v4
	v_lshlrev_b64 v[4:5], s4, v[5:6]
	s_add_u32 s4, s4, 8
	s_addc_u32 s5, s5, 0
	s_add_u32 s14, s14, 1
	s_addc_u32 s15, s15, 0
	s_cmp_lg_u32 s12, s4
	v_or_b32_e32 v11, v4, v11
	v_or_b32_e32 v12, v5, v12
	s_cbranch_scc1 .LBB7_1184
.LBB7_1185:                             ;   in Loop: Header=BB7_1175 Depth=1
	s_mov_b32 s17, 0
	s_mov_b64 s[4:5], s[6:7]
	s_cbranch_execnz .LBB7_1177
.LBB7_1186:                             ;   in Loop: Header=BB7_1175 Depth=1
	global_load_dwordx2 v[11:12], v6, s[6:7]
	s_add_i32 s17, s10, -8
	s_add_u32 s4, s6, 8
	s_addc_u32 s5, s7, 0
	s_cmp_gt_u32 s17, 7
	s_cbranch_scc0 .LBB7_1178
.LBB7_1187:                             ;   in Loop: Header=BB7_1175 Depth=1
                                        ; implicit-def: $vgpr13_vgpr14
                                        ; implicit-def: $sgpr18
.LBB7_1188:                             ;   in Loop: Header=BB7_1175 Depth=1
	global_load_dwordx2 v[13:14], v6, s[4:5]
	s_add_i32 s18, s17, -8
	s_add_u32 s4, s4, 8
	s_addc_u32 s5, s5, 0
.LBB7_1189:                             ;   in Loop: Header=BB7_1175 Depth=1
	s_cmp_gt_u32 s18, 7
	s_cbranch_scc1 .LBB7_1194
; %bb.1190:                             ;   in Loop: Header=BB7_1175 Depth=1
	v_mov_b32_e32 v15, 0
	v_mov_b32_e32 v16, 0
	s_cmp_eq_u32 s18, 0
	s_cbranch_scc1 .LBB7_1193
; %bb.1191:                             ;   in Loop: Header=BB7_1175 Depth=1
	s_mov_b64 s[12:13], 0
	s_mov_b64 s[14:15], 0
.LBB7_1192:                             ;   Parent Loop BB7_1175 Depth=1
                                        ; =>  This Inner Loop Header: Depth=2
	s_add_u32 s20, s4, s14
	s_addc_u32 s21, s5, s15
	s_add_u32 s14, s14, 1
	global_load_ubyte v4, v6, s[20:21]
	s_addc_u32 s15, s15, 0
	s_waitcnt vmcnt(0)
	v_and_b32_e32 v5, 0xffff, v4
	v_lshlrev_b64 v[4:5], s12, v[5:6]
	s_add_u32 s12, s12, 8
	s_addc_u32 s13, s13, 0
	s_cmp_lg_u32 s18, s14
	v_or_b32_e32 v15, v4, v15
	v_or_b32_e32 v16, v5, v16
	s_cbranch_scc1 .LBB7_1192
.LBB7_1193:                             ;   in Loop: Header=BB7_1175 Depth=1
	s_mov_b32 s17, 0
	s_cbranch_execz .LBB7_1195
	s_branch .LBB7_1196
.LBB7_1194:                             ;   in Loop: Header=BB7_1175 Depth=1
                                        ; implicit-def: $sgpr17
.LBB7_1195:                             ;   in Loop: Header=BB7_1175 Depth=1
	global_load_dwordx2 v[15:16], v6, s[4:5]
	s_add_i32 s17, s18, -8
	s_add_u32 s4, s4, 8
	s_addc_u32 s5, s5, 0
.LBB7_1196:                             ;   in Loop: Header=BB7_1175 Depth=1
	s_cmp_gt_u32 s17, 7
	s_cbranch_scc1 .LBB7_1201
; %bb.1197:                             ;   in Loop: Header=BB7_1175 Depth=1
	v_mov_b32_e32 v17, 0
	v_mov_b32_e32 v18, 0
	s_cmp_eq_u32 s17, 0
	s_cbranch_scc1 .LBB7_1200
; %bb.1198:                             ;   in Loop: Header=BB7_1175 Depth=1
	s_mov_b64 s[12:13], 0
	s_mov_b64 s[14:15], 0
.LBB7_1199:                             ;   Parent Loop BB7_1175 Depth=1
                                        ; =>  This Inner Loop Header: Depth=2
	s_add_u32 s18, s4, s14
	s_addc_u32 s19, s5, s15
	s_add_u32 s14, s14, 1
	global_load_ubyte v4, v6, s[18:19]
	s_addc_u32 s15, s15, 0
	s_waitcnt vmcnt(0)
	v_and_b32_e32 v5, 0xffff, v4
	v_lshlrev_b64 v[4:5], s12, v[5:6]
	s_add_u32 s12, s12, 8
	s_addc_u32 s13, s13, 0
	s_cmp_lg_u32 s17, s14
	v_or_b32_e32 v17, v4, v17
	v_or_b32_e32 v18, v5, v18
	s_cbranch_scc1 .LBB7_1199
.LBB7_1200:                             ;   in Loop: Header=BB7_1175 Depth=1
	s_mov_b32 s18, 0
	s_cbranch_execz .LBB7_1202
	s_branch .LBB7_1203
.LBB7_1201:                             ;   in Loop: Header=BB7_1175 Depth=1
                                        ; implicit-def: $vgpr17_vgpr18
                                        ; implicit-def: $sgpr18
.LBB7_1202:                             ;   in Loop: Header=BB7_1175 Depth=1
	global_load_dwordx2 v[17:18], v6, s[4:5]
	s_add_i32 s18, s17, -8
	s_add_u32 s4, s4, 8
	s_addc_u32 s5, s5, 0
.LBB7_1203:                             ;   in Loop: Header=BB7_1175 Depth=1
	s_cmp_gt_u32 s18, 7
	s_cbranch_scc1 .LBB7_1208
; %bb.1204:                             ;   in Loop: Header=BB7_1175 Depth=1
	v_mov_b32_e32 v19, 0
	v_mov_b32_e32 v20, 0
	s_cmp_eq_u32 s18, 0
	s_cbranch_scc1 .LBB7_1207
; %bb.1205:                             ;   in Loop: Header=BB7_1175 Depth=1
	s_mov_b64 s[12:13], 0
	s_mov_b64 s[14:15], 0
.LBB7_1206:                             ;   Parent Loop BB7_1175 Depth=1
                                        ; =>  This Inner Loop Header: Depth=2
	s_add_u32 s20, s4, s14
	s_addc_u32 s21, s5, s15
	s_add_u32 s14, s14, 1
	global_load_ubyte v4, v6, s[20:21]
	s_addc_u32 s15, s15, 0
	s_waitcnt vmcnt(0)
	v_and_b32_e32 v5, 0xffff, v4
	v_lshlrev_b64 v[4:5], s12, v[5:6]
	s_add_u32 s12, s12, 8
	s_addc_u32 s13, s13, 0
	s_cmp_lg_u32 s18, s14
	v_or_b32_e32 v19, v4, v19
	v_or_b32_e32 v20, v5, v20
	s_cbranch_scc1 .LBB7_1206
.LBB7_1207:                             ;   in Loop: Header=BB7_1175 Depth=1
	s_mov_b32 s17, 0
	s_cbranch_execz .LBB7_1209
	s_branch .LBB7_1210
.LBB7_1208:                             ;   in Loop: Header=BB7_1175 Depth=1
                                        ; implicit-def: $sgpr17
.LBB7_1209:                             ;   in Loop: Header=BB7_1175 Depth=1
	global_load_dwordx2 v[19:20], v6, s[4:5]
	s_add_i32 s17, s18, -8
	s_add_u32 s4, s4, 8
	s_addc_u32 s5, s5, 0
.LBB7_1210:                             ;   in Loop: Header=BB7_1175 Depth=1
	s_cmp_gt_u32 s17, 7
	s_cbranch_scc1 .LBB7_1215
; %bb.1211:                             ;   in Loop: Header=BB7_1175 Depth=1
	v_mov_b32_e32 v21, 0
	v_mov_b32_e32 v22, 0
	s_cmp_eq_u32 s17, 0
	s_cbranch_scc1 .LBB7_1214
; %bb.1212:                             ;   in Loop: Header=BB7_1175 Depth=1
	s_mov_b64 s[12:13], 0
	s_mov_b64 s[14:15], 0
.LBB7_1213:                             ;   Parent Loop BB7_1175 Depth=1
                                        ; =>  This Inner Loop Header: Depth=2
	s_add_u32 s18, s4, s14
	s_addc_u32 s19, s5, s15
	s_add_u32 s14, s14, 1
	global_load_ubyte v4, v6, s[18:19]
	s_addc_u32 s15, s15, 0
	s_waitcnt vmcnt(0)
	v_and_b32_e32 v5, 0xffff, v4
	v_lshlrev_b64 v[4:5], s12, v[5:6]
	s_add_u32 s12, s12, 8
	s_addc_u32 s13, s13, 0
	s_cmp_lg_u32 s17, s14
	v_or_b32_e32 v21, v4, v21
	v_or_b32_e32 v22, v5, v22
	s_cbranch_scc1 .LBB7_1213
.LBB7_1214:                             ;   in Loop: Header=BB7_1175 Depth=1
	s_mov_b32 s18, 0
	s_cbranch_execz .LBB7_1216
	s_branch .LBB7_1217
.LBB7_1215:                             ;   in Loop: Header=BB7_1175 Depth=1
                                        ; implicit-def: $vgpr21_vgpr22
                                        ; implicit-def: $sgpr18
.LBB7_1216:                             ;   in Loop: Header=BB7_1175 Depth=1
	global_load_dwordx2 v[21:22], v6, s[4:5]
	s_add_i32 s18, s17, -8
	s_add_u32 s4, s4, 8
	s_addc_u32 s5, s5, 0
.LBB7_1217:                             ;   in Loop: Header=BB7_1175 Depth=1
	s_cmp_gt_u32 s18, 7
	s_cbranch_scc1 .LBB7_1222
; %bb.1218:                             ;   in Loop: Header=BB7_1175 Depth=1
	v_mov_b32_e32 v23, 0
	v_mov_b32_e32 v24, 0
	s_cmp_eq_u32 s18, 0
	s_cbranch_scc1 .LBB7_1221
; %bb.1219:                             ;   in Loop: Header=BB7_1175 Depth=1
	s_mov_b64 s[12:13], 0
	s_mov_b64 s[14:15], s[4:5]
.LBB7_1220:                             ;   Parent Loop BB7_1175 Depth=1
                                        ; =>  This Inner Loop Header: Depth=2
	global_load_ubyte v4, v6, s[14:15]
	s_add_i32 s18, s18, -1
	s_waitcnt vmcnt(0)
	v_and_b32_e32 v5, 0xffff, v4
	v_lshlrev_b64 v[4:5], s12, v[5:6]
	s_add_u32 s12, s12, 8
	s_addc_u32 s13, s13, 0
	s_add_u32 s14, s14, 1
	s_addc_u32 s15, s15, 0
	s_cmp_lg_u32 s18, 0
	v_or_b32_e32 v23, v4, v23
	v_or_b32_e32 v24, v5, v24
	s_cbranch_scc1 .LBB7_1220
.LBB7_1221:                             ;   in Loop: Header=BB7_1175 Depth=1
	s_cbranch_execz .LBB7_1223
	s_branch .LBB7_1224
.LBB7_1222:                             ;   in Loop: Header=BB7_1175 Depth=1
.LBB7_1223:                             ;   in Loop: Header=BB7_1175 Depth=1
	global_load_dwordx2 v[23:24], v6, s[4:5]
.LBB7_1224:                             ;   in Loop: Header=BB7_1175 Depth=1
	v_readfirstlane_b32 s4, v38
	s_waitcnt vmcnt(0)
	v_mov_b32_e32 v4, 0
	v_mov_b32_e32 v5, 0
	v_cmp_eq_u32_e64 s4, s4, v38
	s_and_saveexec_b32 s5, s4
	s_cbranch_execz .LBB7_1230
; %bb.1225:                             ;   in Loop: Header=BB7_1175 Depth=1
	global_load_dwordx2 v[27:28], v6, s[26:27] offset:24 glc dlc
	s_waitcnt vmcnt(0)
	buffer_gl1_inv
	buffer_gl0_inv
	s_clause 0x1
	global_load_dwordx2 v[4:5], v6, s[26:27] offset:40
	global_load_dwordx2 v[9:10], v6, s[26:27]
	s_mov_b32 s12, exec_lo
	s_waitcnt vmcnt(1)
	v_and_b32_e32 v5, v5, v28
	v_and_b32_e32 v4, v4, v27
	v_mul_lo_u32 v5, v5, 24
	v_mul_hi_u32 v25, v4, 24
	v_mul_lo_u32 v4, v4, 24
	v_add_nc_u32_e32 v5, v25, v5
	s_waitcnt vmcnt(0)
	v_add_co_u32 v4, vcc_lo, v9, v4
	v_add_co_ci_u32_e32 v5, vcc_lo, v10, v5, vcc_lo
	global_load_dwordx2 v[25:26], v[4:5], off glc dlc
	s_waitcnt vmcnt(0)
	global_atomic_cmpswap_x2 v[4:5], v6, v[25:28], s[26:27] offset:24 glc
	s_waitcnt vmcnt(0)
	buffer_gl1_inv
	buffer_gl0_inv
	v_cmpx_ne_u64_e64 v[4:5], v[27:28]
	s_cbranch_execz .LBB7_1229
; %bb.1226:                             ;   in Loop: Header=BB7_1175 Depth=1
	s_mov_b32 s13, 0
	.p2align	6
.LBB7_1227:                             ;   Parent Loop BB7_1175 Depth=1
                                        ; =>  This Inner Loop Header: Depth=2
	s_sleep 1
	s_clause 0x1
	global_load_dwordx2 v[9:10], v6, s[26:27] offset:40
	global_load_dwordx2 v[25:26], v6, s[26:27]
	v_mov_b32_e32 v28, v5
	v_mov_b32_e32 v27, v4
	s_waitcnt vmcnt(1)
	v_and_b32_e32 v4, v9, v27
	v_and_b32_e32 v9, v10, v28
	s_waitcnt vmcnt(0)
	v_mad_u64_u32 v[4:5], null, v4, 24, v[25:26]
	v_mad_u64_u32 v[9:10], null, v9, 24, v[5:6]
	v_mov_b32_e32 v5, v9
	global_load_dwordx2 v[25:26], v[4:5], off glc dlc
	s_waitcnt vmcnt(0)
	global_atomic_cmpswap_x2 v[4:5], v6, v[25:28], s[26:27] offset:24 glc
	s_waitcnt vmcnt(0)
	buffer_gl1_inv
	buffer_gl0_inv
	v_cmp_eq_u64_e32 vcc_lo, v[4:5], v[27:28]
	s_or_b32 s13, vcc_lo, s13
	s_andn2_b32 exec_lo, exec_lo, s13
	s_cbranch_execnz .LBB7_1227
; %bb.1228:                             ;   in Loop: Header=BB7_1175 Depth=1
	s_or_b32 exec_lo, exec_lo, s13
.LBB7_1229:                             ;   in Loop: Header=BB7_1175 Depth=1
	s_or_b32 exec_lo, exec_lo, s12
.LBB7_1230:                             ;   in Loop: Header=BB7_1175 Depth=1
	s_or_b32 exec_lo, exec_lo, s5
	s_clause 0x1
	global_load_dwordx2 v[9:10], v6, s[26:27] offset:40
	global_load_dwordx4 v[25:28], v6, s[26:27]
	v_readfirstlane_b32 s12, v4
	v_readfirstlane_b32 s13, v5
	s_mov_b32 s5, exec_lo
	s_waitcnt vmcnt(1)
	v_readfirstlane_b32 s14, v9
	v_readfirstlane_b32 s15, v10
	s_and_b64 s[14:15], s[12:13], s[14:15]
	s_mul_i32 s17, s15, 24
	s_mul_hi_u32 s18, s14, 24
	s_mul_i32 s19, s14, 24
	s_add_i32 s18, s18, s17
	s_waitcnt vmcnt(0)
	v_add_co_u32 v29, vcc_lo, v25, s19
	v_add_co_ci_u32_e32 v30, vcc_lo, s18, v26, vcc_lo
	s_and_saveexec_b32 s17, s4
	s_cbranch_execz .LBB7_1232
; %bb.1231:                             ;   in Loop: Header=BB7_1175 Depth=1
	v_mov_b32_e32 v5, s5
	global_store_dwordx4 v[29:30], v[5:8], off offset:8
.LBB7_1232:                             ;   in Loop: Header=BB7_1175 Depth=1
	s_or_b32 exec_lo, exec_lo, s17
	s_lshl_b64 s[14:15], s[14:15], 12
	v_cmp_gt_u64_e64 vcc_lo, s[8:9], 56
	v_or_b32_e32 v5, v2, v31
	v_add_co_u32 v27, s5, v27, s14
	v_add_co_ci_u32_e64 v28, s5, s15, v28, s5
	s_lshl_b32 s5, s10, 2
	v_or_b32_e32 v4, 0, v3
	v_cndmask_b32_e32 v2, v5, v2, vcc_lo
	s_add_i32 s5, s5, 28
	v_readfirstlane_b32 s14, v27
	s_and_b32 s5, s5, 0x1e0
	v_cndmask_b32_e32 v10, v4, v3, vcc_lo
	v_readfirstlane_b32 s15, v28
	v_and_or_b32 v9, 0xffffff1f, v2, s5
	global_store_dwordx4 v37, v[9:12], s[14:15]
	global_store_dwordx4 v37, v[13:16], s[14:15] offset:16
	global_store_dwordx4 v37, v[17:20], s[14:15] offset:32
	;; [unrolled: 1-line block ×3, first 2 shown]
	s_and_saveexec_b32 s5, s4
	s_cbranch_execz .LBB7_1240
; %bb.1233:                             ;   in Loop: Header=BB7_1175 Depth=1
	s_clause 0x1
	global_load_dwordx2 v[13:14], v6, s[26:27] offset:32 glc dlc
	global_load_dwordx2 v[2:3], v6, s[26:27] offset:40
	v_mov_b32_e32 v11, s12
	v_mov_b32_e32 v12, s13
	s_waitcnt vmcnt(0)
	v_readfirstlane_b32 s14, v2
	v_readfirstlane_b32 s15, v3
	s_and_b64 s[14:15], s[14:15], s[12:13]
	s_mul_i32 s15, s15, 24
	s_mul_hi_u32 s17, s14, 24
	s_mul_i32 s14, s14, 24
	s_add_i32 s17, s17, s15
	v_add_co_u32 v9, vcc_lo, v25, s14
	v_add_co_ci_u32_e32 v10, vcc_lo, s17, v26, vcc_lo
	s_mov_b32 s14, exec_lo
	global_store_dwordx2 v[9:10], v[13:14], off
	s_waitcnt_vscnt null, 0x0
	global_atomic_cmpswap_x2 v[4:5], v6, v[11:14], s[26:27] offset:32 glc
	s_waitcnt vmcnt(0)
	v_cmpx_ne_u64_e64 v[4:5], v[13:14]
	s_cbranch_execz .LBB7_1236
; %bb.1234:                             ;   in Loop: Header=BB7_1175 Depth=1
	s_mov_b32 s15, 0
.LBB7_1235:                             ;   Parent Loop BB7_1175 Depth=1
                                        ; =>  This Inner Loop Header: Depth=2
	v_mov_b32_e32 v2, s12
	v_mov_b32_e32 v3, s13
	s_sleep 1
	global_store_dwordx2 v[9:10], v[4:5], off
	s_waitcnt_vscnt null, 0x0
	global_atomic_cmpswap_x2 v[2:3], v6, v[2:5], s[26:27] offset:32 glc
	s_waitcnt vmcnt(0)
	v_cmp_eq_u64_e32 vcc_lo, v[2:3], v[4:5]
	v_mov_b32_e32 v5, v3
	v_mov_b32_e32 v4, v2
	s_or_b32 s15, vcc_lo, s15
	s_andn2_b32 exec_lo, exec_lo, s15
	s_cbranch_execnz .LBB7_1235
.LBB7_1236:                             ;   in Loop: Header=BB7_1175 Depth=1
	s_or_b32 exec_lo, exec_lo, s14
	global_load_dwordx2 v[2:3], v6, s[26:27] offset:16
	s_mov_b32 s15, exec_lo
	s_mov_b32 s14, exec_lo
	v_mbcnt_lo_u32_b32 v4, s15, 0
	v_cmpx_eq_u32_e32 0, v4
	s_cbranch_execz .LBB7_1238
; %bb.1237:                             ;   in Loop: Header=BB7_1175 Depth=1
	s_bcnt1_i32_b32 s15, s15
	v_mov_b32_e32 v5, s15
	s_waitcnt vmcnt(0)
	global_atomic_add_x2 v[2:3], v[5:6], off offset:8
.LBB7_1238:                             ;   in Loop: Header=BB7_1175 Depth=1
	s_or_b32 exec_lo, exec_lo, s14
	s_waitcnt vmcnt(0)
	global_load_dwordx2 v[9:10], v[2:3], off offset:16
	s_waitcnt vmcnt(0)
	v_cmp_eq_u64_e32 vcc_lo, 0, v[9:10]
	s_cbranch_vccnz .LBB7_1240
; %bb.1239:                             ;   in Loop: Header=BB7_1175 Depth=1
	global_load_dword v5, v[2:3], off offset:24
	s_waitcnt vmcnt(0)
	v_and_b32_e32 v2, 0x7fffff, v5
	s_waitcnt_vscnt null, 0x0
	global_store_dwordx2 v[9:10], v[5:6], off
	v_readfirstlane_b32 m0, v2
	s_sendmsg sendmsg(MSG_INTERRUPT)
.LBB7_1240:                             ;   in Loop: Header=BB7_1175 Depth=1
	s_or_b32 exec_lo, exec_lo, s5
	v_add_co_u32 v2, vcc_lo, v27, v37
	v_add_co_ci_u32_e32 v3, vcc_lo, 0, v28, vcc_lo
	s_branch .LBB7_1244
	.p2align	6
.LBB7_1241:                             ;   in Loop: Header=BB7_1244 Depth=2
	s_or_b32 exec_lo, exec_lo, s5
	v_readfirstlane_b32 s5, v4
	s_cmp_eq_u32 s5, 0
	s_cbranch_scc1 .LBB7_1243
; %bb.1242:                             ;   in Loop: Header=BB7_1244 Depth=2
	s_sleep 1
	s_cbranch_execnz .LBB7_1244
	s_branch .LBB7_1246
	.p2align	6
.LBB7_1243:                             ;   in Loop: Header=BB7_1175 Depth=1
	s_branch .LBB7_1246
.LBB7_1244:                             ;   Parent Loop BB7_1175 Depth=1
                                        ; =>  This Inner Loop Header: Depth=2
	v_mov_b32_e32 v4, 1
	s_and_saveexec_b32 s5, s4
	s_cbranch_execz .LBB7_1241
; %bb.1245:                             ;   in Loop: Header=BB7_1244 Depth=2
	global_load_dword v4, v[29:30], off offset:20 glc dlc
	s_waitcnt vmcnt(0)
	buffer_gl1_inv
	buffer_gl0_inv
	v_and_b32_e32 v4, 1, v4
	s_branch .LBB7_1241
.LBB7_1246:                             ;   in Loop: Header=BB7_1175 Depth=1
	global_load_dwordx4 v[2:5], v[2:3], off
	s_and_saveexec_b32 s5, s4
	s_cbranch_execz .LBB7_1174
; %bb.1247:                             ;   in Loop: Header=BB7_1175 Depth=1
	s_clause 0x2
	global_load_dwordx2 v[4:5], v6, s[26:27] offset:40
	global_load_dwordx2 v[13:14], v6, s[26:27] offset:24 glc dlc
	global_load_dwordx2 v[11:12], v6, s[26:27]
	s_waitcnt vmcnt(2)
	v_add_co_u32 v15, vcc_lo, v4, 1
	v_add_co_ci_u32_e32 v16, vcc_lo, 0, v5, vcc_lo
	v_add_co_u32 v9, vcc_lo, v15, s12
	v_add_co_ci_u32_e32 v10, vcc_lo, s13, v16, vcc_lo
	v_cmp_eq_u64_e32 vcc_lo, 0, v[9:10]
	v_cndmask_b32_e32 v10, v10, v16, vcc_lo
	v_cndmask_b32_e32 v9, v9, v15, vcc_lo
	v_and_b32_e32 v5, v10, v5
	v_and_b32_e32 v4, v9, v4
	v_mul_lo_u32 v5, v5, 24
	v_mul_hi_u32 v15, v4, 24
	v_mul_lo_u32 v4, v4, 24
	v_add_nc_u32_e32 v5, v15, v5
	s_waitcnt vmcnt(0)
	v_add_co_u32 v4, vcc_lo, v11, v4
	v_mov_b32_e32 v11, v13
	v_add_co_ci_u32_e32 v5, vcc_lo, v12, v5, vcc_lo
	v_mov_b32_e32 v12, v14
	global_store_dwordx2 v[4:5], v[13:14], off
	s_waitcnt_vscnt null, 0x0
	global_atomic_cmpswap_x2 v[11:12], v6, v[9:12], s[26:27] offset:24 glc
	s_waitcnt vmcnt(0)
	v_cmp_ne_u64_e32 vcc_lo, v[11:12], v[13:14]
	s_and_b32 exec_lo, exec_lo, vcc_lo
	s_cbranch_execz .LBB7_1174
; %bb.1248:                             ;   in Loop: Header=BB7_1175 Depth=1
	s_mov_b32 s4, 0
.LBB7_1249:                             ;   Parent Loop BB7_1175 Depth=1
                                        ; =>  This Inner Loop Header: Depth=2
	s_sleep 1
	global_store_dwordx2 v[4:5], v[11:12], off
	s_waitcnt_vscnt null, 0x0
	global_atomic_cmpswap_x2 v[13:14], v6, v[9:12], s[26:27] offset:24 glc
	s_waitcnt vmcnt(0)
	v_cmp_eq_u64_e32 vcc_lo, v[13:14], v[11:12]
	v_mov_b32_e32 v11, v13
	v_mov_b32_e32 v12, v14
	s_or_b32 s4, vcc_lo, s4
	s_andn2_b32 exec_lo, exec_lo, s4
	s_cbranch_execnz .LBB7_1249
	s_branch .LBB7_1174
.LBB7_1250:
	s_mov_b32 s4, 0
	s_branch .LBB7_1252
.LBB7_1251:
	s_mov_b32 s4, -1
                                        ; implicit-def: $vgpr2_vgpr3
.LBB7_1252:
	s_and_b32 vcc_lo, exec_lo, s4
	s_cbranch_vccz .LBB7_1280
; %bb.1253:
	v_readfirstlane_b32 s4, v38
	v_mov_b32_e32 v8, 0
	v_mov_b32_e32 v9, 0
	v_cmp_eq_u32_e64 s4, s4, v38
	s_and_saveexec_b32 s5, s4
	s_cbranch_execz .LBB7_1259
; %bb.1254:
	s_waitcnt vmcnt(0)
	v_mov_b32_e32 v2, 0
	s_mov_b32 s6, exec_lo
	global_load_dwordx2 v[5:6], v2, s[26:27] offset:24 glc dlc
	s_waitcnt vmcnt(0)
	buffer_gl1_inv
	buffer_gl0_inv
	s_clause 0x1
	global_load_dwordx2 v[3:4], v2, s[26:27] offset:40
	global_load_dwordx2 v[7:8], v2, s[26:27]
	s_waitcnt vmcnt(1)
	v_and_b32_e32 v4, v4, v6
	v_and_b32_e32 v3, v3, v5
	v_mul_lo_u32 v4, v4, 24
	v_mul_hi_u32 v9, v3, 24
	v_mul_lo_u32 v3, v3, 24
	v_add_nc_u32_e32 v4, v9, v4
	s_waitcnt vmcnt(0)
	v_add_co_u32 v3, vcc_lo, v7, v3
	v_add_co_ci_u32_e32 v4, vcc_lo, v8, v4, vcc_lo
	global_load_dwordx2 v[3:4], v[3:4], off glc dlc
	s_waitcnt vmcnt(0)
	global_atomic_cmpswap_x2 v[8:9], v2, v[3:6], s[26:27] offset:24 glc
	s_waitcnt vmcnt(0)
	buffer_gl1_inv
	buffer_gl0_inv
	v_cmpx_ne_u64_e64 v[8:9], v[5:6]
	s_cbranch_execz .LBB7_1258
; %bb.1255:
	s_mov_b32 s7, 0
.LBB7_1256:                             ; =>This Inner Loop Header: Depth=1
	s_sleep 1
	s_clause 0x1
	global_load_dwordx2 v[3:4], v2, s[26:27] offset:40
	global_load_dwordx2 v[10:11], v2, s[26:27]
	v_mov_b32_e32 v5, v8
	v_mov_b32_e32 v6, v9
	s_waitcnt vmcnt(1)
	v_and_b32_e32 v3, v3, v5
	v_and_b32_e32 v4, v4, v6
	s_waitcnt vmcnt(0)
	v_mad_u64_u32 v[7:8], null, v3, 24, v[10:11]
	v_mov_b32_e32 v3, v8
	v_mad_u64_u32 v[3:4], null, v4, 24, v[3:4]
	v_mov_b32_e32 v8, v3
	global_load_dwordx2 v[3:4], v[7:8], off glc dlc
	s_waitcnt vmcnt(0)
	global_atomic_cmpswap_x2 v[8:9], v2, v[3:6], s[26:27] offset:24 glc
	s_waitcnt vmcnt(0)
	buffer_gl1_inv
	buffer_gl0_inv
	v_cmp_eq_u64_e32 vcc_lo, v[8:9], v[5:6]
	s_or_b32 s7, vcc_lo, s7
	s_andn2_b32 exec_lo, exec_lo, s7
	s_cbranch_execnz .LBB7_1256
; %bb.1257:
	s_or_b32 exec_lo, exec_lo, s7
.LBB7_1258:
	s_or_b32 exec_lo, exec_lo, s6
.LBB7_1259:
	s_or_b32 exec_lo, exec_lo, s5
	s_waitcnt vmcnt(0)
	v_mov_b32_e32 v2, 0
	v_readfirstlane_b32 s6, v8
	v_readfirstlane_b32 s7, v9
	s_mov_b32 s5, exec_lo
	s_clause 0x1
	global_load_dwordx2 v[10:11], v2, s[26:27] offset:40
	global_load_dwordx4 v[4:7], v2, s[26:27]
	s_waitcnt vmcnt(1)
	v_readfirstlane_b32 s8, v10
	v_readfirstlane_b32 s9, v11
	s_and_b64 s[8:9], s[6:7], s[8:9]
	s_mul_i32 s10, s9, 24
	s_mul_hi_u32 s11, s8, 24
	s_mul_i32 s12, s8, 24
	s_add_i32 s11, s11, s10
	s_waitcnt vmcnt(0)
	v_add_co_u32 v8, vcc_lo, v4, s12
	v_add_co_ci_u32_e32 v9, vcc_lo, s11, v5, vcc_lo
	s_and_saveexec_b32 s10, s4
	s_cbranch_execz .LBB7_1261
; %bb.1260:
	v_mov_b32_e32 v10, s5
	v_mov_b32_e32 v11, v2
	;; [unrolled: 1-line block ×4, first 2 shown]
	global_store_dwordx4 v[8:9], v[10:13], off offset:8
.LBB7_1261:
	s_or_b32 exec_lo, exec_lo, s10
	s_lshl_b64 s[8:9], s[8:9], 12
	v_and_or_b32 v0, 0xffffff1f, v0, 32
	v_add_co_u32 v6, vcc_lo, v6, s8
	v_add_co_ci_u32_e32 v7, vcc_lo, s9, v7, vcc_lo
	s_mov_b32 s8, 0
	v_readfirstlane_b32 s12, v6
	s_mov_b32 s11, s8
	v_add_co_u32 v6, vcc_lo, v6, v37
	s_mov_b32 s9, s8
	s_mov_b32 s10, s8
	v_mov_b32_e32 v3, v2
	v_readfirstlane_b32 s13, v7
	v_mov_b32_e32 v13, s11
	v_add_co_ci_u32_e32 v7, vcc_lo, 0, v7, vcc_lo
	v_mov_b32_e32 v12, s10
	v_mov_b32_e32 v11, s9
	;; [unrolled: 1-line block ×3, first 2 shown]
	global_store_dwordx4 v37, v[0:3], s[12:13]
	global_store_dwordx4 v37, v[10:13], s[12:13] offset:16
	global_store_dwordx4 v37, v[10:13], s[12:13] offset:32
	;; [unrolled: 1-line block ×3, first 2 shown]
	s_and_saveexec_b32 s5, s4
	s_cbranch_execz .LBB7_1269
; %bb.1262:
	v_mov_b32_e32 v10, 0
	v_mov_b32_e32 v11, s6
	v_mov_b32_e32 v12, s7
	s_clause 0x1
	global_load_dwordx2 v[13:14], v10, s[26:27] offset:32 glc dlc
	global_load_dwordx2 v[0:1], v10, s[26:27] offset:40
	s_waitcnt vmcnt(0)
	v_readfirstlane_b32 s8, v0
	v_readfirstlane_b32 s9, v1
	s_and_b64 s[8:9], s[8:9], s[6:7]
	s_mul_i32 s9, s9, 24
	s_mul_hi_u32 s10, s8, 24
	s_mul_i32 s8, s8, 24
	s_add_i32 s10, s10, s9
	v_add_co_u32 v4, vcc_lo, v4, s8
	v_add_co_ci_u32_e32 v5, vcc_lo, s10, v5, vcc_lo
	s_mov_b32 s8, exec_lo
	global_store_dwordx2 v[4:5], v[13:14], off
	s_waitcnt_vscnt null, 0x0
	global_atomic_cmpswap_x2 v[2:3], v10, v[11:14], s[26:27] offset:32 glc
	s_waitcnt vmcnt(0)
	v_cmpx_ne_u64_e64 v[2:3], v[13:14]
	s_cbranch_execz .LBB7_1265
; %bb.1263:
	s_mov_b32 s9, 0
.LBB7_1264:                             ; =>This Inner Loop Header: Depth=1
	v_mov_b32_e32 v0, s6
	v_mov_b32_e32 v1, s7
	s_sleep 1
	global_store_dwordx2 v[4:5], v[2:3], off
	s_waitcnt_vscnt null, 0x0
	global_atomic_cmpswap_x2 v[0:1], v10, v[0:3], s[26:27] offset:32 glc
	s_waitcnt vmcnt(0)
	v_cmp_eq_u64_e32 vcc_lo, v[0:1], v[2:3]
	v_mov_b32_e32 v3, v1
	v_mov_b32_e32 v2, v0
	s_or_b32 s9, vcc_lo, s9
	s_andn2_b32 exec_lo, exec_lo, s9
	s_cbranch_execnz .LBB7_1264
.LBB7_1265:
	s_or_b32 exec_lo, exec_lo, s8
	v_mov_b32_e32 v3, 0
	s_mov_b32 s9, exec_lo
	s_mov_b32 s8, exec_lo
	v_mbcnt_lo_u32_b32 v2, s9, 0
	global_load_dwordx2 v[0:1], v3, s[26:27] offset:16
	v_cmpx_eq_u32_e32 0, v2
	s_cbranch_execz .LBB7_1267
; %bb.1266:
	s_bcnt1_i32_b32 s9, s9
	v_mov_b32_e32 v2, s9
	s_waitcnt vmcnt(0)
	global_atomic_add_x2 v[0:1], v[2:3], off offset:8
.LBB7_1267:
	s_or_b32 exec_lo, exec_lo, s8
	s_waitcnt vmcnt(0)
	global_load_dwordx2 v[2:3], v[0:1], off offset:16
	s_waitcnt vmcnt(0)
	v_cmp_eq_u64_e32 vcc_lo, 0, v[2:3]
	s_cbranch_vccnz .LBB7_1269
; %bb.1268:
	global_load_dword v0, v[0:1], off offset:24
	v_mov_b32_e32 v1, 0
	s_waitcnt vmcnt(0)
	v_and_b32_e32 v4, 0x7fffff, v0
	s_waitcnt_vscnt null, 0x0
	global_store_dwordx2 v[2:3], v[0:1], off
	v_readfirstlane_b32 m0, v4
	s_sendmsg sendmsg(MSG_INTERRUPT)
.LBB7_1269:
	s_or_b32 exec_lo, exec_lo, s5
	s_branch .LBB7_1273
	.p2align	6
.LBB7_1270:                             ;   in Loop: Header=BB7_1273 Depth=1
	s_or_b32 exec_lo, exec_lo, s5
	v_readfirstlane_b32 s5, v0
	s_cmp_eq_u32 s5, 0
	s_cbranch_scc1 .LBB7_1272
; %bb.1271:                             ;   in Loop: Header=BB7_1273 Depth=1
	s_sleep 1
	s_cbranch_execnz .LBB7_1273
	s_branch .LBB7_1275
.LBB7_1272:
	s_branch .LBB7_1275
.LBB7_1273:                             ; =>This Inner Loop Header: Depth=1
	v_mov_b32_e32 v0, 1
	s_and_saveexec_b32 s5, s4
	s_cbranch_execz .LBB7_1270
; %bb.1274:                             ;   in Loop: Header=BB7_1273 Depth=1
	global_load_dword v0, v[8:9], off offset:20 glc dlc
	s_waitcnt vmcnt(0)
	buffer_gl1_inv
	buffer_gl0_inv
	v_and_b32_e32 v0, 1, v0
	s_branch .LBB7_1270
.LBB7_1275:
	global_load_dwordx2 v[2:3], v[6:7], off
	s_and_saveexec_b32 s5, s4
	s_cbranch_execz .LBB7_1279
; %bb.1276:
	v_mov_b32_e32 v8, 0
	s_clause 0x2
	global_load_dwordx2 v[0:1], v8, s[26:27] offset:40
	global_load_dwordx2 v[9:10], v8, s[26:27] offset:24 glc dlc
	global_load_dwordx2 v[6:7], v8, s[26:27]
	s_waitcnt vmcnt(2)
	v_add_co_u32 v11, vcc_lo, v0, 1
	v_add_co_ci_u32_e32 v12, vcc_lo, 0, v1, vcc_lo
	v_add_co_u32 v4, vcc_lo, v11, s6
	v_add_co_ci_u32_e32 v5, vcc_lo, s7, v12, vcc_lo
	v_cmp_eq_u64_e32 vcc_lo, 0, v[4:5]
	v_cndmask_b32_e32 v5, v5, v12, vcc_lo
	v_cndmask_b32_e32 v4, v4, v11, vcc_lo
	v_and_b32_e32 v1, v5, v1
	v_and_b32_e32 v0, v4, v0
	v_mul_lo_u32 v1, v1, 24
	v_mul_hi_u32 v11, v0, 24
	v_mul_lo_u32 v0, v0, 24
	v_add_nc_u32_e32 v1, v11, v1
	s_waitcnt vmcnt(0)
	v_add_co_u32 v0, vcc_lo, v6, v0
	v_mov_b32_e32 v6, v9
	v_add_co_ci_u32_e32 v1, vcc_lo, v7, v1, vcc_lo
	v_mov_b32_e32 v7, v10
	global_store_dwordx2 v[0:1], v[9:10], off
	s_waitcnt_vscnt null, 0x0
	global_atomic_cmpswap_x2 v[6:7], v8, v[4:7], s[26:27] offset:24 glc
	s_waitcnt vmcnt(0)
	v_cmp_ne_u64_e32 vcc_lo, v[6:7], v[9:10]
	s_and_b32 exec_lo, exec_lo, vcc_lo
	s_cbranch_execz .LBB7_1279
; %bb.1277:
	s_mov_b32 s4, 0
.LBB7_1278:                             ; =>This Inner Loop Header: Depth=1
	s_sleep 1
	global_store_dwordx2 v[0:1], v[6:7], off
	s_waitcnt_vscnt null, 0x0
	global_atomic_cmpswap_x2 v[9:10], v8, v[4:7], s[26:27] offset:24 glc
	s_waitcnt vmcnt(0)
	v_cmp_eq_u64_e32 vcc_lo, v[9:10], v[6:7]
	v_mov_b32_e32 v6, v9
	v_mov_b32_e32 v7, v10
	s_or_b32 s4, vcc_lo, s4
	s_andn2_b32 exec_lo, exec_lo, s4
	s_cbranch_execnz .LBB7_1278
.LBB7_1279:
	s_or_b32 exec_lo, exec_lo, s5
.LBB7_1280:
	v_readfirstlane_b32 s4, v38
	s_waitcnt vmcnt(0)
	v_mov_b32_e32 v0, 0
	v_mov_b32_e32 v1, 0
	v_cmp_eq_u32_e64 s4, s4, v38
	s_and_saveexec_b32 s5, s4
	s_cbranch_execz .LBB7_1286
; %bb.1281:
	v_mov_b32_e32 v4, 0
	s_mov_b32 s6, exec_lo
	global_load_dwordx2 v[7:8], v4, s[26:27] offset:24 glc dlc
	s_waitcnt vmcnt(0)
	buffer_gl1_inv
	buffer_gl0_inv
	s_clause 0x1
	global_load_dwordx2 v[0:1], v4, s[26:27] offset:40
	global_load_dwordx2 v[5:6], v4, s[26:27]
	s_waitcnt vmcnt(1)
	v_and_b32_e32 v1, v1, v8
	v_and_b32_e32 v0, v0, v7
	v_mul_lo_u32 v1, v1, 24
	v_mul_hi_u32 v9, v0, 24
	v_mul_lo_u32 v0, v0, 24
	v_add_nc_u32_e32 v1, v9, v1
	s_waitcnt vmcnt(0)
	v_add_co_u32 v0, vcc_lo, v5, v0
	v_add_co_ci_u32_e32 v1, vcc_lo, v6, v1, vcc_lo
	global_load_dwordx2 v[5:6], v[0:1], off glc dlc
	s_waitcnt vmcnt(0)
	global_atomic_cmpswap_x2 v[0:1], v4, v[5:8], s[26:27] offset:24 glc
	s_waitcnt vmcnt(0)
	buffer_gl1_inv
	buffer_gl0_inv
	v_cmpx_ne_u64_e64 v[0:1], v[7:8]
	s_cbranch_execz .LBB7_1285
; %bb.1282:
	s_mov_b32 s7, 0
.LBB7_1283:                             ; =>This Inner Loop Header: Depth=1
	s_sleep 1
	s_clause 0x1
	global_load_dwordx2 v[5:6], v4, s[26:27] offset:40
	global_load_dwordx2 v[9:10], v4, s[26:27]
	v_mov_b32_e32 v8, v1
	v_mov_b32_e32 v7, v0
	s_waitcnt vmcnt(1)
	v_and_b32_e32 v0, v5, v7
	v_and_b32_e32 v5, v6, v8
	s_waitcnt vmcnt(0)
	v_mad_u64_u32 v[0:1], null, v0, 24, v[9:10]
	v_mad_u64_u32 v[5:6], null, v5, 24, v[1:2]
	v_mov_b32_e32 v1, v5
	global_load_dwordx2 v[5:6], v[0:1], off glc dlc
	s_waitcnt vmcnt(0)
	global_atomic_cmpswap_x2 v[0:1], v4, v[5:8], s[26:27] offset:24 glc
	s_waitcnt vmcnt(0)
	buffer_gl1_inv
	buffer_gl0_inv
	v_cmp_eq_u64_e32 vcc_lo, v[0:1], v[7:8]
	s_or_b32 s7, vcc_lo, s7
	s_andn2_b32 exec_lo, exec_lo, s7
	s_cbranch_execnz .LBB7_1283
; %bb.1284:
	s_or_b32 exec_lo, exec_lo, s7
.LBB7_1285:
	s_or_b32 exec_lo, exec_lo, s6
.LBB7_1286:
	s_or_b32 exec_lo, exec_lo, s5
	v_mov_b32_e32 v5, 0
	v_readfirstlane_b32 s6, v0
	v_readfirstlane_b32 s7, v1
	s_mov_b32 s5, exec_lo
	s_clause 0x1
	global_load_dwordx2 v[10:11], v5, s[26:27] offset:40
	global_load_dwordx4 v[6:9], v5, s[26:27]
	s_waitcnt vmcnt(1)
	v_readfirstlane_b32 s8, v10
	v_readfirstlane_b32 s9, v11
	s_and_b64 s[8:9], s[6:7], s[8:9]
	s_mul_i32 s10, s9, 24
	s_mul_hi_u32 s11, s8, 24
	s_mul_i32 s12, s8, 24
	s_add_i32 s11, s11, s10
	s_waitcnt vmcnt(0)
	v_add_co_u32 v10, vcc_lo, v6, s12
	v_add_co_ci_u32_e32 v11, vcc_lo, s11, v7, vcc_lo
	s_and_saveexec_b32 s10, s4
	s_cbranch_execz .LBB7_1288
; %bb.1287:
	v_mov_b32_e32 v4, s5
	v_mov_b32_e32 v13, v5
	;; [unrolled: 1-line block ×5, first 2 shown]
	global_store_dwordx4 v[10:11], v[12:15], off offset:8
.LBB7_1288:
	s_or_b32 exec_lo, exec_lo, s10
	s_lshl_b64 s[8:9], s[8:9], 12
	v_and_or_b32 v2, 0xffffff1d, v2, 34
	v_add_co_u32 v0, vcc_lo, v8, s8
	v_add_co_ci_u32_e32 v1, vcc_lo, s9, v9, vcc_lo
	s_mov_b32 s8, 0
	v_mov_b32_e32 v4, 10
	s_mov_b32 s11, s8
	s_mov_b32 s9, s8
	;; [unrolled: 1-line block ×3, first 2 shown]
	v_readfirstlane_b32 s12, v0
	v_readfirstlane_b32 s13, v1
	v_mov_b32_e32 v15, s11
	v_mov_b32_e32 v14, s10
	;; [unrolled: 1-line block ×4, first 2 shown]
	global_store_dwordx4 v37, v[2:5], s[12:13]
	global_store_dwordx4 v37, v[12:15], s[12:13] offset:16
	global_store_dwordx4 v37, v[12:15], s[12:13] offset:32
	;; [unrolled: 1-line block ×3, first 2 shown]
	s_and_saveexec_b32 s5, s4
	s_cbranch_execz .LBB7_1296
; %bb.1289:
	v_mov_b32_e32 v8, 0
	v_mov_b32_e32 v12, s6
	;; [unrolled: 1-line block ×3, first 2 shown]
	s_clause 0x1
	global_load_dwordx2 v[14:15], v8, s[26:27] offset:32 glc dlc
	global_load_dwordx2 v[0:1], v8, s[26:27] offset:40
	s_waitcnt vmcnt(0)
	v_readfirstlane_b32 s8, v0
	v_readfirstlane_b32 s9, v1
	s_and_b64 s[8:9], s[8:9], s[6:7]
	s_mul_i32 s9, s9, 24
	s_mul_hi_u32 s10, s8, 24
	s_mul_i32 s8, s8, 24
	s_add_i32 s10, s10, s9
	v_add_co_u32 v4, vcc_lo, v6, s8
	v_add_co_ci_u32_e32 v5, vcc_lo, s10, v7, vcc_lo
	s_mov_b32 s8, exec_lo
	global_store_dwordx2 v[4:5], v[14:15], off
	s_waitcnt_vscnt null, 0x0
	global_atomic_cmpswap_x2 v[2:3], v8, v[12:15], s[26:27] offset:32 glc
	s_waitcnt vmcnt(0)
	v_cmpx_ne_u64_e64 v[2:3], v[14:15]
	s_cbranch_execz .LBB7_1292
; %bb.1290:
	s_mov_b32 s9, 0
.LBB7_1291:                             ; =>This Inner Loop Header: Depth=1
	v_mov_b32_e32 v0, s6
	v_mov_b32_e32 v1, s7
	s_sleep 1
	global_store_dwordx2 v[4:5], v[2:3], off
	s_waitcnt_vscnt null, 0x0
	global_atomic_cmpswap_x2 v[0:1], v8, v[0:3], s[26:27] offset:32 glc
	s_waitcnt vmcnt(0)
	v_cmp_eq_u64_e32 vcc_lo, v[0:1], v[2:3]
	v_mov_b32_e32 v3, v1
	v_mov_b32_e32 v2, v0
	s_or_b32 s9, vcc_lo, s9
	s_andn2_b32 exec_lo, exec_lo, s9
	s_cbranch_execnz .LBB7_1291
.LBB7_1292:
	s_or_b32 exec_lo, exec_lo, s8
	v_mov_b32_e32 v3, 0
	s_mov_b32 s9, exec_lo
	s_mov_b32 s8, exec_lo
	v_mbcnt_lo_u32_b32 v2, s9, 0
	global_load_dwordx2 v[0:1], v3, s[26:27] offset:16
	v_cmpx_eq_u32_e32 0, v2
	s_cbranch_execz .LBB7_1294
; %bb.1293:
	s_bcnt1_i32_b32 s9, s9
	v_mov_b32_e32 v2, s9
	s_waitcnt vmcnt(0)
	global_atomic_add_x2 v[0:1], v[2:3], off offset:8
.LBB7_1294:
	s_or_b32 exec_lo, exec_lo, s8
	s_waitcnt vmcnt(0)
	global_load_dwordx2 v[2:3], v[0:1], off offset:16
	s_waitcnt vmcnt(0)
	v_cmp_eq_u64_e32 vcc_lo, 0, v[2:3]
	s_cbranch_vccnz .LBB7_1296
; %bb.1295:
	global_load_dword v0, v[0:1], off offset:24
	v_mov_b32_e32 v1, 0
	s_waitcnt vmcnt(0)
	v_and_b32_e32 v4, 0x7fffff, v0
	s_waitcnt_vscnt null, 0x0
	global_store_dwordx2 v[2:3], v[0:1], off
	v_readfirstlane_b32 m0, v4
	s_sendmsg sendmsg(MSG_INTERRUPT)
.LBB7_1296:
	s_or_b32 exec_lo, exec_lo, s5
	s_branch .LBB7_1300
	.p2align	6
.LBB7_1297:                             ;   in Loop: Header=BB7_1300 Depth=1
	s_or_b32 exec_lo, exec_lo, s5
	v_readfirstlane_b32 s5, v0
	s_cmp_eq_u32 s5, 0
	s_cbranch_scc1 .LBB7_1299
; %bb.1298:                             ;   in Loop: Header=BB7_1300 Depth=1
	s_sleep 1
	s_cbranch_execnz .LBB7_1300
	s_branch .LBB7_1302
	.p2align	6
.LBB7_1299:
	s_branch .LBB7_1302
.LBB7_1300:                             ; =>This Inner Loop Header: Depth=1
	v_mov_b32_e32 v0, 1
	s_and_saveexec_b32 s5, s4
	s_cbranch_execz .LBB7_1297
; %bb.1301:                             ;   in Loop: Header=BB7_1300 Depth=1
	global_load_dword v0, v[10:11], off offset:20 glc dlc
	s_waitcnt vmcnt(0)
	buffer_gl1_inv
	buffer_gl0_inv
	v_and_b32_e32 v0, 1, v0
	s_branch .LBB7_1297
.LBB7_1302:
	s_and_saveexec_b32 s5, s4
	s_cbranch_execz .LBB7_1306
; %bb.1303:
	v_mov_b32_e32 v6, 0
	s_clause 0x2
	global_load_dwordx2 v[2:3], v6, s[26:27] offset:40
	global_load_dwordx2 v[7:8], v6, s[26:27] offset:24 glc dlc
	global_load_dwordx2 v[4:5], v6, s[26:27]
	s_waitcnt vmcnt(2)
	v_add_co_u32 v9, vcc_lo, v2, 1
	v_add_co_ci_u32_e32 v10, vcc_lo, 0, v3, vcc_lo
	v_add_co_u32 v0, vcc_lo, v9, s6
	v_add_co_ci_u32_e32 v1, vcc_lo, s7, v10, vcc_lo
	v_cmp_eq_u64_e32 vcc_lo, 0, v[0:1]
	v_cndmask_b32_e32 v1, v1, v10, vcc_lo
	v_cndmask_b32_e32 v0, v0, v9, vcc_lo
	v_and_b32_e32 v3, v1, v3
	v_and_b32_e32 v2, v0, v2
	v_mul_lo_u32 v3, v3, 24
	v_mul_hi_u32 v9, v2, 24
	v_mul_lo_u32 v2, v2, 24
	v_add_nc_u32_e32 v3, v9, v3
	s_waitcnt vmcnt(0)
	v_add_co_u32 v4, vcc_lo, v4, v2
	v_mov_b32_e32 v2, v7
	v_add_co_ci_u32_e32 v5, vcc_lo, v5, v3, vcc_lo
	v_mov_b32_e32 v3, v8
	global_store_dwordx2 v[4:5], v[7:8], off
	s_waitcnt_vscnt null, 0x0
	global_atomic_cmpswap_x2 v[2:3], v6, v[0:3], s[26:27] offset:24 glc
	s_waitcnt vmcnt(0)
	v_cmp_ne_u64_e32 vcc_lo, v[2:3], v[7:8]
	s_and_b32 exec_lo, exec_lo, vcc_lo
	s_cbranch_execz .LBB7_1306
; %bb.1304:
	s_mov_b32 s4, 0
.LBB7_1305:                             ; =>This Inner Loop Header: Depth=1
	s_sleep 1
	global_store_dwordx2 v[4:5], v[2:3], off
	s_waitcnt_vscnt null, 0x0
	global_atomic_cmpswap_x2 v[7:8], v6, v[0:3], s[26:27] offset:24 glc
	s_waitcnt vmcnt(0)
	v_cmp_eq_u64_e32 vcc_lo, v[7:8], v[2:3]
	v_mov_b32_e32 v2, v7
	v_mov_b32_e32 v3, v8
	s_or_b32 s4, vcc_lo, s4
	s_andn2_b32 exec_lo, exec_lo, s4
	s_cbranch_execnz .LBB7_1305
.LBB7_1306:
	s_or_b32 exec_lo, exec_lo, s5
	v_readfirstlane_b32 s4, v38
	v_mov_b32_e32 v6, 0
	v_mov_b32_e32 v7, 0
	v_cmp_eq_u32_e64 s4, s4, v38
	s_and_saveexec_b32 s5, s4
	s_cbranch_execz .LBB7_1312
; %bb.1307:
	v_mov_b32_e32 v0, 0
	s_mov_b32 s6, exec_lo
	global_load_dwordx2 v[3:4], v0, s[26:27] offset:24 glc dlc
	s_waitcnt vmcnt(0)
	buffer_gl1_inv
	buffer_gl0_inv
	s_clause 0x1
	global_load_dwordx2 v[1:2], v0, s[26:27] offset:40
	global_load_dwordx2 v[5:6], v0, s[26:27]
	s_waitcnt vmcnt(1)
	v_and_b32_e32 v2, v2, v4
	v_and_b32_e32 v1, v1, v3
	v_mul_lo_u32 v2, v2, 24
	v_mul_hi_u32 v7, v1, 24
	v_mul_lo_u32 v1, v1, 24
	v_add_nc_u32_e32 v2, v7, v2
	s_waitcnt vmcnt(0)
	v_add_co_u32 v1, vcc_lo, v5, v1
	v_add_co_ci_u32_e32 v2, vcc_lo, v6, v2, vcc_lo
	global_load_dwordx2 v[1:2], v[1:2], off glc dlc
	s_waitcnt vmcnt(0)
	global_atomic_cmpswap_x2 v[6:7], v0, v[1:4], s[26:27] offset:24 glc
	s_waitcnt vmcnt(0)
	buffer_gl1_inv
	buffer_gl0_inv
	v_cmpx_ne_u64_e64 v[6:7], v[3:4]
	s_cbranch_execz .LBB7_1311
; %bb.1308:
	s_mov_b32 s7, 0
.LBB7_1309:                             ; =>This Inner Loop Header: Depth=1
	s_sleep 1
	s_clause 0x1
	global_load_dwordx2 v[1:2], v0, s[26:27] offset:40
	global_load_dwordx2 v[8:9], v0, s[26:27]
	v_mov_b32_e32 v3, v6
	v_mov_b32_e32 v4, v7
	s_waitcnt vmcnt(1)
	v_and_b32_e32 v1, v1, v3
	v_and_b32_e32 v2, v2, v4
	s_waitcnt vmcnt(0)
	v_mad_u64_u32 v[5:6], null, v1, 24, v[8:9]
	v_mov_b32_e32 v1, v6
	v_mad_u64_u32 v[1:2], null, v2, 24, v[1:2]
	v_mov_b32_e32 v6, v1
	global_load_dwordx2 v[1:2], v[5:6], off glc dlc
	s_waitcnt vmcnt(0)
	global_atomic_cmpswap_x2 v[6:7], v0, v[1:4], s[26:27] offset:24 glc
	s_waitcnt vmcnt(0)
	buffer_gl1_inv
	buffer_gl0_inv
	v_cmp_eq_u64_e32 vcc_lo, v[6:7], v[3:4]
	s_or_b32 s7, vcc_lo, s7
	s_andn2_b32 exec_lo, exec_lo, s7
	s_cbranch_execnz .LBB7_1309
; %bb.1310:
	s_or_b32 exec_lo, exec_lo, s7
.LBB7_1311:
	s_or_b32 exec_lo, exec_lo, s6
.LBB7_1312:
	s_or_b32 exec_lo, exec_lo, s5
	v_mov_b32_e32 v5, 0
	v_readfirstlane_b32 s6, v6
	v_readfirstlane_b32 s7, v7
	s_mov_b32 s5, exec_lo
	s_clause 0x1
	global_load_dwordx2 v[8:9], v5, s[26:27] offset:40
	global_load_dwordx4 v[0:3], v5, s[26:27]
	s_waitcnt vmcnt(1)
	v_readfirstlane_b32 s8, v8
	v_readfirstlane_b32 s9, v9
	s_and_b64 s[8:9], s[6:7], s[8:9]
	s_mul_i32 s10, s9, 24
	s_mul_hi_u32 s11, s8, 24
	s_mul_i32 s12, s8, 24
	s_add_i32 s11, s11, s10
	s_waitcnt vmcnt(0)
	v_add_co_u32 v8, vcc_lo, v0, s12
	v_add_co_ci_u32_e32 v9, vcc_lo, s11, v1, vcc_lo
	s_and_saveexec_b32 s10, s4
	s_cbranch_execz .LBB7_1314
; %bb.1313:
	v_mov_b32_e32 v4, s5
	v_mov_b32_e32 v6, 2
	v_mov_b32_e32 v7, 1
	global_store_dwordx4 v[8:9], v[4:7], off offset:8
.LBB7_1314:
	s_or_b32 exec_lo, exec_lo, s10
	s_lshl_b64 s[8:9], s[8:9], 12
	v_mov_b32_e32 v4, 33
	v_add_co_u32 v2, vcc_lo, v2, s8
	v_add_co_ci_u32_e32 v3, vcc_lo, s9, v3, vcc_lo
	s_mov_b32 s8, 0
	v_add_co_u32 v10, vcc_lo, v2, v37
	s_mov_b32 s11, s8
	s_mov_b32 s9, s8
	;; [unrolled: 1-line block ×3, first 2 shown]
	v_mov_b32_e32 v6, v5
	v_mov_b32_e32 v7, v5
	v_readfirstlane_b32 s12, v2
	v_readfirstlane_b32 s13, v3
	v_mov_b32_e32 v15, s11
	v_add_co_ci_u32_e32 v11, vcc_lo, 0, v3, vcc_lo
	v_mov_b32_e32 v14, s10
	v_mov_b32_e32 v13, s9
	;; [unrolled: 1-line block ×3, first 2 shown]
	global_store_dwordx4 v37, v[4:7], s[12:13]
	global_store_dwordx4 v37, v[12:15], s[12:13] offset:16
	global_store_dwordx4 v37, v[12:15], s[12:13] offset:32
	;; [unrolled: 1-line block ×3, first 2 shown]
	s_and_saveexec_b32 s5, s4
	s_cbranch_execz .LBB7_1322
; %bb.1315:
	v_mov_b32_e32 v6, 0
	v_mov_b32_e32 v12, s6
	v_mov_b32_e32 v13, s7
	s_clause 0x1
	global_load_dwordx2 v[14:15], v6, s[26:27] offset:32 glc dlc
	global_load_dwordx2 v[2:3], v6, s[26:27] offset:40
	s_waitcnt vmcnt(0)
	v_readfirstlane_b32 s8, v2
	v_readfirstlane_b32 s9, v3
	s_and_b64 s[8:9], s[8:9], s[6:7]
	s_mul_i32 s9, s9, 24
	s_mul_hi_u32 s10, s8, 24
	s_mul_i32 s8, s8, 24
	s_add_i32 s10, s10, s9
	v_add_co_u32 v4, vcc_lo, v0, s8
	v_add_co_ci_u32_e32 v5, vcc_lo, s10, v1, vcc_lo
	s_mov_b32 s8, exec_lo
	global_store_dwordx2 v[4:5], v[14:15], off
	s_waitcnt_vscnt null, 0x0
	global_atomic_cmpswap_x2 v[2:3], v6, v[12:15], s[26:27] offset:32 glc
	s_waitcnt vmcnt(0)
	v_cmpx_ne_u64_e64 v[2:3], v[14:15]
	s_cbranch_execz .LBB7_1318
; %bb.1316:
	s_mov_b32 s9, 0
.LBB7_1317:                             ; =>This Inner Loop Header: Depth=1
	v_mov_b32_e32 v0, s6
	v_mov_b32_e32 v1, s7
	s_sleep 1
	global_store_dwordx2 v[4:5], v[2:3], off
	s_waitcnt_vscnt null, 0x0
	global_atomic_cmpswap_x2 v[0:1], v6, v[0:3], s[26:27] offset:32 glc
	s_waitcnt vmcnt(0)
	v_cmp_eq_u64_e32 vcc_lo, v[0:1], v[2:3]
	v_mov_b32_e32 v3, v1
	v_mov_b32_e32 v2, v0
	s_or_b32 s9, vcc_lo, s9
	s_andn2_b32 exec_lo, exec_lo, s9
	s_cbranch_execnz .LBB7_1317
.LBB7_1318:
	s_or_b32 exec_lo, exec_lo, s8
	v_mov_b32_e32 v3, 0
	s_mov_b32 s9, exec_lo
	s_mov_b32 s8, exec_lo
	v_mbcnt_lo_u32_b32 v2, s9, 0
	global_load_dwordx2 v[0:1], v3, s[26:27] offset:16
	v_cmpx_eq_u32_e32 0, v2
	s_cbranch_execz .LBB7_1320
; %bb.1319:
	s_bcnt1_i32_b32 s9, s9
	v_mov_b32_e32 v2, s9
	s_waitcnt vmcnt(0)
	global_atomic_add_x2 v[0:1], v[2:3], off offset:8
.LBB7_1320:
	s_or_b32 exec_lo, exec_lo, s8
	s_waitcnt vmcnt(0)
	global_load_dwordx2 v[2:3], v[0:1], off offset:16
	s_waitcnt vmcnt(0)
	v_cmp_eq_u64_e32 vcc_lo, 0, v[2:3]
	s_cbranch_vccnz .LBB7_1322
; %bb.1321:
	global_load_dword v0, v[0:1], off offset:24
	v_mov_b32_e32 v1, 0
	s_waitcnt vmcnt(0)
	v_and_b32_e32 v4, 0x7fffff, v0
	s_waitcnt_vscnt null, 0x0
	global_store_dwordx2 v[2:3], v[0:1], off
	v_readfirstlane_b32 m0, v4
	s_sendmsg sendmsg(MSG_INTERRUPT)
.LBB7_1322:
	s_or_b32 exec_lo, exec_lo, s5
	s_branch .LBB7_1326
	.p2align	6
.LBB7_1323:                             ;   in Loop: Header=BB7_1326 Depth=1
	s_or_b32 exec_lo, exec_lo, s5
	v_readfirstlane_b32 s5, v0
	s_cmp_eq_u32 s5, 0
	s_cbranch_scc1 .LBB7_1325
; %bb.1324:                             ;   in Loop: Header=BB7_1326 Depth=1
	s_sleep 1
	s_cbranch_execnz .LBB7_1326
	s_branch .LBB7_1328
	.p2align	6
.LBB7_1325:
	s_branch .LBB7_1328
.LBB7_1326:                             ; =>This Inner Loop Header: Depth=1
	v_mov_b32_e32 v0, 1
	s_and_saveexec_b32 s5, s4
	s_cbranch_execz .LBB7_1323
; %bb.1327:                             ;   in Loop: Header=BB7_1326 Depth=1
	global_load_dword v0, v[8:9], off offset:20 glc dlc
	s_waitcnt vmcnt(0)
	buffer_gl1_inv
	buffer_gl0_inv
	v_and_b32_e32 v0, 1, v0
	s_branch .LBB7_1323
.LBB7_1328:
	global_load_dwordx2 v[4:5], v[10:11], off
	s_and_saveexec_b32 s5, s4
	s_cbranch_execz .LBB7_1332
; %bb.1329:
	v_mov_b32_e32 v8, 0
	s_clause 0x2
	global_load_dwordx2 v[2:3], v8, s[26:27] offset:40
	global_load_dwordx2 v[9:10], v8, s[26:27] offset:24 glc dlc
	global_load_dwordx2 v[6:7], v8, s[26:27]
	s_waitcnt vmcnt(2)
	v_add_co_u32 v11, vcc_lo, v2, 1
	v_add_co_ci_u32_e32 v12, vcc_lo, 0, v3, vcc_lo
	v_add_co_u32 v0, vcc_lo, v11, s6
	v_add_co_ci_u32_e32 v1, vcc_lo, s7, v12, vcc_lo
	v_cmp_eq_u64_e32 vcc_lo, 0, v[0:1]
	v_cndmask_b32_e32 v1, v1, v12, vcc_lo
	v_cndmask_b32_e32 v0, v0, v11, vcc_lo
	v_and_b32_e32 v3, v1, v3
	v_and_b32_e32 v2, v0, v2
	v_mul_lo_u32 v3, v3, 24
	v_mul_hi_u32 v11, v2, 24
	v_mul_lo_u32 v2, v2, 24
	v_add_nc_u32_e32 v3, v11, v3
	s_waitcnt vmcnt(0)
	v_add_co_u32 v6, vcc_lo, v6, v2
	v_mov_b32_e32 v2, v9
	v_add_co_ci_u32_e32 v7, vcc_lo, v7, v3, vcc_lo
	v_mov_b32_e32 v3, v10
	global_store_dwordx2 v[6:7], v[9:10], off
	s_waitcnt_vscnt null, 0x0
	global_atomic_cmpswap_x2 v[2:3], v8, v[0:3], s[26:27] offset:24 glc
	s_waitcnt vmcnt(0)
	v_cmp_ne_u64_e32 vcc_lo, v[2:3], v[9:10]
	s_and_b32 exec_lo, exec_lo, vcc_lo
	s_cbranch_execz .LBB7_1332
; %bb.1330:
	s_mov_b32 s4, 0
.LBB7_1331:                             ; =>This Inner Loop Header: Depth=1
	s_sleep 1
	global_store_dwordx2 v[6:7], v[2:3], off
	s_waitcnt_vscnt null, 0x0
	global_atomic_cmpswap_x2 v[9:10], v8, v[0:3], s[26:27] offset:24 glc
	s_waitcnt vmcnt(0)
	v_cmp_eq_u64_e32 vcc_lo, v[9:10], v[2:3]
	v_mov_b32_e32 v2, v9
	v_mov_b32_e32 v3, v10
	s_or_b32 s4, vcc_lo, s4
	s_andn2_b32 exec_lo, exec_lo, s4
	s_cbranch_execnz .LBB7_1331
.LBB7_1332:
	s_or_b32 exec_lo, exec_lo, s5
	s_and_b32 vcc_lo, exec_lo, s16
	s_cbranch_vccz .LBB7_1411
; %bb.1333:
	s_waitcnt vmcnt(0)
	v_and_b32_e32 v28, 2, v4
	v_mov_b32_e32 v7, 0
	v_and_b32_e32 v0, -3, v4
	v_mov_b32_e32 v1, v5
	v_mov_b32_e32 v8, 2
	;; [unrolled: 1-line block ×3, first 2 shown]
	s_mov_b64 s[8:9], 3
	s_getpc_b64 s[6:7]
	s_add_u32 s6, s6, .str.5@rel32@lo+4
	s_addc_u32 s7, s7, .str.5@rel32@hi+12
	s_branch .LBB7_1335
.LBB7_1334:                             ;   in Loop: Header=BB7_1335 Depth=1
	s_or_b32 exec_lo, exec_lo, s5
	s_sub_u32 s8, s8, s10
	s_subb_u32 s9, s9, s11
	s_add_u32 s6, s6, s10
	s_addc_u32 s7, s7, s11
	s_cmp_lg_u64 s[8:9], 0
	s_cbranch_scc0 .LBB7_1410
.LBB7_1335:                             ; =>This Loop Header: Depth=1
                                        ;     Child Loop BB7_1344 Depth 2
                                        ;     Child Loop BB7_1340 Depth 2
	;; [unrolled: 1-line block ×11, first 2 shown]
	v_cmp_lt_u64_e64 s4, s[8:9], 56
	v_cmp_gt_u64_e64 s5, s[8:9], 7
                                        ; implicit-def: $vgpr2_vgpr3
                                        ; implicit-def: $sgpr16
	s_and_b32 s4, s4, exec_lo
	s_cselect_b32 s11, s9, 0
	s_cselect_b32 s10, s8, 56
	s_and_b32 vcc_lo, exec_lo, s5
	s_mov_b32 s4, -1
	s_cbranch_vccz .LBB7_1342
; %bb.1336:                             ;   in Loop: Header=BB7_1335 Depth=1
	s_andn2_b32 vcc_lo, exec_lo, s4
	s_mov_b64 s[4:5], s[6:7]
	s_cbranch_vccz .LBB7_1346
.LBB7_1337:                             ;   in Loop: Header=BB7_1335 Depth=1
	s_cmp_gt_u32 s16, 7
	s_cbranch_scc1 .LBB7_1347
.LBB7_1338:                             ;   in Loop: Header=BB7_1335 Depth=1
	v_mov_b32_e32 v10, 0
	v_mov_b32_e32 v11, 0
	s_cmp_eq_u32 s16, 0
	s_cbranch_scc1 .LBB7_1341
; %bb.1339:                             ;   in Loop: Header=BB7_1335 Depth=1
	s_mov_b64 s[12:13], 0
	s_mov_b64 s[14:15], 0
.LBB7_1340:                             ;   Parent Loop BB7_1335 Depth=1
                                        ; =>  This Inner Loop Header: Depth=2
	s_add_u32 s18, s4, s14
	s_addc_u32 s19, s5, s15
	s_add_u32 s14, s14, 1
	global_load_ubyte v6, v7, s[18:19]
	s_addc_u32 s15, s15, 0
	s_waitcnt vmcnt(0)
	v_and_b32_e32 v6, 0xffff, v6
	v_lshlrev_b64 v[12:13], s12, v[6:7]
	s_add_u32 s12, s12, 8
	s_addc_u32 s13, s13, 0
	s_cmp_lg_u32 s16, s14
	v_or_b32_e32 v10, v12, v10
	v_or_b32_e32 v11, v13, v11
	s_cbranch_scc1 .LBB7_1340
.LBB7_1341:                             ;   in Loop: Header=BB7_1335 Depth=1
	s_mov_b32 s17, 0
	s_cbranch_execz .LBB7_1348
	s_branch .LBB7_1349
.LBB7_1342:                             ;   in Loop: Header=BB7_1335 Depth=1
	s_waitcnt vmcnt(0)
	v_mov_b32_e32 v2, 0
	v_mov_b32_e32 v3, 0
	s_cmp_eq_u64 s[8:9], 0
	s_mov_b64 s[4:5], 0
	s_cbranch_scc1 .LBB7_1345
; %bb.1343:                             ;   in Loop: Header=BB7_1335 Depth=1
	v_mov_b32_e32 v2, 0
	v_mov_b32_e32 v3, 0
	s_lshl_b64 s[12:13], s[10:11], 3
	s_mov_b64 s[14:15], s[6:7]
.LBB7_1344:                             ;   Parent Loop BB7_1335 Depth=1
                                        ; =>  This Inner Loop Header: Depth=2
	global_load_ubyte v6, v7, s[14:15]
	s_waitcnt vmcnt(0)
	v_and_b32_e32 v6, 0xffff, v6
	v_lshlrev_b64 v[10:11], s4, v[6:7]
	s_add_u32 s4, s4, 8
	s_addc_u32 s5, s5, 0
	s_add_u32 s14, s14, 1
	s_addc_u32 s15, s15, 0
	s_cmp_lg_u32 s12, s4
	v_or_b32_e32 v2, v10, v2
	v_or_b32_e32 v3, v11, v3
	s_cbranch_scc1 .LBB7_1344
.LBB7_1345:                             ;   in Loop: Header=BB7_1335 Depth=1
	s_mov_b32 s16, 0
	s_mov_b64 s[4:5], s[6:7]
	s_cbranch_execnz .LBB7_1337
.LBB7_1346:                             ;   in Loop: Header=BB7_1335 Depth=1
	global_load_dwordx2 v[2:3], v7, s[6:7]
	s_add_i32 s16, s10, -8
	s_add_u32 s4, s6, 8
	s_addc_u32 s5, s7, 0
	s_cmp_gt_u32 s16, 7
	s_cbranch_scc0 .LBB7_1338
.LBB7_1347:                             ;   in Loop: Header=BB7_1335 Depth=1
                                        ; implicit-def: $vgpr10_vgpr11
                                        ; implicit-def: $sgpr17
.LBB7_1348:                             ;   in Loop: Header=BB7_1335 Depth=1
	global_load_dwordx2 v[10:11], v7, s[4:5]
	s_add_i32 s17, s16, -8
	s_add_u32 s4, s4, 8
	s_addc_u32 s5, s5, 0
.LBB7_1349:                             ;   in Loop: Header=BB7_1335 Depth=1
	s_cmp_gt_u32 s17, 7
	s_cbranch_scc1 .LBB7_1354
; %bb.1350:                             ;   in Loop: Header=BB7_1335 Depth=1
	v_mov_b32_e32 v12, 0
	v_mov_b32_e32 v13, 0
	s_cmp_eq_u32 s17, 0
	s_cbranch_scc1 .LBB7_1353
; %bb.1351:                             ;   in Loop: Header=BB7_1335 Depth=1
	s_mov_b64 s[12:13], 0
	s_mov_b64 s[14:15], 0
.LBB7_1352:                             ;   Parent Loop BB7_1335 Depth=1
                                        ; =>  This Inner Loop Header: Depth=2
	s_add_u32 s18, s4, s14
	s_addc_u32 s19, s5, s15
	s_add_u32 s14, s14, 1
	global_load_ubyte v6, v7, s[18:19]
	s_addc_u32 s15, s15, 0
	s_waitcnt vmcnt(0)
	v_and_b32_e32 v6, 0xffff, v6
	v_lshlrev_b64 v[14:15], s12, v[6:7]
	s_add_u32 s12, s12, 8
	s_addc_u32 s13, s13, 0
	s_cmp_lg_u32 s17, s14
	v_or_b32_e32 v12, v14, v12
	v_or_b32_e32 v13, v15, v13
	s_cbranch_scc1 .LBB7_1352
.LBB7_1353:                             ;   in Loop: Header=BB7_1335 Depth=1
	s_mov_b32 s16, 0
	s_cbranch_execz .LBB7_1355
	s_branch .LBB7_1356
.LBB7_1354:                             ;   in Loop: Header=BB7_1335 Depth=1
                                        ; implicit-def: $sgpr16
.LBB7_1355:                             ;   in Loop: Header=BB7_1335 Depth=1
	global_load_dwordx2 v[12:13], v7, s[4:5]
	s_add_i32 s16, s17, -8
	s_add_u32 s4, s4, 8
	s_addc_u32 s5, s5, 0
.LBB7_1356:                             ;   in Loop: Header=BB7_1335 Depth=1
	s_cmp_gt_u32 s16, 7
	s_cbranch_scc1 .LBB7_1361
; %bb.1357:                             ;   in Loop: Header=BB7_1335 Depth=1
	v_mov_b32_e32 v14, 0
	v_mov_b32_e32 v15, 0
	s_cmp_eq_u32 s16, 0
	s_cbranch_scc1 .LBB7_1360
; %bb.1358:                             ;   in Loop: Header=BB7_1335 Depth=1
	s_mov_b64 s[12:13], 0
	s_mov_b64 s[14:15], 0
.LBB7_1359:                             ;   Parent Loop BB7_1335 Depth=1
                                        ; =>  This Inner Loop Header: Depth=2
	s_add_u32 s18, s4, s14
	s_addc_u32 s19, s5, s15
	s_add_u32 s14, s14, 1
	global_load_ubyte v6, v7, s[18:19]
	s_addc_u32 s15, s15, 0
	s_waitcnt vmcnt(0)
	v_and_b32_e32 v6, 0xffff, v6
	v_lshlrev_b64 v[16:17], s12, v[6:7]
	s_add_u32 s12, s12, 8
	s_addc_u32 s13, s13, 0
	s_cmp_lg_u32 s16, s14
	v_or_b32_e32 v14, v16, v14
	v_or_b32_e32 v15, v17, v15
	s_cbranch_scc1 .LBB7_1359
.LBB7_1360:                             ;   in Loop: Header=BB7_1335 Depth=1
	s_mov_b32 s17, 0
	s_cbranch_execz .LBB7_1362
	s_branch .LBB7_1363
.LBB7_1361:                             ;   in Loop: Header=BB7_1335 Depth=1
                                        ; implicit-def: $vgpr14_vgpr15
                                        ; implicit-def: $sgpr17
.LBB7_1362:                             ;   in Loop: Header=BB7_1335 Depth=1
	global_load_dwordx2 v[14:15], v7, s[4:5]
	s_add_i32 s17, s16, -8
	s_add_u32 s4, s4, 8
	s_addc_u32 s5, s5, 0
.LBB7_1363:                             ;   in Loop: Header=BB7_1335 Depth=1
	s_cmp_gt_u32 s17, 7
	s_cbranch_scc1 .LBB7_1368
; %bb.1364:                             ;   in Loop: Header=BB7_1335 Depth=1
	v_mov_b32_e32 v16, 0
	v_mov_b32_e32 v17, 0
	s_cmp_eq_u32 s17, 0
	s_cbranch_scc1 .LBB7_1367
; %bb.1365:                             ;   in Loop: Header=BB7_1335 Depth=1
	s_mov_b64 s[12:13], 0
	s_mov_b64 s[14:15], 0
.LBB7_1366:                             ;   Parent Loop BB7_1335 Depth=1
                                        ; =>  This Inner Loop Header: Depth=2
	s_add_u32 s18, s4, s14
	s_addc_u32 s19, s5, s15
	s_add_u32 s14, s14, 1
	global_load_ubyte v6, v7, s[18:19]
	s_addc_u32 s15, s15, 0
	s_waitcnt vmcnt(0)
	v_and_b32_e32 v6, 0xffff, v6
	v_lshlrev_b64 v[18:19], s12, v[6:7]
	s_add_u32 s12, s12, 8
	s_addc_u32 s13, s13, 0
	s_cmp_lg_u32 s17, s14
	v_or_b32_e32 v16, v18, v16
	v_or_b32_e32 v17, v19, v17
	s_cbranch_scc1 .LBB7_1366
.LBB7_1367:                             ;   in Loop: Header=BB7_1335 Depth=1
	s_mov_b32 s16, 0
	s_cbranch_execz .LBB7_1369
	s_branch .LBB7_1370
.LBB7_1368:                             ;   in Loop: Header=BB7_1335 Depth=1
                                        ; implicit-def: $sgpr16
.LBB7_1369:                             ;   in Loop: Header=BB7_1335 Depth=1
	global_load_dwordx2 v[16:17], v7, s[4:5]
	s_add_i32 s16, s17, -8
	s_add_u32 s4, s4, 8
	s_addc_u32 s5, s5, 0
.LBB7_1370:                             ;   in Loop: Header=BB7_1335 Depth=1
	s_cmp_gt_u32 s16, 7
	s_cbranch_scc1 .LBB7_1375
; %bb.1371:                             ;   in Loop: Header=BB7_1335 Depth=1
	v_mov_b32_e32 v18, 0
	v_mov_b32_e32 v19, 0
	s_cmp_eq_u32 s16, 0
	s_cbranch_scc1 .LBB7_1374
; %bb.1372:                             ;   in Loop: Header=BB7_1335 Depth=1
	s_mov_b64 s[12:13], 0
	s_mov_b64 s[14:15], 0
.LBB7_1373:                             ;   Parent Loop BB7_1335 Depth=1
                                        ; =>  This Inner Loop Header: Depth=2
	s_add_u32 s18, s4, s14
	s_addc_u32 s19, s5, s15
	s_add_u32 s14, s14, 1
	global_load_ubyte v6, v7, s[18:19]
	s_addc_u32 s15, s15, 0
	s_waitcnt vmcnt(0)
	v_and_b32_e32 v6, 0xffff, v6
	v_lshlrev_b64 v[20:21], s12, v[6:7]
	s_add_u32 s12, s12, 8
	s_addc_u32 s13, s13, 0
	s_cmp_lg_u32 s16, s14
	v_or_b32_e32 v18, v20, v18
	v_or_b32_e32 v19, v21, v19
	s_cbranch_scc1 .LBB7_1373
.LBB7_1374:                             ;   in Loop: Header=BB7_1335 Depth=1
	s_mov_b32 s17, 0
	s_cbranch_execz .LBB7_1376
	s_branch .LBB7_1377
.LBB7_1375:                             ;   in Loop: Header=BB7_1335 Depth=1
                                        ; implicit-def: $vgpr18_vgpr19
                                        ; implicit-def: $sgpr17
.LBB7_1376:                             ;   in Loop: Header=BB7_1335 Depth=1
	global_load_dwordx2 v[18:19], v7, s[4:5]
	s_add_i32 s17, s16, -8
	s_add_u32 s4, s4, 8
	s_addc_u32 s5, s5, 0
.LBB7_1377:                             ;   in Loop: Header=BB7_1335 Depth=1
	s_cmp_gt_u32 s17, 7
	s_cbranch_scc1 .LBB7_1382
; %bb.1378:                             ;   in Loop: Header=BB7_1335 Depth=1
	v_mov_b32_e32 v20, 0
	v_mov_b32_e32 v21, 0
	s_cmp_eq_u32 s17, 0
	s_cbranch_scc1 .LBB7_1381
; %bb.1379:                             ;   in Loop: Header=BB7_1335 Depth=1
	s_mov_b64 s[12:13], 0
	s_mov_b64 s[14:15], s[4:5]
.LBB7_1380:                             ;   Parent Loop BB7_1335 Depth=1
                                        ; =>  This Inner Loop Header: Depth=2
	global_load_ubyte v6, v7, s[14:15]
	s_add_i32 s17, s17, -1
	s_waitcnt vmcnt(0)
	v_and_b32_e32 v6, 0xffff, v6
	v_lshlrev_b64 v[22:23], s12, v[6:7]
	s_add_u32 s12, s12, 8
	s_addc_u32 s13, s13, 0
	s_add_u32 s14, s14, 1
	s_addc_u32 s15, s15, 0
	s_cmp_lg_u32 s17, 0
	v_or_b32_e32 v20, v22, v20
	v_or_b32_e32 v21, v23, v21
	s_cbranch_scc1 .LBB7_1380
.LBB7_1381:                             ;   in Loop: Header=BB7_1335 Depth=1
	s_cbranch_execz .LBB7_1383
	s_branch .LBB7_1384
.LBB7_1382:                             ;   in Loop: Header=BB7_1335 Depth=1
.LBB7_1383:                             ;   in Loop: Header=BB7_1335 Depth=1
	global_load_dwordx2 v[20:21], v7, s[4:5]
.LBB7_1384:                             ;   in Loop: Header=BB7_1335 Depth=1
	v_readfirstlane_b32 s4, v38
	v_mov_b32_e32 v26, 0
	v_mov_b32_e32 v27, 0
	v_cmp_eq_u32_e64 s4, s4, v38
	s_and_saveexec_b32 s5, s4
	s_cbranch_execz .LBB7_1390
; %bb.1385:                             ;   in Loop: Header=BB7_1335 Depth=1
	global_load_dwordx2 v[24:25], v7, s[26:27] offset:24 glc dlc
	s_waitcnt vmcnt(0)
	buffer_gl1_inv
	buffer_gl0_inv
	s_clause 0x1
	global_load_dwordx2 v[22:23], v7, s[26:27] offset:40
	global_load_dwordx2 v[26:27], v7, s[26:27]
	s_mov_b32 s12, exec_lo
	s_waitcnt vmcnt(1)
	v_and_b32_e32 v6, v23, v25
	v_and_b32_e32 v22, v22, v24
	v_mul_lo_u32 v6, v6, 24
	v_mul_hi_u32 v23, v22, 24
	v_mul_lo_u32 v22, v22, 24
	v_add_nc_u32_e32 v6, v23, v6
	s_waitcnt vmcnt(0)
	v_add_co_u32 v22, vcc_lo, v26, v22
	v_add_co_ci_u32_e32 v23, vcc_lo, v27, v6, vcc_lo
	global_load_dwordx2 v[22:23], v[22:23], off glc dlc
	s_waitcnt vmcnt(0)
	global_atomic_cmpswap_x2 v[26:27], v7, v[22:25], s[26:27] offset:24 glc
	s_waitcnt vmcnt(0)
	buffer_gl1_inv
	buffer_gl0_inv
	v_cmpx_ne_u64_e64 v[26:27], v[24:25]
	s_cbranch_execz .LBB7_1389
; %bb.1386:                             ;   in Loop: Header=BB7_1335 Depth=1
	s_mov_b32 s13, 0
	.p2align	6
.LBB7_1387:                             ;   Parent Loop BB7_1335 Depth=1
                                        ; =>  This Inner Loop Header: Depth=2
	s_sleep 1
	s_clause 0x1
	global_load_dwordx2 v[22:23], v7, s[26:27] offset:40
	global_load_dwordx2 v[29:30], v7, s[26:27]
	v_mov_b32_e32 v24, v26
	v_mov_b32_e32 v25, v27
	s_waitcnt vmcnt(1)
	v_and_b32_e32 v6, v22, v24
	v_and_b32_e32 v22, v23, v25
	s_waitcnt vmcnt(0)
	v_mad_u64_u32 v[26:27], null, v6, 24, v[29:30]
	v_mov_b32_e32 v6, v27
	v_mad_u64_u32 v[22:23], null, v22, 24, v[6:7]
	v_mov_b32_e32 v27, v22
	global_load_dwordx2 v[22:23], v[26:27], off glc dlc
	s_waitcnt vmcnt(0)
	global_atomic_cmpswap_x2 v[26:27], v7, v[22:25], s[26:27] offset:24 glc
	s_waitcnt vmcnt(0)
	buffer_gl1_inv
	buffer_gl0_inv
	v_cmp_eq_u64_e32 vcc_lo, v[26:27], v[24:25]
	s_or_b32 s13, vcc_lo, s13
	s_andn2_b32 exec_lo, exec_lo, s13
	s_cbranch_execnz .LBB7_1387
; %bb.1388:                             ;   in Loop: Header=BB7_1335 Depth=1
	s_or_b32 exec_lo, exec_lo, s13
.LBB7_1389:                             ;   in Loop: Header=BB7_1335 Depth=1
	s_or_b32 exec_lo, exec_lo, s12
.LBB7_1390:                             ;   in Loop: Header=BB7_1335 Depth=1
	s_or_b32 exec_lo, exec_lo, s5
	s_clause 0x1
	global_load_dwordx2 v[29:30], v7, s[26:27] offset:40
	global_load_dwordx4 v[22:25], v7, s[26:27]
	v_readfirstlane_b32 s12, v26
	v_readfirstlane_b32 s13, v27
	s_mov_b32 s5, exec_lo
	s_waitcnt vmcnt(1)
	v_readfirstlane_b32 s14, v29
	v_readfirstlane_b32 s15, v30
	s_and_b64 s[14:15], s[12:13], s[14:15]
	s_mul_i32 s16, s15, 24
	s_mul_hi_u32 s17, s14, 24
	s_mul_i32 s18, s14, 24
	s_add_i32 s17, s17, s16
	s_waitcnt vmcnt(0)
	v_add_co_u32 v26, vcc_lo, v22, s18
	v_add_co_ci_u32_e32 v27, vcc_lo, s17, v23, vcc_lo
	s_and_saveexec_b32 s16, s4
	s_cbranch_execz .LBB7_1392
; %bb.1391:                             ;   in Loop: Header=BB7_1335 Depth=1
	v_mov_b32_e32 v6, s5
	global_store_dwordx4 v[26:27], v[6:9], off offset:8
.LBB7_1392:                             ;   in Loop: Header=BB7_1335 Depth=1
	s_or_b32 exec_lo, exec_lo, s16
	s_lshl_b64 s[14:15], s[14:15], 12
	v_cmp_gt_u64_e64 vcc_lo, s[8:9], 56
	v_or_b32_e32 v29, v0, v28
	v_add_co_u32 v24, s5, v24, s14
	v_add_co_ci_u32_e64 v25, s5, s15, v25, s5
	s_lshl_b32 s5, s10, 2
	v_or_b32_e32 v6, 0, v1
	v_cndmask_b32_e32 v0, v29, v0, vcc_lo
	s_add_i32 s5, s5, 28
	v_readfirstlane_b32 s14, v24
	s_and_b32 s5, s5, 0x1e0
	v_cndmask_b32_e32 v1, v6, v1, vcc_lo
	v_readfirstlane_b32 s15, v25
	v_and_or_b32 v0, 0xffffff1f, v0, s5
	global_store_dwordx4 v37, v[0:3], s[14:15]
	global_store_dwordx4 v37, v[10:13], s[14:15] offset:16
	global_store_dwordx4 v37, v[14:17], s[14:15] offset:32
	;; [unrolled: 1-line block ×3, first 2 shown]
	s_and_saveexec_b32 s5, s4
	s_cbranch_execz .LBB7_1400
; %bb.1393:                             ;   in Loop: Header=BB7_1335 Depth=1
	s_clause 0x1
	global_load_dwordx2 v[14:15], v7, s[26:27] offset:32 glc dlc
	global_load_dwordx2 v[0:1], v7, s[26:27] offset:40
	v_mov_b32_e32 v12, s12
	v_mov_b32_e32 v13, s13
	s_waitcnt vmcnt(0)
	v_readfirstlane_b32 s14, v0
	v_readfirstlane_b32 s15, v1
	s_and_b64 s[14:15], s[14:15], s[12:13]
	s_mul_i32 s15, s15, 24
	s_mul_hi_u32 s16, s14, 24
	s_mul_i32 s14, s14, 24
	s_add_i32 s16, s16, s15
	v_add_co_u32 v10, vcc_lo, v22, s14
	v_add_co_ci_u32_e32 v11, vcc_lo, s16, v23, vcc_lo
	s_mov_b32 s14, exec_lo
	global_store_dwordx2 v[10:11], v[14:15], off
	s_waitcnt_vscnt null, 0x0
	global_atomic_cmpswap_x2 v[2:3], v7, v[12:15], s[26:27] offset:32 glc
	s_waitcnt vmcnt(0)
	v_cmpx_ne_u64_e64 v[2:3], v[14:15]
	s_cbranch_execz .LBB7_1396
; %bb.1394:                             ;   in Loop: Header=BB7_1335 Depth=1
	s_mov_b32 s15, 0
.LBB7_1395:                             ;   Parent Loop BB7_1335 Depth=1
                                        ; =>  This Inner Loop Header: Depth=2
	v_mov_b32_e32 v0, s12
	v_mov_b32_e32 v1, s13
	s_sleep 1
	global_store_dwordx2 v[10:11], v[2:3], off
	s_waitcnt_vscnt null, 0x0
	global_atomic_cmpswap_x2 v[0:1], v7, v[0:3], s[26:27] offset:32 glc
	s_waitcnt vmcnt(0)
	v_cmp_eq_u64_e32 vcc_lo, v[0:1], v[2:3]
	v_mov_b32_e32 v3, v1
	v_mov_b32_e32 v2, v0
	s_or_b32 s15, vcc_lo, s15
	s_andn2_b32 exec_lo, exec_lo, s15
	s_cbranch_execnz .LBB7_1395
.LBB7_1396:                             ;   in Loop: Header=BB7_1335 Depth=1
	s_or_b32 exec_lo, exec_lo, s14
	global_load_dwordx2 v[0:1], v7, s[26:27] offset:16
	s_mov_b32 s15, exec_lo
	s_mov_b32 s14, exec_lo
	v_mbcnt_lo_u32_b32 v2, s15, 0
	v_cmpx_eq_u32_e32 0, v2
	s_cbranch_execz .LBB7_1398
; %bb.1397:                             ;   in Loop: Header=BB7_1335 Depth=1
	s_bcnt1_i32_b32 s15, s15
	v_mov_b32_e32 v6, s15
	s_waitcnt vmcnt(0)
	global_atomic_add_x2 v[0:1], v[6:7], off offset:8
.LBB7_1398:                             ;   in Loop: Header=BB7_1335 Depth=1
	s_or_b32 exec_lo, exec_lo, s14
	s_waitcnt vmcnt(0)
	global_load_dwordx2 v[2:3], v[0:1], off offset:16
	s_waitcnt vmcnt(0)
	v_cmp_eq_u64_e32 vcc_lo, 0, v[2:3]
	s_cbranch_vccnz .LBB7_1400
; %bb.1399:                             ;   in Loop: Header=BB7_1335 Depth=1
	global_load_dword v6, v[0:1], off offset:24
	s_waitcnt vmcnt(0)
	v_and_b32_e32 v0, 0x7fffff, v6
	s_waitcnt_vscnt null, 0x0
	global_store_dwordx2 v[2:3], v[6:7], off
	v_readfirstlane_b32 m0, v0
	s_sendmsg sendmsg(MSG_INTERRUPT)
.LBB7_1400:                             ;   in Loop: Header=BB7_1335 Depth=1
	s_or_b32 exec_lo, exec_lo, s5
	v_add_co_u32 v0, vcc_lo, v24, v37
	v_add_co_ci_u32_e32 v1, vcc_lo, 0, v25, vcc_lo
	s_branch .LBB7_1404
	.p2align	6
.LBB7_1401:                             ;   in Loop: Header=BB7_1404 Depth=2
	s_or_b32 exec_lo, exec_lo, s5
	v_readfirstlane_b32 s5, v2
	s_cmp_eq_u32 s5, 0
	s_cbranch_scc1 .LBB7_1403
; %bb.1402:                             ;   in Loop: Header=BB7_1404 Depth=2
	s_sleep 1
	s_cbranch_execnz .LBB7_1404
	s_branch .LBB7_1406
	.p2align	6
.LBB7_1403:                             ;   in Loop: Header=BB7_1335 Depth=1
	s_branch .LBB7_1406
.LBB7_1404:                             ;   Parent Loop BB7_1335 Depth=1
                                        ; =>  This Inner Loop Header: Depth=2
	v_mov_b32_e32 v2, 1
	s_and_saveexec_b32 s5, s4
	s_cbranch_execz .LBB7_1401
; %bb.1405:                             ;   in Loop: Header=BB7_1404 Depth=2
	global_load_dword v2, v[26:27], off offset:20 glc dlc
	s_waitcnt vmcnt(0)
	buffer_gl1_inv
	buffer_gl0_inv
	v_and_b32_e32 v2, 1, v2
	s_branch .LBB7_1401
.LBB7_1406:                             ;   in Loop: Header=BB7_1335 Depth=1
	global_load_dwordx4 v[0:3], v[0:1], off
	s_and_saveexec_b32 s5, s4
	s_cbranch_execz .LBB7_1334
; %bb.1407:                             ;   in Loop: Header=BB7_1335 Depth=1
	s_clause 0x2
	global_load_dwordx2 v[2:3], v7, s[26:27] offset:40
	global_load_dwordx2 v[14:15], v7, s[26:27] offset:24 glc dlc
	global_load_dwordx2 v[12:13], v7, s[26:27]
	s_waitcnt vmcnt(2)
	v_add_co_u32 v6, vcc_lo, v2, 1
	v_add_co_ci_u32_e32 v16, vcc_lo, 0, v3, vcc_lo
	v_add_co_u32 v10, vcc_lo, v6, s12
	v_add_co_ci_u32_e32 v11, vcc_lo, s13, v16, vcc_lo
	v_cmp_eq_u64_e32 vcc_lo, 0, v[10:11]
	v_cndmask_b32_e32 v11, v11, v16, vcc_lo
	v_cndmask_b32_e32 v10, v10, v6, vcc_lo
	v_and_b32_e32 v3, v11, v3
	v_and_b32_e32 v2, v10, v2
	v_mul_lo_u32 v3, v3, 24
	v_mul_hi_u32 v6, v2, 24
	v_mul_lo_u32 v2, v2, 24
	v_add_nc_u32_e32 v3, v6, v3
	s_waitcnt vmcnt(0)
	v_add_co_u32 v2, vcc_lo, v12, v2
	v_mov_b32_e32 v12, v14
	v_add_co_ci_u32_e32 v3, vcc_lo, v13, v3, vcc_lo
	v_mov_b32_e32 v13, v15
	global_store_dwordx2 v[2:3], v[14:15], off
	s_waitcnt_vscnt null, 0x0
	global_atomic_cmpswap_x2 v[12:13], v7, v[10:13], s[26:27] offset:24 glc
	s_waitcnt vmcnt(0)
	v_cmp_ne_u64_e32 vcc_lo, v[12:13], v[14:15]
	s_and_b32 exec_lo, exec_lo, vcc_lo
	s_cbranch_execz .LBB7_1334
; %bb.1408:                             ;   in Loop: Header=BB7_1335 Depth=1
	s_mov_b32 s4, 0
.LBB7_1409:                             ;   Parent Loop BB7_1335 Depth=1
                                        ; =>  This Inner Loop Header: Depth=2
	s_sleep 1
	global_store_dwordx2 v[2:3], v[12:13], off
	s_waitcnt_vscnt null, 0x0
	global_atomic_cmpswap_x2 v[14:15], v7, v[10:13], s[26:27] offset:24 glc
	s_waitcnt vmcnt(0)
	v_cmp_eq_u64_e32 vcc_lo, v[14:15], v[12:13]
	v_mov_b32_e32 v12, v14
	v_mov_b32_e32 v13, v15
	s_or_b32 s4, vcc_lo, s4
	s_andn2_b32 exec_lo, exec_lo, s4
	s_cbranch_execnz .LBB7_1409
	s_branch .LBB7_1334
.LBB7_1410:
	s_mov_b32 s4, 0
	s_branch .LBB7_1412
.LBB7_1411:
	s_mov_b32 s4, -1
                                        ; implicit-def: $vgpr0_vgpr1
.LBB7_1412:
	s_and_b32 vcc_lo, exec_lo, s4
	s_cbranch_vccz .LBB7_1440
; %bb.1413:
	v_readfirstlane_b32 s4, v38
	v_mov_b32_e32 v7, 0
	v_mov_b32_e32 v8, 0
	v_cmp_eq_u32_e64 s4, s4, v38
	s_and_saveexec_b32 s5, s4
	s_cbranch_execz .LBB7_1419
; %bb.1414:
	s_waitcnt vmcnt(0)
	v_mov_b32_e32 v0, 0
	s_mov_b32 s6, exec_lo
	global_load_dwordx2 v[9:10], v0, s[26:27] offset:24 glc dlc
	s_waitcnt vmcnt(0)
	buffer_gl1_inv
	buffer_gl0_inv
	s_clause 0x1
	global_load_dwordx2 v[1:2], v0, s[26:27] offset:40
	global_load_dwordx2 v[6:7], v0, s[26:27]
	s_waitcnt vmcnt(1)
	v_and_b32_e32 v2, v2, v10
	v_and_b32_e32 v1, v1, v9
	v_mul_lo_u32 v2, v2, 24
	v_mul_hi_u32 v3, v1, 24
	v_mul_lo_u32 v1, v1, 24
	v_add_nc_u32_e32 v2, v3, v2
	s_waitcnt vmcnt(0)
	v_add_co_u32 v1, vcc_lo, v6, v1
	v_add_co_ci_u32_e32 v2, vcc_lo, v7, v2, vcc_lo
	global_load_dwordx2 v[7:8], v[1:2], off glc dlc
	s_waitcnt vmcnt(0)
	global_atomic_cmpswap_x2 v[7:8], v0, v[7:10], s[26:27] offset:24 glc
	s_waitcnt vmcnt(0)
	buffer_gl1_inv
	buffer_gl0_inv
	v_cmpx_ne_u64_e64 v[7:8], v[9:10]
	s_cbranch_execz .LBB7_1418
; %bb.1415:
	s_mov_b32 s7, 0
.LBB7_1416:                             ; =>This Inner Loop Header: Depth=1
	s_sleep 1
	s_clause 0x1
	global_load_dwordx2 v[1:2], v0, s[26:27] offset:40
	global_load_dwordx2 v[11:12], v0, s[26:27]
	v_mov_b32_e32 v10, v8
	v_mov_b32_e32 v9, v7
	s_waitcnt vmcnt(1)
	v_and_b32_e32 v1, v1, v9
	v_and_b32_e32 v2, v2, v10
	s_waitcnt vmcnt(0)
	v_mad_u64_u32 v[6:7], null, v1, 24, v[11:12]
	v_mov_b32_e32 v1, v7
	v_mad_u64_u32 v[1:2], null, v2, 24, v[1:2]
	v_mov_b32_e32 v7, v1
	global_load_dwordx2 v[7:8], v[6:7], off glc dlc
	s_waitcnt vmcnt(0)
	global_atomic_cmpswap_x2 v[7:8], v0, v[7:10], s[26:27] offset:24 glc
	s_waitcnt vmcnt(0)
	buffer_gl1_inv
	buffer_gl0_inv
	v_cmp_eq_u64_e32 vcc_lo, v[7:8], v[9:10]
	s_or_b32 s7, vcc_lo, s7
	s_andn2_b32 exec_lo, exec_lo, s7
	s_cbranch_execnz .LBB7_1416
; %bb.1417:
	s_or_b32 exec_lo, exec_lo, s7
.LBB7_1418:
	s_or_b32 exec_lo, exec_lo, s6
.LBB7_1419:
	s_or_b32 exec_lo, exec_lo, s5
	v_mov_b32_e32 v6, 0
	v_readfirstlane_b32 s6, v7
	v_readfirstlane_b32 s7, v8
	s_mov_b32 s5, exec_lo
	s_clause 0x1
	global_load_dwordx2 v[9:10], v6, s[26:27] offset:40
	global_load_dwordx4 v[0:3], v6, s[26:27]
	s_waitcnt vmcnt(1)
	v_readfirstlane_b32 s8, v9
	v_readfirstlane_b32 s9, v10
	s_and_b64 s[8:9], s[6:7], s[8:9]
	s_mul_i32 s10, s9, 24
	s_mul_hi_u32 s11, s8, 24
	s_mul_i32 s12, s8, 24
	s_add_i32 s11, s11, s10
	s_waitcnt vmcnt(0)
	v_add_co_u32 v8, vcc_lo, v0, s12
	v_add_co_ci_u32_e32 v9, vcc_lo, s11, v1, vcc_lo
	s_and_saveexec_b32 s10, s4
	s_cbranch_execz .LBB7_1421
; %bb.1420:
	v_mov_b32_e32 v10, s5
	v_mov_b32_e32 v11, v6
	;; [unrolled: 1-line block ×4, first 2 shown]
	global_store_dwordx4 v[8:9], v[10:13], off offset:8
.LBB7_1421:
	s_or_b32 exec_lo, exec_lo, s10
	s_lshl_b64 s[8:9], s[8:9], 12
	v_and_or_b32 v4, 0xffffff1f, v4, 32
	v_add_co_u32 v2, vcc_lo, v2, s8
	v_add_co_ci_u32_e32 v3, vcc_lo, s9, v3, vcc_lo
	s_mov_b32 s8, 0
	v_add_co_u32 v10, vcc_lo, v2, v37
	s_mov_b32 s11, s8
	s_mov_b32 s9, s8
	;; [unrolled: 1-line block ×3, first 2 shown]
	v_mov_b32_e32 v7, v6
	v_readfirstlane_b32 s12, v2
	v_readfirstlane_b32 s13, v3
	v_mov_b32_e32 v15, s11
	v_add_co_ci_u32_e32 v11, vcc_lo, 0, v3, vcc_lo
	v_mov_b32_e32 v14, s10
	v_mov_b32_e32 v13, s9
	;; [unrolled: 1-line block ×3, first 2 shown]
	global_store_dwordx4 v37, v[4:7], s[12:13]
	global_store_dwordx4 v37, v[12:15], s[12:13] offset:16
	global_store_dwordx4 v37, v[12:15], s[12:13] offset:32
	;; [unrolled: 1-line block ×3, first 2 shown]
	s_and_saveexec_b32 s5, s4
	s_cbranch_execz .LBB7_1429
; %bb.1422:
	v_mov_b32_e32 v6, 0
	v_mov_b32_e32 v12, s6
	;; [unrolled: 1-line block ×3, first 2 shown]
	s_clause 0x1
	global_load_dwordx2 v[14:15], v6, s[26:27] offset:32 glc dlc
	global_load_dwordx2 v[2:3], v6, s[26:27] offset:40
	s_waitcnt vmcnt(0)
	v_readfirstlane_b32 s8, v2
	v_readfirstlane_b32 s9, v3
	s_and_b64 s[8:9], s[8:9], s[6:7]
	s_mul_i32 s9, s9, 24
	s_mul_hi_u32 s10, s8, 24
	s_mul_i32 s8, s8, 24
	s_add_i32 s10, s10, s9
	v_add_co_u32 v4, vcc_lo, v0, s8
	v_add_co_ci_u32_e32 v5, vcc_lo, s10, v1, vcc_lo
	s_mov_b32 s8, exec_lo
	global_store_dwordx2 v[4:5], v[14:15], off
	s_waitcnt_vscnt null, 0x0
	global_atomic_cmpswap_x2 v[2:3], v6, v[12:15], s[26:27] offset:32 glc
	s_waitcnt vmcnt(0)
	v_cmpx_ne_u64_e64 v[2:3], v[14:15]
	s_cbranch_execz .LBB7_1425
; %bb.1423:
	s_mov_b32 s9, 0
.LBB7_1424:                             ; =>This Inner Loop Header: Depth=1
	v_mov_b32_e32 v0, s6
	v_mov_b32_e32 v1, s7
	s_sleep 1
	global_store_dwordx2 v[4:5], v[2:3], off
	s_waitcnt_vscnt null, 0x0
	global_atomic_cmpswap_x2 v[0:1], v6, v[0:3], s[26:27] offset:32 glc
	s_waitcnt vmcnt(0)
	v_cmp_eq_u64_e32 vcc_lo, v[0:1], v[2:3]
	v_mov_b32_e32 v3, v1
	v_mov_b32_e32 v2, v0
	s_or_b32 s9, vcc_lo, s9
	s_andn2_b32 exec_lo, exec_lo, s9
	s_cbranch_execnz .LBB7_1424
.LBB7_1425:
	s_or_b32 exec_lo, exec_lo, s8
	v_mov_b32_e32 v3, 0
	s_mov_b32 s9, exec_lo
	s_mov_b32 s8, exec_lo
	v_mbcnt_lo_u32_b32 v2, s9, 0
	global_load_dwordx2 v[0:1], v3, s[26:27] offset:16
	v_cmpx_eq_u32_e32 0, v2
	s_cbranch_execz .LBB7_1427
; %bb.1426:
	s_bcnt1_i32_b32 s9, s9
	v_mov_b32_e32 v2, s9
	s_waitcnt vmcnt(0)
	global_atomic_add_x2 v[0:1], v[2:3], off offset:8
.LBB7_1427:
	s_or_b32 exec_lo, exec_lo, s8
	s_waitcnt vmcnt(0)
	global_load_dwordx2 v[2:3], v[0:1], off offset:16
	s_waitcnt vmcnt(0)
	v_cmp_eq_u64_e32 vcc_lo, 0, v[2:3]
	s_cbranch_vccnz .LBB7_1429
; %bb.1428:
	global_load_dword v0, v[0:1], off offset:24
	v_mov_b32_e32 v1, 0
	s_waitcnt vmcnt(0)
	v_and_b32_e32 v4, 0x7fffff, v0
	s_waitcnt_vscnt null, 0x0
	global_store_dwordx2 v[2:3], v[0:1], off
	v_readfirstlane_b32 m0, v4
	s_sendmsg sendmsg(MSG_INTERRUPT)
.LBB7_1429:
	s_or_b32 exec_lo, exec_lo, s5
	s_branch .LBB7_1433
	.p2align	6
.LBB7_1430:                             ;   in Loop: Header=BB7_1433 Depth=1
	s_or_b32 exec_lo, exec_lo, s5
	v_readfirstlane_b32 s5, v0
	s_cmp_eq_u32 s5, 0
	s_cbranch_scc1 .LBB7_1432
; %bb.1431:                             ;   in Loop: Header=BB7_1433 Depth=1
	s_sleep 1
	s_cbranch_execnz .LBB7_1433
	s_branch .LBB7_1435
.LBB7_1432:
	s_branch .LBB7_1435
.LBB7_1433:                             ; =>This Inner Loop Header: Depth=1
	v_mov_b32_e32 v0, 1
	s_and_saveexec_b32 s5, s4
	s_cbranch_execz .LBB7_1430
; %bb.1434:                             ;   in Loop: Header=BB7_1433 Depth=1
	global_load_dword v0, v[8:9], off offset:20 glc dlc
	s_waitcnt vmcnt(0)
	buffer_gl1_inv
	buffer_gl0_inv
	v_and_b32_e32 v0, 1, v0
	s_branch .LBB7_1430
.LBB7_1435:
	global_load_dwordx2 v[0:1], v[10:11], off
	s_and_saveexec_b32 s5, s4
	s_cbranch_execz .LBB7_1439
; %bb.1436:
	v_mov_b32_e32 v8, 0
	s_clause 0x2
	global_load_dwordx2 v[4:5], v8, s[26:27] offset:40
	global_load_dwordx2 v[9:10], v8, s[26:27] offset:24 glc dlc
	global_load_dwordx2 v[6:7], v8, s[26:27]
	s_waitcnt vmcnt(2)
	v_add_co_u32 v11, vcc_lo, v4, 1
	v_add_co_ci_u32_e32 v12, vcc_lo, 0, v5, vcc_lo
	v_add_co_u32 v2, vcc_lo, v11, s6
	v_add_co_ci_u32_e32 v3, vcc_lo, s7, v12, vcc_lo
	v_cmp_eq_u64_e32 vcc_lo, 0, v[2:3]
	v_cndmask_b32_e32 v3, v3, v12, vcc_lo
	v_cndmask_b32_e32 v2, v2, v11, vcc_lo
	v_and_b32_e32 v5, v3, v5
	v_and_b32_e32 v4, v2, v4
	v_mul_lo_u32 v5, v5, 24
	v_mul_hi_u32 v11, v4, 24
	v_mul_lo_u32 v4, v4, 24
	v_add_nc_u32_e32 v5, v11, v5
	s_waitcnt vmcnt(0)
	v_add_co_u32 v6, vcc_lo, v6, v4
	v_mov_b32_e32 v4, v9
	v_add_co_ci_u32_e32 v7, vcc_lo, v7, v5, vcc_lo
	v_mov_b32_e32 v5, v10
	global_store_dwordx2 v[6:7], v[9:10], off
	s_waitcnt_vscnt null, 0x0
	global_atomic_cmpswap_x2 v[4:5], v8, v[2:5], s[26:27] offset:24 glc
	s_waitcnt vmcnt(0)
	v_cmp_ne_u64_e32 vcc_lo, v[4:5], v[9:10]
	s_and_b32 exec_lo, exec_lo, vcc_lo
	s_cbranch_execz .LBB7_1439
; %bb.1437:
	s_mov_b32 s4, 0
.LBB7_1438:                             ; =>This Inner Loop Header: Depth=1
	s_sleep 1
	global_store_dwordx2 v[6:7], v[4:5], off
	s_waitcnt_vscnt null, 0x0
	global_atomic_cmpswap_x2 v[9:10], v8, v[2:5], s[26:27] offset:24 glc
	s_waitcnt vmcnt(0)
	v_cmp_eq_u64_e32 vcc_lo, v[9:10], v[4:5]
	v_mov_b32_e32 v4, v9
	v_mov_b32_e32 v5, v10
	s_or_b32 s4, vcc_lo, s4
	s_andn2_b32 exec_lo, exec_lo, s4
	s_cbranch_execnz .LBB7_1438
.LBB7_1439:
	s_or_b32 exec_lo, exec_lo, s5
.LBB7_1440:
	s_getpc_b64 s[6:7]
	s_add_u32 s6, s6, .str.2@rel32@lo+4
	s_addc_u32 s7, s7, .str.2@rel32@hi+12
	s_cmp_lg_u64 s[6:7], 0
	s_cbranch_scc0 .LBB7_1519
; %bb.1441:
	s_waitcnt vmcnt(0)
	v_and_b32_e32 v6, -3, v0
	v_mov_b32_e32 v7, v1
	v_mov_b32_e32 v3, 0
	;; [unrolled: 1-line block ×4, first 2 shown]
	s_mov_b64 s[8:9], 13
	s_branch .LBB7_1443
.LBB7_1442:                             ;   in Loop: Header=BB7_1443 Depth=1
	s_or_b32 exec_lo, exec_lo, s5
	s_sub_u32 s8, s8, s10
	s_subb_u32 s9, s9, s11
	s_add_u32 s6, s6, s10
	s_addc_u32 s7, s7, s11
	s_cmp_lg_u64 s[8:9], 0
	s_cbranch_scc0 .LBB7_1518
.LBB7_1443:                             ; =>This Loop Header: Depth=1
                                        ;     Child Loop BB7_1452 Depth 2
                                        ;     Child Loop BB7_1448 Depth 2
	;; [unrolled: 1-line block ×11, first 2 shown]
	v_cmp_lt_u64_e64 s4, s[8:9], 56
	v_cmp_gt_u64_e64 s5, s[8:9], 7
                                        ; implicit-def: $sgpr16
	s_and_b32 s4, s4, exec_lo
	s_cselect_b32 s11, s9, 0
	s_cselect_b32 s10, s8, 56
	s_and_b32 vcc_lo, exec_lo, s5
	s_mov_b32 s4, -1
	s_cbranch_vccz .LBB7_1450
; %bb.1444:                             ;   in Loop: Header=BB7_1443 Depth=1
	s_andn2_b32 vcc_lo, exec_lo, s4
	s_mov_b64 s[4:5], s[6:7]
	s_cbranch_vccz .LBB7_1454
.LBB7_1445:                             ;   in Loop: Header=BB7_1443 Depth=1
	s_cmp_gt_u32 s16, 7
	s_cbranch_scc1 .LBB7_1455
.LBB7_1446:                             ;   in Loop: Header=BB7_1443 Depth=1
	v_mov_b32_e32 v10, 0
	v_mov_b32_e32 v11, 0
	s_cmp_eq_u32 s16, 0
	s_cbranch_scc1 .LBB7_1449
; %bb.1447:                             ;   in Loop: Header=BB7_1443 Depth=1
	s_mov_b64 s[12:13], 0
	s_mov_b64 s[14:15], 0
.LBB7_1448:                             ;   Parent Loop BB7_1443 Depth=1
                                        ; =>  This Inner Loop Header: Depth=2
	s_add_u32 s18, s4, s14
	s_addc_u32 s19, s5, s15
	s_add_u32 s14, s14, 1
	global_load_ubyte v2, v3, s[18:19]
	s_addc_u32 s15, s15, 0
	s_waitcnt vmcnt(0)
	v_and_b32_e32 v2, 0xffff, v2
	v_lshlrev_b64 v[12:13], s12, v[2:3]
	s_add_u32 s12, s12, 8
	s_addc_u32 s13, s13, 0
	s_cmp_lg_u32 s16, s14
	v_or_b32_e32 v10, v12, v10
	v_or_b32_e32 v11, v13, v11
	s_cbranch_scc1 .LBB7_1448
.LBB7_1449:                             ;   in Loop: Header=BB7_1443 Depth=1
	s_mov_b32 s17, 0
	s_cbranch_execz .LBB7_1456
	s_branch .LBB7_1457
.LBB7_1450:                             ;   in Loop: Header=BB7_1443 Depth=1
	s_waitcnt vmcnt(0)
	v_mov_b32_e32 v8, 0
	v_mov_b32_e32 v9, 0
	s_cmp_eq_u64 s[8:9], 0
	s_mov_b64 s[4:5], 0
	s_cbranch_scc1 .LBB7_1453
; %bb.1451:                             ;   in Loop: Header=BB7_1443 Depth=1
	v_mov_b32_e32 v8, 0
	v_mov_b32_e32 v9, 0
	s_lshl_b64 s[12:13], s[10:11], 3
	s_mov_b64 s[14:15], s[6:7]
.LBB7_1452:                             ;   Parent Loop BB7_1443 Depth=1
                                        ; =>  This Inner Loop Header: Depth=2
	global_load_ubyte v2, v3, s[14:15]
	s_waitcnt vmcnt(0)
	v_and_b32_e32 v2, 0xffff, v2
	v_lshlrev_b64 v[10:11], s4, v[2:3]
	s_add_u32 s4, s4, 8
	s_addc_u32 s5, s5, 0
	s_add_u32 s14, s14, 1
	s_addc_u32 s15, s15, 0
	s_cmp_lg_u32 s12, s4
	v_or_b32_e32 v8, v10, v8
	v_or_b32_e32 v9, v11, v9
	s_cbranch_scc1 .LBB7_1452
.LBB7_1453:                             ;   in Loop: Header=BB7_1443 Depth=1
	s_mov_b32 s16, 0
	s_mov_b64 s[4:5], s[6:7]
	s_cbranch_execnz .LBB7_1445
.LBB7_1454:                             ;   in Loop: Header=BB7_1443 Depth=1
	global_load_dwordx2 v[8:9], v3, s[6:7]
	s_add_i32 s16, s10, -8
	s_add_u32 s4, s6, 8
	s_addc_u32 s5, s7, 0
	s_cmp_gt_u32 s16, 7
	s_cbranch_scc0 .LBB7_1446
.LBB7_1455:                             ;   in Loop: Header=BB7_1443 Depth=1
                                        ; implicit-def: $vgpr10_vgpr11
                                        ; implicit-def: $sgpr17
.LBB7_1456:                             ;   in Loop: Header=BB7_1443 Depth=1
	global_load_dwordx2 v[10:11], v3, s[4:5]
	s_add_i32 s17, s16, -8
	s_add_u32 s4, s4, 8
	s_addc_u32 s5, s5, 0
.LBB7_1457:                             ;   in Loop: Header=BB7_1443 Depth=1
	s_cmp_gt_u32 s17, 7
	s_cbranch_scc1 .LBB7_1462
; %bb.1458:                             ;   in Loop: Header=BB7_1443 Depth=1
	v_mov_b32_e32 v12, 0
	v_mov_b32_e32 v13, 0
	s_cmp_eq_u32 s17, 0
	s_cbranch_scc1 .LBB7_1461
; %bb.1459:                             ;   in Loop: Header=BB7_1443 Depth=1
	s_mov_b64 s[12:13], 0
	s_mov_b64 s[14:15], 0
.LBB7_1460:                             ;   Parent Loop BB7_1443 Depth=1
                                        ; =>  This Inner Loop Header: Depth=2
	s_add_u32 s18, s4, s14
	s_addc_u32 s19, s5, s15
	s_add_u32 s14, s14, 1
	global_load_ubyte v2, v3, s[18:19]
	s_addc_u32 s15, s15, 0
	s_waitcnt vmcnt(0)
	v_and_b32_e32 v2, 0xffff, v2
	v_lshlrev_b64 v[14:15], s12, v[2:3]
	s_add_u32 s12, s12, 8
	s_addc_u32 s13, s13, 0
	s_cmp_lg_u32 s17, s14
	v_or_b32_e32 v12, v14, v12
	v_or_b32_e32 v13, v15, v13
	s_cbranch_scc1 .LBB7_1460
.LBB7_1461:                             ;   in Loop: Header=BB7_1443 Depth=1
	s_mov_b32 s16, 0
	s_cbranch_execz .LBB7_1463
	s_branch .LBB7_1464
.LBB7_1462:                             ;   in Loop: Header=BB7_1443 Depth=1
                                        ; implicit-def: $sgpr16
.LBB7_1463:                             ;   in Loop: Header=BB7_1443 Depth=1
	global_load_dwordx2 v[12:13], v3, s[4:5]
	s_add_i32 s16, s17, -8
	s_add_u32 s4, s4, 8
	s_addc_u32 s5, s5, 0
.LBB7_1464:                             ;   in Loop: Header=BB7_1443 Depth=1
	s_cmp_gt_u32 s16, 7
	s_cbranch_scc1 .LBB7_1469
; %bb.1465:                             ;   in Loop: Header=BB7_1443 Depth=1
	v_mov_b32_e32 v14, 0
	v_mov_b32_e32 v15, 0
	s_cmp_eq_u32 s16, 0
	s_cbranch_scc1 .LBB7_1468
; %bb.1466:                             ;   in Loop: Header=BB7_1443 Depth=1
	s_mov_b64 s[12:13], 0
	s_mov_b64 s[14:15], 0
.LBB7_1467:                             ;   Parent Loop BB7_1443 Depth=1
                                        ; =>  This Inner Loop Header: Depth=2
	s_add_u32 s18, s4, s14
	s_addc_u32 s19, s5, s15
	s_add_u32 s14, s14, 1
	global_load_ubyte v2, v3, s[18:19]
	s_addc_u32 s15, s15, 0
	s_waitcnt vmcnt(0)
	v_and_b32_e32 v2, 0xffff, v2
	v_lshlrev_b64 v[16:17], s12, v[2:3]
	s_add_u32 s12, s12, 8
	s_addc_u32 s13, s13, 0
	s_cmp_lg_u32 s16, s14
	v_or_b32_e32 v14, v16, v14
	v_or_b32_e32 v15, v17, v15
	s_cbranch_scc1 .LBB7_1467
.LBB7_1468:                             ;   in Loop: Header=BB7_1443 Depth=1
	s_mov_b32 s17, 0
	s_cbranch_execz .LBB7_1470
	s_branch .LBB7_1471
.LBB7_1469:                             ;   in Loop: Header=BB7_1443 Depth=1
                                        ; implicit-def: $vgpr14_vgpr15
                                        ; implicit-def: $sgpr17
.LBB7_1470:                             ;   in Loop: Header=BB7_1443 Depth=1
	global_load_dwordx2 v[14:15], v3, s[4:5]
	s_add_i32 s17, s16, -8
	s_add_u32 s4, s4, 8
	s_addc_u32 s5, s5, 0
.LBB7_1471:                             ;   in Loop: Header=BB7_1443 Depth=1
	s_cmp_gt_u32 s17, 7
	s_cbranch_scc1 .LBB7_1476
; %bb.1472:                             ;   in Loop: Header=BB7_1443 Depth=1
	v_mov_b32_e32 v16, 0
	v_mov_b32_e32 v17, 0
	s_cmp_eq_u32 s17, 0
	s_cbranch_scc1 .LBB7_1475
; %bb.1473:                             ;   in Loop: Header=BB7_1443 Depth=1
	s_mov_b64 s[12:13], 0
	s_mov_b64 s[14:15], 0
.LBB7_1474:                             ;   Parent Loop BB7_1443 Depth=1
                                        ; =>  This Inner Loop Header: Depth=2
	s_add_u32 s18, s4, s14
	s_addc_u32 s19, s5, s15
	s_add_u32 s14, s14, 1
	global_load_ubyte v2, v3, s[18:19]
	s_addc_u32 s15, s15, 0
	s_waitcnt vmcnt(0)
	v_and_b32_e32 v2, 0xffff, v2
	v_lshlrev_b64 v[18:19], s12, v[2:3]
	s_add_u32 s12, s12, 8
	s_addc_u32 s13, s13, 0
	s_cmp_lg_u32 s17, s14
	v_or_b32_e32 v16, v18, v16
	v_or_b32_e32 v17, v19, v17
	s_cbranch_scc1 .LBB7_1474
.LBB7_1475:                             ;   in Loop: Header=BB7_1443 Depth=1
	s_mov_b32 s16, 0
	s_cbranch_execz .LBB7_1477
	s_branch .LBB7_1478
.LBB7_1476:                             ;   in Loop: Header=BB7_1443 Depth=1
                                        ; implicit-def: $sgpr16
.LBB7_1477:                             ;   in Loop: Header=BB7_1443 Depth=1
	global_load_dwordx2 v[16:17], v3, s[4:5]
	s_add_i32 s16, s17, -8
	s_add_u32 s4, s4, 8
	s_addc_u32 s5, s5, 0
.LBB7_1478:                             ;   in Loop: Header=BB7_1443 Depth=1
	s_cmp_gt_u32 s16, 7
	s_cbranch_scc1 .LBB7_1483
; %bb.1479:                             ;   in Loop: Header=BB7_1443 Depth=1
	v_mov_b32_e32 v18, 0
	v_mov_b32_e32 v19, 0
	s_cmp_eq_u32 s16, 0
	s_cbranch_scc1 .LBB7_1482
; %bb.1480:                             ;   in Loop: Header=BB7_1443 Depth=1
	s_mov_b64 s[12:13], 0
	s_mov_b64 s[14:15], 0
.LBB7_1481:                             ;   Parent Loop BB7_1443 Depth=1
                                        ; =>  This Inner Loop Header: Depth=2
	s_add_u32 s18, s4, s14
	s_addc_u32 s19, s5, s15
	s_add_u32 s14, s14, 1
	global_load_ubyte v2, v3, s[18:19]
	s_addc_u32 s15, s15, 0
	s_waitcnt vmcnt(0)
	v_and_b32_e32 v2, 0xffff, v2
	v_lshlrev_b64 v[20:21], s12, v[2:3]
	s_add_u32 s12, s12, 8
	s_addc_u32 s13, s13, 0
	s_cmp_lg_u32 s16, s14
	v_or_b32_e32 v18, v20, v18
	v_or_b32_e32 v19, v21, v19
	s_cbranch_scc1 .LBB7_1481
.LBB7_1482:                             ;   in Loop: Header=BB7_1443 Depth=1
	s_mov_b32 s17, 0
	s_cbranch_execz .LBB7_1484
	s_branch .LBB7_1485
.LBB7_1483:                             ;   in Loop: Header=BB7_1443 Depth=1
                                        ; implicit-def: $vgpr18_vgpr19
                                        ; implicit-def: $sgpr17
.LBB7_1484:                             ;   in Loop: Header=BB7_1443 Depth=1
	global_load_dwordx2 v[18:19], v3, s[4:5]
	s_add_i32 s17, s16, -8
	s_add_u32 s4, s4, 8
	s_addc_u32 s5, s5, 0
.LBB7_1485:                             ;   in Loop: Header=BB7_1443 Depth=1
	s_cmp_gt_u32 s17, 7
	s_cbranch_scc1 .LBB7_1490
; %bb.1486:                             ;   in Loop: Header=BB7_1443 Depth=1
	v_mov_b32_e32 v20, 0
	v_mov_b32_e32 v21, 0
	s_cmp_eq_u32 s17, 0
	s_cbranch_scc1 .LBB7_1489
; %bb.1487:                             ;   in Loop: Header=BB7_1443 Depth=1
	s_mov_b64 s[12:13], 0
	s_mov_b64 s[14:15], s[4:5]
.LBB7_1488:                             ;   Parent Loop BB7_1443 Depth=1
                                        ; =>  This Inner Loop Header: Depth=2
	global_load_ubyte v2, v3, s[14:15]
	s_add_i32 s17, s17, -1
	s_waitcnt vmcnt(0)
	v_and_b32_e32 v2, 0xffff, v2
	v_lshlrev_b64 v[22:23], s12, v[2:3]
	s_add_u32 s12, s12, 8
	s_addc_u32 s13, s13, 0
	s_add_u32 s14, s14, 1
	s_addc_u32 s15, s15, 0
	s_cmp_lg_u32 s17, 0
	v_or_b32_e32 v20, v22, v20
	v_or_b32_e32 v21, v23, v21
	s_cbranch_scc1 .LBB7_1488
.LBB7_1489:                             ;   in Loop: Header=BB7_1443 Depth=1
	s_cbranch_execz .LBB7_1491
	s_branch .LBB7_1492
.LBB7_1490:                             ;   in Loop: Header=BB7_1443 Depth=1
.LBB7_1491:                             ;   in Loop: Header=BB7_1443 Depth=1
	global_load_dwordx2 v[20:21], v3, s[4:5]
.LBB7_1492:                             ;   in Loop: Header=BB7_1443 Depth=1
	v_readfirstlane_b32 s4, v38
	v_mov_b32_e32 v26, 0
	v_mov_b32_e32 v27, 0
	v_cmp_eq_u32_e64 s4, s4, v38
	s_and_saveexec_b32 s5, s4
	s_cbranch_execz .LBB7_1498
; %bb.1493:                             ;   in Loop: Header=BB7_1443 Depth=1
	global_load_dwordx2 v[24:25], v3, s[26:27] offset:24 glc dlc
	s_waitcnt vmcnt(0)
	buffer_gl1_inv
	buffer_gl0_inv
	s_clause 0x1
	global_load_dwordx2 v[22:23], v3, s[26:27] offset:40
	global_load_dwordx2 v[26:27], v3, s[26:27]
	s_mov_b32 s12, exec_lo
	s_waitcnt vmcnt(1)
	v_and_b32_e32 v2, v23, v25
	v_and_b32_e32 v22, v22, v24
	v_mul_lo_u32 v2, v2, 24
	v_mul_hi_u32 v23, v22, 24
	v_mul_lo_u32 v22, v22, 24
	v_add_nc_u32_e32 v2, v23, v2
	s_waitcnt vmcnt(0)
	v_add_co_u32 v22, vcc_lo, v26, v22
	v_add_co_ci_u32_e32 v23, vcc_lo, v27, v2, vcc_lo
	global_load_dwordx2 v[22:23], v[22:23], off glc dlc
	s_waitcnt vmcnt(0)
	global_atomic_cmpswap_x2 v[26:27], v3, v[22:25], s[26:27] offset:24 glc
	s_waitcnt vmcnt(0)
	buffer_gl1_inv
	buffer_gl0_inv
	v_cmpx_ne_u64_e64 v[26:27], v[24:25]
	s_cbranch_execz .LBB7_1497
; %bb.1494:                             ;   in Loop: Header=BB7_1443 Depth=1
	s_mov_b32 s13, 0
	.p2align	6
.LBB7_1495:                             ;   Parent Loop BB7_1443 Depth=1
                                        ; =>  This Inner Loop Header: Depth=2
	s_sleep 1
	s_clause 0x1
	global_load_dwordx2 v[22:23], v3, s[26:27] offset:40
	global_load_dwordx2 v[28:29], v3, s[26:27]
	v_mov_b32_e32 v24, v26
	v_mov_b32_e32 v25, v27
	s_waitcnt vmcnt(1)
	v_and_b32_e32 v2, v22, v24
	v_and_b32_e32 v22, v23, v25
	s_waitcnt vmcnt(0)
	v_mad_u64_u32 v[26:27], null, v2, 24, v[28:29]
	v_mov_b32_e32 v2, v27
	v_mad_u64_u32 v[22:23], null, v22, 24, v[2:3]
	v_mov_b32_e32 v27, v22
	global_load_dwordx2 v[22:23], v[26:27], off glc dlc
	s_waitcnt vmcnt(0)
	global_atomic_cmpswap_x2 v[26:27], v3, v[22:25], s[26:27] offset:24 glc
	s_waitcnt vmcnt(0)
	buffer_gl1_inv
	buffer_gl0_inv
	v_cmp_eq_u64_e32 vcc_lo, v[26:27], v[24:25]
	s_or_b32 s13, vcc_lo, s13
	s_andn2_b32 exec_lo, exec_lo, s13
	s_cbranch_execnz .LBB7_1495
; %bb.1496:                             ;   in Loop: Header=BB7_1443 Depth=1
	s_or_b32 exec_lo, exec_lo, s13
.LBB7_1497:                             ;   in Loop: Header=BB7_1443 Depth=1
	s_or_b32 exec_lo, exec_lo, s12
.LBB7_1498:                             ;   in Loop: Header=BB7_1443 Depth=1
	s_or_b32 exec_lo, exec_lo, s5
	s_clause 0x1
	global_load_dwordx2 v[28:29], v3, s[26:27] offset:40
	global_load_dwordx4 v[22:25], v3, s[26:27]
	v_readfirstlane_b32 s12, v26
	v_readfirstlane_b32 s13, v27
	s_mov_b32 s5, exec_lo
	s_waitcnt vmcnt(1)
	v_readfirstlane_b32 s14, v28
	v_readfirstlane_b32 s15, v29
	s_and_b64 s[14:15], s[12:13], s[14:15]
	s_mul_i32 s16, s15, 24
	s_mul_hi_u32 s17, s14, 24
	s_mul_i32 s18, s14, 24
	s_add_i32 s17, s17, s16
	s_waitcnt vmcnt(0)
	v_add_co_u32 v26, vcc_lo, v22, s18
	v_add_co_ci_u32_e32 v27, vcc_lo, s17, v23, vcc_lo
	s_and_saveexec_b32 s16, s4
	s_cbranch_execz .LBB7_1500
; %bb.1499:                             ;   in Loop: Header=BB7_1443 Depth=1
	v_mov_b32_e32 v2, s5
	global_store_dwordx4 v[26:27], v[2:5], off offset:8
.LBB7_1500:                             ;   in Loop: Header=BB7_1443 Depth=1
	s_or_b32 exec_lo, exec_lo, s16
	s_lshl_b64 s[14:15], s[14:15], 12
	v_or_b32_e32 v2, 2, v6
	v_add_co_u32 v24, vcc_lo, v24, s14
	v_add_co_ci_u32_e32 v25, vcc_lo, s15, v25, vcc_lo
	v_cmp_gt_u64_e64 vcc_lo, s[8:9], 56
	s_lshl_b32 s5, s10, 2
	v_readfirstlane_b32 s14, v24
	s_add_i32 s5, s5, 28
	v_readfirstlane_b32 s15, v25
	s_and_b32 s5, s5, 0x1e0
	v_cndmask_b32_e32 v2, v2, v6, vcc_lo
	v_and_or_b32 v6, 0xffffff1f, v2, s5
	global_store_dwordx4 v37, v[10:13], s[14:15] offset:16
	global_store_dwordx4 v37, v[6:9], s[14:15]
	global_store_dwordx4 v37, v[14:17], s[14:15] offset:32
	global_store_dwordx4 v37, v[18:21], s[14:15] offset:48
	s_and_saveexec_b32 s5, s4
	s_cbranch_execz .LBB7_1508
; %bb.1501:                             ;   in Loop: Header=BB7_1443 Depth=1
	s_clause 0x1
	global_load_dwordx2 v[14:15], v3, s[26:27] offset:32 glc dlc
	global_load_dwordx2 v[6:7], v3, s[26:27] offset:40
	v_mov_b32_e32 v12, s12
	v_mov_b32_e32 v13, s13
	s_waitcnt vmcnt(0)
	v_readfirstlane_b32 s14, v6
	v_readfirstlane_b32 s15, v7
	s_and_b64 s[14:15], s[14:15], s[12:13]
	s_mul_i32 s15, s15, 24
	s_mul_hi_u32 s16, s14, 24
	s_mul_i32 s14, s14, 24
	s_add_i32 s16, s16, s15
	v_add_co_u32 v10, vcc_lo, v22, s14
	v_add_co_ci_u32_e32 v11, vcc_lo, s16, v23, vcc_lo
	s_mov_b32 s14, exec_lo
	global_store_dwordx2 v[10:11], v[14:15], off
	s_waitcnt_vscnt null, 0x0
	global_atomic_cmpswap_x2 v[8:9], v3, v[12:15], s[26:27] offset:32 glc
	s_waitcnt vmcnt(0)
	v_cmpx_ne_u64_e64 v[8:9], v[14:15]
	s_cbranch_execz .LBB7_1504
; %bb.1502:                             ;   in Loop: Header=BB7_1443 Depth=1
	s_mov_b32 s15, 0
.LBB7_1503:                             ;   Parent Loop BB7_1443 Depth=1
                                        ; =>  This Inner Loop Header: Depth=2
	v_mov_b32_e32 v6, s12
	v_mov_b32_e32 v7, s13
	s_sleep 1
	global_store_dwordx2 v[10:11], v[8:9], off
	s_waitcnt_vscnt null, 0x0
	global_atomic_cmpswap_x2 v[6:7], v3, v[6:9], s[26:27] offset:32 glc
	s_waitcnt vmcnt(0)
	v_cmp_eq_u64_e32 vcc_lo, v[6:7], v[8:9]
	v_mov_b32_e32 v9, v7
	v_mov_b32_e32 v8, v6
	s_or_b32 s15, vcc_lo, s15
	s_andn2_b32 exec_lo, exec_lo, s15
	s_cbranch_execnz .LBB7_1503
.LBB7_1504:                             ;   in Loop: Header=BB7_1443 Depth=1
	s_or_b32 exec_lo, exec_lo, s14
	global_load_dwordx2 v[6:7], v3, s[26:27] offset:16
	s_mov_b32 s15, exec_lo
	s_mov_b32 s14, exec_lo
	v_mbcnt_lo_u32_b32 v2, s15, 0
	v_cmpx_eq_u32_e32 0, v2
	s_cbranch_execz .LBB7_1506
; %bb.1505:                             ;   in Loop: Header=BB7_1443 Depth=1
	s_bcnt1_i32_b32 s15, s15
	v_mov_b32_e32 v2, s15
	s_waitcnt vmcnt(0)
	global_atomic_add_x2 v[6:7], v[2:3], off offset:8
.LBB7_1506:                             ;   in Loop: Header=BB7_1443 Depth=1
	s_or_b32 exec_lo, exec_lo, s14
	s_waitcnt vmcnt(0)
	global_load_dwordx2 v[8:9], v[6:7], off offset:16
	s_waitcnt vmcnt(0)
	v_cmp_eq_u64_e32 vcc_lo, 0, v[8:9]
	s_cbranch_vccnz .LBB7_1508
; %bb.1507:                             ;   in Loop: Header=BB7_1443 Depth=1
	global_load_dword v2, v[6:7], off offset:24
	s_waitcnt vmcnt(0)
	v_and_b32_e32 v6, 0x7fffff, v2
	s_waitcnt_vscnt null, 0x0
	global_store_dwordx2 v[8:9], v[2:3], off
	v_readfirstlane_b32 m0, v6
	s_sendmsg sendmsg(MSG_INTERRUPT)
.LBB7_1508:                             ;   in Loop: Header=BB7_1443 Depth=1
	s_or_b32 exec_lo, exec_lo, s5
	v_add_co_u32 v6, vcc_lo, v24, v37
	v_add_co_ci_u32_e32 v7, vcc_lo, 0, v25, vcc_lo
	s_branch .LBB7_1512
	.p2align	6
.LBB7_1509:                             ;   in Loop: Header=BB7_1512 Depth=2
	s_or_b32 exec_lo, exec_lo, s5
	v_readfirstlane_b32 s5, v2
	s_cmp_eq_u32 s5, 0
	s_cbranch_scc1 .LBB7_1511
; %bb.1510:                             ;   in Loop: Header=BB7_1512 Depth=2
	s_sleep 1
	s_cbranch_execnz .LBB7_1512
	s_branch .LBB7_1514
	.p2align	6
.LBB7_1511:                             ;   in Loop: Header=BB7_1443 Depth=1
	s_branch .LBB7_1514
.LBB7_1512:                             ;   Parent Loop BB7_1443 Depth=1
                                        ; =>  This Inner Loop Header: Depth=2
	v_mov_b32_e32 v2, 1
	s_and_saveexec_b32 s5, s4
	s_cbranch_execz .LBB7_1509
; %bb.1513:                             ;   in Loop: Header=BB7_1512 Depth=2
	global_load_dword v2, v[26:27], off offset:20 glc dlc
	s_waitcnt vmcnt(0)
	buffer_gl1_inv
	buffer_gl0_inv
	v_and_b32_e32 v2, 1, v2
	s_branch .LBB7_1509
.LBB7_1514:                             ;   in Loop: Header=BB7_1443 Depth=1
	global_load_dwordx4 v[6:9], v[6:7], off
	s_and_saveexec_b32 s5, s4
	s_cbranch_execz .LBB7_1442
; %bb.1515:                             ;   in Loop: Header=BB7_1443 Depth=1
	s_clause 0x2
	global_load_dwordx2 v[10:11], v3, s[26:27] offset:40
	global_load_dwordx2 v[14:15], v3, s[26:27] offset:24 glc dlc
	global_load_dwordx2 v[12:13], v3, s[26:27]
	s_waitcnt vmcnt(2)
	v_add_co_u32 v2, vcc_lo, v10, 1
	v_add_co_ci_u32_e32 v16, vcc_lo, 0, v11, vcc_lo
	v_add_co_u32 v8, vcc_lo, v2, s12
	v_add_co_ci_u32_e32 v9, vcc_lo, s13, v16, vcc_lo
	v_cmp_eq_u64_e32 vcc_lo, 0, v[8:9]
	v_cndmask_b32_e32 v9, v9, v16, vcc_lo
	v_cndmask_b32_e32 v8, v8, v2, vcc_lo
	v_and_b32_e32 v2, v9, v11
	v_and_b32_e32 v10, v8, v10
	v_mul_lo_u32 v2, v2, 24
	v_mul_hi_u32 v11, v10, 24
	v_mul_lo_u32 v10, v10, 24
	v_add_nc_u32_e32 v2, v11, v2
	s_waitcnt vmcnt(0)
	v_add_co_u32 v12, vcc_lo, v12, v10
	v_mov_b32_e32 v10, v14
	v_mov_b32_e32 v11, v15
	v_add_co_ci_u32_e32 v13, vcc_lo, v13, v2, vcc_lo
	global_store_dwordx2 v[12:13], v[14:15], off
	s_waitcnt_vscnt null, 0x0
	global_atomic_cmpswap_x2 v[10:11], v3, v[8:11], s[26:27] offset:24 glc
	s_waitcnt vmcnt(0)
	v_cmp_ne_u64_e32 vcc_lo, v[10:11], v[14:15]
	s_and_b32 exec_lo, exec_lo, vcc_lo
	s_cbranch_execz .LBB7_1442
; %bb.1516:                             ;   in Loop: Header=BB7_1443 Depth=1
	s_mov_b32 s4, 0
.LBB7_1517:                             ;   Parent Loop BB7_1443 Depth=1
                                        ; =>  This Inner Loop Header: Depth=2
	s_sleep 1
	global_store_dwordx2 v[12:13], v[10:11], off
	s_waitcnt_vscnt null, 0x0
	global_atomic_cmpswap_x2 v[14:15], v3, v[8:11], s[26:27] offset:24 glc
	s_waitcnt vmcnt(0)
	v_cmp_eq_u64_e32 vcc_lo, v[14:15], v[10:11]
	v_mov_b32_e32 v10, v14
	v_mov_b32_e32 v11, v15
	s_or_b32 s4, vcc_lo, s4
	s_andn2_b32 exec_lo, exec_lo, s4
	s_cbranch_execnz .LBB7_1517
	s_branch .LBB7_1442
.LBB7_1518:
	s_mov_b32 s4, 0
	s_branch .LBB7_1520
.LBB7_1519:
	s_mov_b32 s4, -1
.LBB7_1520:
	s_and_b32 vcc_lo, exec_lo, s4
	s_cbranch_vccz .LBB7_1548
; %bb.1521:
	v_readfirstlane_b32 s4, v38
	s_waitcnt vmcnt(0)
	v_mov_b32_e32 v8, 0
	v_mov_b32_e32 v9, 0
	v_cmp_eq_u32_e64 s4, s4, v38
	s_and_saveexec_b32 s5, s4
	s_cbranch_execz .LBB7_1527
; %bb.1522:
	v_mov_b32_e32 v2, 0
	s_mov_b32 s6, exec_lo
	global_load_dwordx2 v[5:6], v2, s[26:27] offset:24 glc dlc
	s_waitcnt vmcnt(0)
	buffer_gl1_inv
	buffer_gl0_inv
	s_clause 0x1
	global_load_dwordx2 v[3:4], v2, s[26:27] offset:40
	global_load_dwordx2 v[7:8], v2, s[26:27]
	s_waitcnt vmcnt(1)
	v_and_b32_e32 v4, v4, v6
	v_and_b32_e32 v3, v3, v5
	v_mul_lo_u32 v4, v4, 24
	v_mul_hi_u32 v9, v3, 24
	v_mul_lo_u32 v3, v3, 24
	v_add_nc_u32_e32 v4, v9, v4
	s_waitcnt vmcnt(0)
	v_add_co_u32 v3, vcc_lo, v7, v3
	v_add_co_ci_u32_e32 v4, vcc_lo, v8, v4, vcc_lo
	global_load_dwordx2 v[3:4], v[3:4], off glc dlc
	s_waitcnt vmcnt(0)
	global_atomic_cmpswap_x2 v[8:9], v2, v[3:6], s[26:27] offset:24 glc
	s_waitcnt vmcnt(0)
	buffer_gl1_inv
	buffer_gl0_inv
	v_cmpx_ne_u64_e64 v[8:9], v[5:6]
	s_cbranch_execz .LBB7_1526
; %bb.1523:
	s_mov_b32 s7, 0
.LBB7_1524:                             ; =>This Inner Loop Header: Depth=1
	s_sleep 1
	s_clause 0x1
	global_load_dwordx2 v[3:4], v2, s[26:27] offset:40
	global_load_dwordx2 v[10:11], v2, s[26:27]
	v_mov_b32_e32 v5, v8
	v_mov_b32_e32 v6, v9
	s_waitcnt vmcnt(1)
	v_and_b32_e32 v3, v3, v5
	v_and_b32_e32 v4, v4, v6
	s_waitcnt vmcnt(0)
	v_mad_u64_u32 v[7:8], null, v3, 24, v[10:11]
	v_mov_b32_e32 v3, v8
	v_mad_u64_u32 v[3:4], null, v4, 24, v[3:4]
	v_mov_b32_e32 v8, v3
	global_load_dwordx2 v[3:4], v[7:8], off glc dlc
	s_waitcnt vmcnt(0)
	global_atomic_cmpswap_x2 v[8:9], v2, v[3:6], s[26:27] offset:24 glc
	s_waitcnt vmcnt(0)
	buffer_gl1_inv
	buffer_gl0_inv
	v_cmp_eq_u64_e32 vcc_lo, v[8:9], v[5:6]
	s_or_b32 s7, vcc_lo, s7
	s_andn2_b32 exec_lo, exec_lo, s7
	s_cbranch_execnz .LBB7_1524
; %bb.1525:
	s_or_b32 exec_lo, exec_lo, s7
.LBB7_1526:
	s_or_b32 exec_lo, exec_lo, s6
.LBB7_1527:
	s_or_b32 exec_lo, exec_lo, s5
	v_mov_b32_e32 v2, 0
	v_readfirstlane_b32 s6, v8
	v_readfirstlane_b32 s7, v9
	s_mov_b32 s5, exec_lo
	s_clause 0x1
	global_load_dwordx2 v[10:11], v2, s[26:27] offset:40
	global_load_dwordx4 v[4:7], v2, s[26:27]
	s_waitcnt vmcnt(1)
	v_readfirstlane_b32 s8, v10
	v_readfirstlane_b32 s9, v11
	s_and_b64 s[8:9], s[6:7], s[8:9]
	s_mul_i32 s10, s9, 24
	s_mul_hi_u32 s11, s8, 24
	s_mul_i32 s12, s8, 24
	s_add_i32 s11, s11, s10
	s_waitcnt vmcnt(0)
	v_add_co_u32 v8, vcc_lo, v4, s12
	v_add_co_ci_u32_e32 v9, vcc_lo, s11, v5, vcc_lo
	s_and_saveexec_b32 s10, s4
	s_cbranch_execz .LBB7_1529
; %bb.1528:
	v_mov_b32_e32 v10, s5
	v_mov_b32_e32 v11, v2
	;; [unrolled: 1-line block ×4, first 2 shown]
	global_store_dwordx4 v[8:9], v[10:13], off offset:8
.LBB7_1529:
	s_or_b32 exec_lo, exec_lo, s10
	s_lshl_b64 s[8:9], s[8:9], 12
	v_and_or_b32 v0, 0xffffff1d, v0, 34
	v_add_co_u32 v6, vcc_lo, v6, s8
	v_add_co_ci_u32_e32 v7, vcc_lo, s9, v7, vcc_lo
	s_mov_b32 s8, 0
	v_mov_b32_e32 v3, v2
	s_mov_b32 s11, s8
	s_mov_b32 s9, s8
	;; [unrolled: 1-line block ×3, first 2 shown]
	v_readfirstlane_b32 s12, v6
	v_readfirstlane_b32 s13, v7
	v_mov_b32_e32 v13, s11
	v_mov_b32_e32 v12, s10
	;; [unrolled: 1-line block ×4, first 2 shown]
	global_store_dwordx4 v37, v[0:3], s[12:13]
	global_store_dwordx4 v37, v[10:13], s[12:13] offset:16
	global_store_dwordx4 v37, v[10:13], s[12:13] offset:32
	;; [unrolled: 1-line block ×3, first 2 shown]
	s_and_saveexec_b32 s5, s4
	s_cbranch_execz .LBB7_1537
; %bb.1530:
	v_mov_b32_e32 v6, 0
	v_mov_b32_e32 v10, s6
	;; [unrolled: 1-line block ×3, first 2 shown]
	s_clause 0x1
	global_load_dwordx2 v[12:13], v6, s[26:27] offset:32 glc dlc
	global_load_dwordx2 v[0:1], v6, s[26:27] offset:40
	s_waitcnt vmcnt(0)
	v_readfirstlane_b32 s8, v0
	v_readfirstlane_b32 s9, v1
	s_and_b64 s[8:9], s[8:9], s[6:7]
	s_mul_i32 s9, s9, 24
	s_mul_hi_u32 s10, s8, 24
	s_mul_i32 s8, s8, 24
	s_add_i32 s10, s10, s9
	v_add_co_u32 v4, vcc_lo, v4, s8
	v_add_co_ci_u32_e32 v5, vcc_lo, s10, v5, vcc_lo
	s_mov_b32 s8, exec_lo
	global_store_dwordx2 v[4:5], v[12:13], off
	s_waitcnt_vscnt null, 0x0
	global_atomic_cmpswap_x2 v[2:3], v6, v[10:13], s[26:27] offset:32 glc
	s_waitcnt vmcnt(0)
	v_cmpx_ne_u64_e64 v[2:3], v[12:13]
	s_cbranch_execz .LBB7_1533
; %bb.1531:
	s_mov_b32 s9, 0
.LBB7_1532:                             ; =>This Inner Loop Header: Depth=1
	v_mov_b32_e32 v0, s6
	v_mov_b32_e32 v1, s7
	s_sleep 1
	global_store_dwordx2 v[4:5], v[2:3], off
	s_waitcnt_vscnt null, 0x0
	global_atomic_cmpswap_x2 v[0:1], v6, v[0:3], s[26:27] offset:32 glc
	s_waitcnt vmcnt(0)
	v_cmp_eq_u64_e32 vcc_lo, v[0:1], v[2:3]
	v_mov_b32_e32 v3, v1
	v_mov_b32_e32 v2, v0
	s_or_b32 s9, vcc_lo, s9
	s_andn2_b32 exec_lo, exec_lo, s9
	s_cbranch_execnz .LBB7_1532
.LBB7_1533:
	s_or_b32 exec_lo, exec_lo, s8
	v_mov_b32_e32 v3, 0
	s_mov_b32 s9, exec_lo
	s_mov_b32 s8, exec_lo
	v_mbcnt_lo_u32_b32 v2, s9, 0
	global_load_dwordx2 v[0:1], v3, s[26:27] offset:16
	v_cmpx_eq_u32_e32 0, v2
	s_cbranch_execz .LBB7_1535
; %bb.1534:
	s_bcnt1_i32_b32 s9, s9
	v_mov_b32_e32 v2, s9
	s_waitcnt vmcnt(0)
	global_atomic_add_x2 v[0:1], v[2:3], off offset:8
.LBB7_1535:
	s_or_b32 exec_lo, exec_lo, s8
	s_waitcnt vmcnt(0)
	global_load_dwordx2 v[2:3], v[0:1], off offset:16
	s_waitcnt vmcnt(0)
	v_cmp_eq_u64_e32 vcc_lo, 0, v[2:3]
	s_cbranch_vccnz .LBB7_1537
; %bb.1536:
	global_load_dword v0, v[0:1], off offset:24
	v_mov_b32_e32 v1, 0
	s_waitcnt vmcnt(0)
	v_and_b32_e32 v4, 0x7fffff, v0
	s_waitcnt_vscnt null, 0x0
	global_store_dwordx2 v[2:3], v[0:1], off
	v_readfirstlane_b32 m0, v4
	s_sendmsg sendmsg(MSG_INTERRUPT)
.LBB7_1537:
	s_or_b32 exec_lo, exec_lo, s5
	s_branch .LBB7_1541
	.p2align	6
.LBB7_1538:                             ;   in Loop: Header=BB7_1541 Depth=1
	s_or_b32 exec_lo, exec_lo, s5
	v_readfirstlane_b32 s5, v0
	s_cmp_eq_u32 s5, 0
	s_cbranch_scc1 .LBB7_1540
; %bb.1539:                             ;   in Loop: Header=BB7_1541 Depth=1
	s_sleep 1
	s_cbranch_execnz .LBB7_1541
	s_branch .LBB7_1543
.LBB7_1540:
	s_branch .LBB7_1543
.LBB7_1541:                             ; =>This Inner Loop Header: Depth=1
	v_mov_b32_e32 v0, 1
	s_and_saveexec_b32 s5, s4
	s_cbranch_execz .LBB7_1538
; %bb.1542:                             ;   in Loop: Header=BB7_1541 Depth=1
	global_load_dword v0, v[8:9], off offset:20 glc dlc
	s_waitcnt vmcnt(0)
	buffer_gl1_inv
	buffer_gl0_inv
	v_and_b32_e32 v0, 1, v0
	s_branch .LBB7_1538
.LBB7_1543:
	s_and_saveexec_b32 s5, s4
	s_cbranch_execz .LBB7_1547
; %bb.1544:
	v_mov_b32_e32 v6, 0
	s_clause 0x2
	global_load_dwordx2 v[2:3], v6, s[26:27] offset:40
	global_load_dwordx2 v[7:8], v6, s[26:27] offset:24 glc dlc
	global_load_dwordx2 v[4:5], v6, s[26:27]
	s_waitcnt vmcnt(2)
	v_add_co_u32 v9, vcc_lo, v2, 1
	v_add_co_ci_u32_e32 v10, vcc_lo, 0, v3, vcc_lo
	v_add_co_u32 v0, vcc_lo, v9, s6
	v_add_co_ci_u32_e32 v1, vcc_lo, s7, v10, vcc_lo
	v_cmp_eq_u64_e32 vcc_lo, 0, v[0:1]
	v_cndmask_b32_e32 v1, v1, v10, vcc_lo
	v_cndmask_b32_e32 v0, v0, v9, vcc_lo
	v_and_b32_e32 v3, v1, v3
	v_and_b32_e32 v2, v0, v2
	v_mul_lo_u32 v3, v3, 24
	v_mul_hi_u32 v9, v2, 24
	v_mul_lo_u32 v2, v2, 24
	v_add_nc_u32_e32 v3, v9, v3
	s_waitcnt vmcnt(0)
	v_add_co_u32 v4, vcc_lo, v4, v2
	v_mov_b32_e32 v2, v7
	v_add_co_ci_u32_e32 v5, vcc_lo, v5, v3, vcc_lo
	v_mov_b32_e32 v3, v8
	global_store_dwordx2 v[4:5], v[7:8], off
	s_waitcnt_vscnt null, 0x0
	global_atomic_cmpswap_x2 v[2:3], v6, v[0:3], s[26:27] offset:24 glc
	s_waitcnt vmcnt(0)
	v_cmp_ne_u64_e32 vcc_lo, v[2:3], v[7:8]
	s_and_b32 exec_lo, exec_lo, vcc_lo
	s_cbranch_execz .LBB7_1547
; %bb.1545:
	s_mov_b32 s4, 0
.LBB7_1546:                             ; =>This Inner Loop Header: Depth=1
	s_sleep 1
	global_store_dwordx2 v[4:5], v[2:3], off
	s_waitcnt_vscnt null, 0x0
	global_atomic_cmpswap_x2 v[7:8], v6, v[0:3], s[26:27] offset:24 glc
	s_waitcnt vmcnt(0)
	v_cmp_eq_u64_e32 vcc_lo, v[7:8], v[2:3]
	v_mov_b32_e32 v2, v7
	v_mov_b32_e32 v3, v8
	s_or_b32 s4, vcc_lo, s4
	s_andn2_b32 exec_lo, exec_lo, s4
	s_cbranch_execnz .LBB7_1546
.LBB7_1547:
	s_or_b32 exec_lo, exec_lo, s5
.LBB7_1548:
	s_add_u32 s24, s44, 16
	s_addc_u32 s25, s45, 0
	s_getpc_b64 s[4:5]
	s_add_u32 s4, s4, .str@rel32@lo+4
	s_addc_u32 s5, s5, .str@rel32@hi+12
	s_waitcnt vmcnt(0)
	v_mov_b32_e32 v0, s4
	v_mov_b32_e32 v1, s5
	s_mov_b64 s[8:9], s[24:25]
	s_mov_b64 s[34:35], src_private_base
	s_getpc_b64 s[36:37]
	s_add_u32 s36, s36, _ZNK8migraphx13basic_printerIZNS_4coutEvEUlT_E_ElsEPKc@rel32@lo+4
	s_addc_u32 s37, s37, _ZNK8migraphx13basic_printerIZNS_4coutEvEUlT_E_ElsEPKc@rel32@hi+12
	s_swappc_b64 s[30:31], s[36:37]
	s_getpc_b64 s[4:5]
	s_add_u32 s4, s4, .str.3@rel32@lo+4
	s_addc_u32 s5, s5, .str.3@rel32@hi+12
	v_mov_b32_e32 v0, s4
	v_mov_b32_e32 v1, s5
	s_mov_b64 s[8:9], s[24:25]
	s_swappc_b64 s[30:31], s[36:37]
	v_mov_b32_e32 v0, v36
	v_mov_b32_e32 v1, s35
	s_mov_b64 s[8:9], s[24:25]
	s_getpc_b64 s[38:39]
	s_add_u32 s38, s38, _ZN8migraphx4test12print_streamIKNS_13basic_printerIZNS_4coutEvEUlT_E_EEPiEEvRS3_RKT0_@rel32@lo+4
	s_addc_u32 s39, s39, _ZN8migraphx4test12print_streamIKNS_13basic_printerIZNS_4coutEvEUlT_E_EEPiEEvRS3_RKT0_@rel32@hi+12
	s_swappc_b64 s[30:31], s[38:39]
	s_getpc_b64 s[22:23]
	s_add_u32 s22, s22, .str.8@rel32@lo+4
	s_addc_u32 s23, s23, .str.8@rel32@hi+12
	v_mov_b32_e32 v0, s22
	v_mov_b32_e32 v1, s23
	s_mov_b64 s[8:9], s[24:25]
	s_swappc_b64 s[30:31], s[36:37]
	s_getpc_b64 s[4:5]
	s_add_u32 s4, s4, .str.10@rel32@lo+4
	s_addc_u32 s5, s5, .str.10@rel32@hi+12
	v_mov_b32_e32 v0, s4
	v_mov_b32_e32 v1, s5
	s_mov_b64 s[8:9], s[24:25]
	s_swappc_b64 s[30:31], s[36:37]
	v_mov_b32_e32 v0, s22
	v_mov_b32_e32 v1, s23
	s_mov_b64 s[8:9], s[24:25]
	s_swappc_b64 s[30:31], s[36:37]
	;; [unrolled: 4-line block ×3, first 2 shown]
	s_getpc_b64 s[4:5]
	s_add_u32 s4, s4, .str.4@rel32@lo+4
	s_addc_u32 s5, s5, .str.4@rel32@hi+12
	v_mov_b32_e32 v0, s4
	v_mov_b32_e32 v1, s5
	s_mov_b64 s[8:9], s[24:25]
	s_swappc_b64 s[30:31], s[36:37]
	v_readfirstlane_b32 s4, v38
	v_mov_b32_e32 v6, 0
	v_mov_b32_e32 v7, 0
	v_cmp_eq_u32_e64 s4, s4, v38
	s_and_saveexec_b32 s5, s4
	s_cbranch_execz .LBB7_1554
; %bb.1549:
	v_mov_b32_e32 v0, 0
	s_mov_b32 s6, exec_lo
	global_load_dwordx2 v[3:4], v0, s[26:27] offset:24 glc dlc
	s_waitcnt vmcnt(0)
	buffer_gl1_inv
	buffer_gl0_inv
	s_clause 0x1
	global_load_dwordx2 v[1:2], v0, s[26:27] offset:40
	global_load_dwordx2 v[5:6], v0, s[26:27]
	s_waitcnt vmcnt(1)
	v_and_b32_e32 v2, v2, v4
	v_and_b32_e32 v1, v1, v3
	v_mul_lo_u32 v2, v2, 24
	v_mul_hi_u32 v7, v1, 24
	v_mul_lo_u32 v1, v1, 24
	v_add_nc_u32_e32 v2, v7, v2
	s_waitcnt vmcnt(0)
	v_add_co_u32 v1, vcc_lo, v5, v1
	v_add_co_ci_u32_e32 v2, vcc_lo, v6, v2, vcc_lo
	global_load_dwordx2 v[1:2], v[1:2], off glc dlc
	s_waitcnt vmcnt(0)
	global_atomic_cmpswap_x2 v[6:7], v0, v[1:4], s[26:27] offset:24 glc
	s_waitcnt vmcnt(0)
	buffer_gl1_inv
	buffer_gl0_inv
	v_cmpx_ne_u64_e64 v[6:7], v[3:4]
	s_cbranch_execz .LBB7_1553
; %bb.1550:
	s_mov_b32 s7, 0
.LBB7_1551:                             ; =>This Inner Loop Header: Depth=1
	s_sleep 1
	s_clause 0x1
	global_load_dwordx2 v[1:2], v0, s[26:27] offset:40
	global_load_dwordx2 v[8:9], v0, s[26:27]
	v_mov_b32_e32 v3, v6
	v_mov_b32_e32 v4, v7
	s_waitcnt vmcnt(1)
	v_and_b32_e32 v1, v1, v3
	v_and_b32_e32 v2, v2, v4
	s_waitcnt vmcnt(0)
	v_mad_u64_u32 v[5:6], null, v1, 24, v[8:9]
	v_mov_b32_e32 v1, v6
	v_mad_u64_u32 v[1:2], null, v2, 24, v[1:2]
	v_mov_b32_e32 v6, v1
	global_load_dwordx2 v[1:2], v[5:6], off glc dlc
	s_waitcnt vmcnt(0)
	global_atomic_cmpswap_x2 v[6:7], v0, v[1:4], s[26:27] offset:24 glc
	s_waitcnt vmcnt(0)
	buffer_gl1_inv
	buffer_gl0_inv
	v_cmp_eq_u64_e32 vcc_lo, v[6:7], v[3:4]
	s_or_b32 s7, vcc_lo, s7
	s_andn2_b32 exec_lo, exec_lo, s7
	s_cbranch_execnz .LBB7_1551
; %bb.1552:
	s_or_b32 exec_lo, exec_lo, s7
.LBB7_1553:
	s_or_b32 exec_lo, exec_lo, s6
.LBB7_1554:
	s_or_b32 exec_lo, exec_lo, s5
	v_mov_b32_e32 v5, 0
	v_readfirstlane_b32 s6, v6
	v_readfirstlane_b32 s7, v7
	s_mov_b32 s5, exec_lo
	s_clause 0x1
	global_load_dwordx2 v[8:9], v5, s[26:27] offset:40
	global_load_dwordx4 v[0:3], v5, s[26:27]
	s_waitcnt vmcnt(1)
	v_readfirstlane_b32 s8, v8
	v_readfirstlane_b32 s9, v9
	s_and_b64 s[8:9], s[6:7], s[8:9]
	s_mul_i32 s10, s9, 24
	s_mul_hi_u32 s11, s8, 24
	s_mul_i32 s12, s8, 24
	s_add_i32 s11, s11, s10
	s_waitcnt vmcnt(0)
	v_add_co_u32 v8, vcc_lo, v0, s12
	v_add_co_ci_u32_e32 v9, vcc_lo, s11, v1, vcc_lo
	s_and_saveexec_b32 s10, s4
	s_cbranch_execz .LBB7_1556
; %bb.1555:
	v_mov_b32_e32 v4, s5
	v_mov_b32_e32 v6, 2
	;; [unrolled: 1-line block ×3, first 2 shown]
	global_store_dwordx4 v[8:9], v[4:7], off offset:8
.LBB7_1556:
	s_or_b32 exec_lo, exec_lo, s10
	s_lshl_b64 s[8:9], s[8:9], 12
	v_mov_b32_e32 v4, 33
	v_add_co_u32 v2, vcc_lo, v2, s8
	v_add_co_ci_u32_e32 v3, vcc_lo, s9, v3, vcc_lo
	s_mov_b32 s8, 0
	v_add_co_u32 v10, vcc_lo, v2, v37
	s_mov_b32 s11, s8
	s_mov_b32 s9, s8
	;; [unrolled: 1-line block ×3, first 2 shown]
	v_mov_b32_e32 v6, v5
	v_mov_b32_e32 v7, v5
	v_readfirstlane_b32 s12, v2
	v_readfirstlane_b32 s13, v3
	v_mov_b32_e32 v15, s11
	v_add_co_ci_u32_e32 v11, vcc_lo, 0, v3, vcc_lo
	v_mov_b32_e32 v14, s10
	v_mov_b32_e32 v13, s9
	;; [unrolled: 1-line block ×3, first 2 shown]
	global_store_dwordx4 v37, v[4:7], s[12:13]
	global_store_dwordx4 v37, v[12:15], s[12:13] offset:16
	global_store_dwordx4 v37, v[12:15], s[12:13] offset:32
	;; [unrolled: 1-line block ×3, first 2 shown]
	s_and_saveexec_b32 s5, s4
	s_cbranch_execz .LBB7_1564
; %bb.1557:
	v_mov_b32_e32 v6, 0
	v_mov_b32_e32 v12, s6
	;; [unrolled: 1-line block ×3, first 2 shown]
	s_clause 0x1
	global_load_dwordx2 v[14:15], v6, s[26:27] offset:32 glc dlc
	global_load_dwordx2 v[2:3], v6, s[26:27] offset:40
	s_waitcnt vmcnt(0)
	v_readfirstlane_b32 s8, v2
	v_readfirstlane_b32 s9, v3
	s_and_b64 s[8:9], s[8:9], s[6:7]
	s_mul_i32 s9, s9, 24
	s_mul_hi_u32 s10, s8, 24
	s_mul_i32 s8, s8, 24
	s_add_i32 s10, s10, s9
	v_add_co_u32 v4, vcc_lo, v0, s8
	v_add_co_ci_u32_e32 v5, vcc_lo, s10, v1, vcc_lo
	s_mov_b32 s8, exec_lo
	global_store_dwordx2 v[4:5], v[14:15], off
	s_waitcnt_vscnt null, 0x0
	global_atomic_cmpswap_x2 v[2:3], v6, v[12:15], s[26:27] offset:32 glc
	s_waitcnt vmcnt(0)
	v_cmpx_ne_u64_e64 v[2:3], v[14:15]
	s_cbranch_execz .LBB7_1560
; %bb.1558:
	s_mov_b32 s9, 0
.LBB7_1559:                             ; =>This Inner Loop Header: Depth=1
	v_mov_b32_e32 v0, s6
	v_mov_b32_e32 v1, s7
	s_sleep 1
	global_store_dwordx2 v[4:5], v[2:3], off
	s_waitcnt_vscnt null, 0x0
	global_atomic_cmpswap_x2 v[0:1], v6, v[0:3], s[26:27] offset:32 glc
	s_waitcnt vmcnt(0)
	v_cmp_eq_u64_e32 vcc_lo, v[0:1], v[2:3]
	v_mov_b32_e32 v3, v1
	v_mov_b32_e32 v2, v0
	s_or_b32 s9, vcc_lo, s9
	s_andn2_b32 exec_lo, exec_lo, s9
	s_cbranch_execnz .LBB7_1559
.LBB7_1560:
	s_or_b32 exec_lo, exec_lo, s8
	v_mov_b32_e32 v3, 0
	s_mov_b32 s9, exec_lo
	s_mov_b32 s8, exec_lo
	v_mbcnt_lo_u32_b32 v2, s9, 0
	global_load_dwordx2 v[0:1], v3, s[26:27] offset:16
	v_cmpx_eq_u32_e32 0, v2
	s_cbranch_execz .LBB7_1562
; %bb.1561:
	s_bcnt1_i32_b32 s9, s9
	v_mov_b32_e32 v2, s9
	s_waitcnt vmcnt(0)
	global_atomic_add_x2 v[0:1], v[2:3], off offset:8
.LBB7_1562:
	s_or_b32 exec_lo, exec_lo, s8
	s_waitcnt vmcnt(0)
	global_load_dwordx2 v[2:3], v[0:1], off offset:16
	s_waitcnt vmcnt(0)
	v_cmp_eq_u64_e32 vcc_lo, 0, v[2:3]
	s_cbranch_vccnz .LBB7_1564
; %bb.1563:
	global_load_dword v0, v[0:1], off offset:24
	v_mov_b32_e32 v1, 0
	s_waitcnt vmcnt(0)
	v_and_b32_e32 v4, 0x7fffff, v0
	s_waitcnt_vscnt null, 0x0
	global_store_dwordx2 v[2:3], v[0:1], off
	v_readfirstlane_b32 m0, v4
	s_sendmsg sendmsg(MSG_INTERRUPT)
.LBB7_1564:
	s_or_b32 exec_lo, exec_lo, s5
	s_branch .LBB7_1568
	.p2align	6
.LBB7_1565:                             ;   in Loop: Header=BB7_1568 Depth=1
	s_or_b32 exec_lo, exec_lo, s5
	v_readfirstlane_b32 s5, v0
	s_cmp_eq_u32 s5, 0
	s_cbranch_scc1 .LBB7_1567
; %bb.1566:                             ;   in Loop: Header=BB7_1568 Depth=1
	s_sleep 1
	s_cbranch_execnz .LBB7_1568
	s_branch .LBB7_1570
	.p2align	6
.LBB7_1567:
	s_branch .LBB7_1570
.LBB7_1568:                             ; =>This Inner Loop Header: Depth=1
	v_mov_b32_e32 v0, 1
	s_and_saveexec_b32 s5, s4
	s_cbranch_execz .LBB7_1565
; %bb.1569:                             ;   in Loop: Header=BB7_1568 Depth=1
	global_load_dword v0, v[8:9], off offset:20 glc dlc
	s_waitcnt vmcnt(0)
	buffer_gl1_inv
	buffer_gl0_inv
	v_and_b32_e32 v0, 1, v0
	s_branch .LBB7_1565
.LBB7_1570:
	global_load_dwordx2 v[0:1], v[10:11], off
	s_and_saveexec_b32 s5, s4
	s_cbranch_execz .LBB7_1574
; %bb.1571:
	v_mov_b32_e32 v8, 0
	s_clause 0x2
	global_load_dwordx2 v[4:5], v8, s[26:27] offset:40
	global_load_dwordx2 v[9:10], v8, s[26:27] offset:24 glc dlc
	global_load_dwordx2 v[6:7], v8, s[26:27]
	s_waitcnt vmcnt(2)
	v_add_co_u32 v11, vcc_lo, v4, 1
	v_add_co_ci_u32_e32 v12, vcc_lo, 0, v5, vcc_lo
	v_add_co_u32 v2, vcc_lo, v11, s6
	v_add_co_ci_u32_e32 v3, vcc_lo, s7, v12, vcc_lo
	v_cmp_eq_u64_e32 vcc_lo, 0, v[2:3]
	v_cndmask_b32_e32 v3, v3, v12, vcc_lo
	v_cndmask_b32_e32 v2, v2, v11, vcc_lo
	v_and_b32_e32 v5, v3, v5
	v_and_b32_e32 v4, v2, v4
	v_mul_lo_u32 v5, v5, 24
	v_mul_hi_u32 v11, v4, 24
	v_mul_lo_u32 v4, v4, 24
	v_add_nc_u32_e32 v5, v11, v5
	s_waitcnt vmcnt(0)
	v_add_co_u32 v6, vcc_lo, v6, v4
	v_mov_b32_e32 v4, v9
	v_add_co_ci_u32_e32 v7, vcc_lo, v7, v5, vcc_lo
	v_mov_b32_e32 v5, v10
	global_store_dwordx2 v[6:7], v[9:10], off
	s_waitcnt_vscnt null, 0x0
	global_atomic_cmpswap_x2 v[4:5], v8, v[2:5], s[26:27] offset:24 glc
	s_waitcnt vmcnt(0)
	v_cmp_ne_u64_e32 vcc_lo, v[4:5], v[9:10]
	s_and_b32 exec_lo, exec_lo, vcc_lo
	s_cbranch_execz .LBB7_1574
; %bb.1572:
	s_mov_b32 s4, 0
.LBB7_1573:                             ; =>This Inner Loop Header: Depth=1
	s_sleep 1
	global_store_dwordx2 v[6:7], v[4:5], off
	s_waitcnt_vscnt null, 0x0
	global_atomic_cmpswap_x2 v[9:10], v8, v[2:5], s[26:27] offset:24 glc
	s_waitcnt vmcnt(0)
	v_cmp_eq_u64_e32 vcc_lo, v[9:10], v[4:5]
	v_mov_b32_e32 v4, v9
	v_mov_b32_e32 v5, v10
	s_or_b32 s4, vcc_lo, s4
	s_andn2_b32 exec_lo, exec_lo, s4
	s_cbranch_execnz .LBB7_1573
.LBB7_1574:
	s_or_b32 exec_lo, exec_lo, s5
	s_and_b32 vcc_lo, exec_lo, s33
	s_cbranch_vccz .LBB7_1653
; %bb.1575:
	s_waitcnt vmcnt(0)
	v_and_b32_e32 v31, 2, v0
	v_mov_b32_e32 v6, 0
	v_and_b32_e32 v2, -3, v0
	v_mov_b32_e32 v3, v1
	v_mov_b32_e32 v7, 2
	;; [unrolled: 1-line block ×3, first 2 shown]
	s_mov_b64 s[8:9], 3
	s_getpc_b64 s[6:7]
	s_add_u32 s6, s6, .str.6@rel32@lo+4
	s_addc_u32 s7, s7, .str.6@rel32@hi+12
	s_branch .LBB7_1577
.LBB7_1576:                             ;   in Loop: Header=BB7_1577 Depth=1
	s_or_b32 exec_lo, exec_lo, s5
	s_sub_u32 s8, s8, s10
	s_subb_u32 s9, s9, s11
	s_add_u32 s6, s6, s10
	s_addc_u32 s7, s7, s11
	s_cmp_lg_u64 s[8:9], 0
	s_cbranch_scc0 .LBB7_1652
.LBB7_1577:                             ; =>This Loop Header: Depth=1
                                        ;     Child Loop BB7_1586 Depth 2
                                        ;     Child Loop BB7_1582 Depth 2
	;; [unrolled: 1-line block ×11, first 2 shown]
	v_cmp_lt_u64_e64 s4, s[8:9], 56
	v_cmp_gt_u64_e64 s5, s[8:9], 7
                                        ; implicit-def: $vgpr11_vgpr12
                                        ; implicit-def: $sgpr16
	s_and_b32 s4, s4, exec_lo
	s_cselect_b32 s11, s9, 0
	s_cselect_b32 s10, s8, 56
	s_and_b32 vcc_lo, exec_lo, s5
	s_mov_b32 s4, -1
	s_cbranch_vccz .LBB7_1584
; %bb.1578:                             ;   in Loop: Header=BB7_1577 Depth=1
	s_andn2_b32 vcc_lo, exec_lo, s4
	s_mov_b64 s[4:5], s[6:7]
	s_cbranch_vccz .LBB7_1588
.LBB7_1579:                             ;   in Loop: Header=BB7_1577 Depth=1
	s_cmp_gt_u32 s16, 7
	s_cbranch_scc1 .LBB7_1589
.LBB7_1580:                             ;   in Loop: Header=BB7_1577 Depth=1
	v_mov_b32_e32 v13, 0
	v_mov_b32_e32 v14, 0
	s_cmp_eq_u32 s16, 0
	s_cbranch_scc1 .LBB7_1583
; %bb.1581:                             ;   in Loop: Header=BB7_1577 Depth=1
	s_mov_b64 s[12:13], 0
	s_mov_b64 s[14:15], 0
.LBB7_1582:                             ;   Parent Loop BB7_1577 Depth=1
                                        ; =>  This Inner Loop Header: Depth=2
	s_add_u32 s18, s4, s14
	s_addc_u32 s19, s5, s15
	s_add_u32 s14, s14, 1
	global_load_ubyte v4, v6, s[18:19]
	s_addc_u32 s15, s15, 0
	s_waitcnt vmcnt(0)
	v_and_b32_e32 v5, 0xffff, v4
	v_lshlrev_b64 v[4:5], s12, v[5:6]
	s_add_u32 s12, s12, 8
	s_addc_u32 s13, s13, 0
	s_cmp_lg_u32 s16, s14
	v_or_b32_e32 v13, v4, v13
	v_or_b32_e32 v14, v5, v14
	s_cbranch_scc1 .LBB7_1582
.LBB7_1583:                             ;   in Loop: Header=BB7_1577 Depth=1
	s_mov_b32 s17, 0
	s_cbranch_execz .LBB7_1590
	s_branch .LBB7_1591
.LBB7_1584:                             ;   in Loop: Header=BB7_1577 Depth=1
	v_mov_b32_e32 v11, 0
	v_mov_b32_e32 v12, 0
	s_cmp_eq_u64 s[8:9], 0
	s_mov_b64 s[4:5], 0
	s_cbranch_scc1 .LBB7_1587
; %bb.1585:                             ;   in Loop: Header=BB7_1577 Depth=1
	v_mov_b32_e32 v11, 0
	v_mov_b32_e32 v12, 0
	s_lshl_b64 s[12:13], s[10:11], 3
	s_mov_b64 s[14:15], s[6:7]
.LBB7_1586:                             ;   Parent Loop BB7_1577 Depth=1
                                        ; =>  This Inner Loop Header: Depth=2
	global_load_ubyte v4, v6, s[14:15]
	s_waitcnt vmcnt(0)
	v_and_b32_e32 v5, 0xffff, v4
	v_lshlrev_b64 v[4:5], s4, v[5:6]
	s_add_u32 s4, s4, 8
	s_addc_u32 s5, s5, 0
	s_add_u32 s14, s14, 1
	s_addc_u32 s15, s15, 0
	s_cmp_lg_u32 s12, s4
	v_or_b32_e32 v11, v4, v11
	v_or_b32_e32 v12, v5, v12
	s_cbranch_scc1 .LBB7_1586
.LBB7_1587:                             ;   in Loop: Header=BB7_1577 Depth=1
	s_mov_b32 s16, 0
	s_mov_b64 s[4:5], s[6:7]
	s_cbranch_execnz .LBB7_1579
.LBB7_1588:                             ;   in Loop: Header=BB7_1577 Depth=1
	global_load_dwordx2 v[11:12], v6, s[6:7]
	s_add_i32 s16, s10, -8
	s_add_u32 s4, s6, 8
	s_addc_u32 s5, s7, 0
	s_cmp_gt_u32 s16, 7
	s_cbranch_scc0 .LBB7_1580
.LBB7_1589:                             ;   in Loop: Header=BB7_1577 Depth=1
                                        ; implicit-def: $vgpr13_vgpr14
                                        ; implicit-def: $sgpr17
.LBB7_1590:                             ;   in Loop: Header=BB7_1577 Depth=1
	global_load_dwordx2 v[13:14], v6, s[4:5]
	s_add_i32 s17, s16, -8
	s_add_u32 s4, s4, 8
	s_addc_u32 s5, s5, 0
.LBB7_1591:                             ;   in Loop: Header=BB7_1577 Depth=1
	s_cmp_gt_u32 s17, 7
	s_cbranch_scc1 .LBB7_1596
; %bb.1592:                             ;   in Loop: Header=BB7_1577 Depth=1
	v_mov_b32_e32 v15, 0
	v_mov_b32_e32 v16, 0
	s_cmp_eq_u32 s17, 0
	s_cbranch_scc1 .LBB7_1595
; %bb.1593:                             ;   in Loop: Header=BB7_1577 Depth=1
	s_mov_b64 s[12:13], 0
	s_mov_b64 s[14:15], 0
.LBB7_1594:                             ;   Parent Loop BB7_1577 Depth=1
                                        ; =>  This Inner Loop Header: Depth=2
	s_add_u32 s18, s4, s14
	s_addc_u32 s19, s5, s15
	s_add_u32 s14, s14, 1
	global_load_ubyte v4, v6, s[18:19]
	s_addc_u32 s15, s15, 0
	s_waitcnt vmcnt(0)
	v_and_b32_e32 v5, 0xffff, v4
	v_lshlrev_b64 v[4:5], s12, v[5:6]
	s_add_u32 s12, s12, 8
	s_addc_u32 s13, s13, 0
	s_cmp_lg_u32 s17, s14
	v_or_b32_e32 v15, v4, v15
	v_or_b32_e32 v16, v5, v16
	s_cbranch_scc1 .LBB7_1594
.LBB7_1595:                             ;   in Loop: Header=BB7_1577 Depth=1
	s_mov_b32 s16, 0
	s_cbranch_execz .LBB7_1597
	s_branch .LBB7_1598
.LBB7_1596:                             ;   in Loop: Header=BB7_1577 Depth=1
                                        ; implicit-def: $sgpr16
.LBB7_1597:                             ;   in Loop: Header=BB7_1577 Depth=1
	global_load_dwordx2 v[15:16], v6, s[4:5]
	s_add_i32 s16, s17, -8
	s_add_u32 s4, s4, 8
	s_addc_u32 s5, s5, 0
.LBB7_1598:                             ;   in Loop: Header=BB7_1577 Depth=1
	s_cmp_gt_u32 s16, 7
	s_cbranch_scc1 .LBB7_1603
; %bb.1599:                             ;   in Loop: Header=BB7_1577 Depth=1
	v_mov_b32_e32 v17, 0
	v_mov_b32_e32 v18, 0
	s_cmp_eq_u32 s16, 0
	s_cbranch_scc1 .LBB7_1602
; %bb.1600:                             ;   in Loop: Header=BB7_1577 Depth=1
	s_mov_b64 s[12:13], 0
	s_mov_b64 s[14:15], 0
.LBB7_1601:                             ;   Parent Loop BB7_1577 Depth=1
                                        ; =>  This Inner Loop Header: Depth=2
	s_add_u32 s18, s4, s14
	s_addc_u32 s19, s5, s15
	s_add_u32 s14, s14, 1
	global_load_ubyte v4, v6, s[18:19]
	s_addc_u32 s15, s15, 0
	s_waitcnt vmcnt(0)
	v_and_b32_e32 v5, 0xffff, v4
	v_lshlrev_b64 v[4:5], s12, v[5:6]
	s_add_u32 s12, s12, 8
	s_addc_u32 s13, s13, 0
	s_cmp_lg_u32 s16, s14
	v_or_b32_e32 v17, v4, v17
	v_or_b32_e32 v18, v5, v18
	s_cbranch_scc1 .LBB7_1601
.LBB7_1602:                             ;   in Loop: Header=BB7_1577 Depth=1
	s_mov_b32 s17, 0
	s_cbranch_execz .LBB7_1604
	s_branch .LBB7_1605
.LBB7_1603:                             ;   in Loop: Header=BB7_1577 Depth=1
                                        ; implicit-def: $vgpr17_vgpr18
                                        ; implicit-def: $sgpr17
.LBB7_1604:                             ;   in Loop: Header=BB7_1577 Depth=1
	global_load_dwordx2 v[17:18], v6, s[4:5]
	s_add_i32 s17, s16, -8
	s_add_u32 s4, s4, 8
	s_addc_u32 s5, s5, 0
.LBB7_1605:                             ;   in Loop: Header=BB7_1577 Depth=1
	s_cmp_gt_u32 s17, 7
	s_cbranch_scc1 .LBB7_1610
; %bb.1606:                             ;   in Loop: Header=BB7_1577 Depth=1
	v_mov_b32_e32 v19, 0
	v_mov_b32_e32 v20, 0
	s_cmp_eq_u32 s17, 0
	s_cbranch_scc1 .LBB7_1609
; %bb.1607:                             ;   in Loop: Header=BB7_1577 Depth=1
	s_mov_b64 s[12:13], 0
	s_mov_b64 s[14:15], 0
.LBB7_1608:                             ;   Parent Loop BB7_1577 Depth=1
                                        ; =>  This Inner Loop Header: Depth=2
	s_add_u32 s18, s4, s14
	s_addc_u32 s19, s5, s15
	s_add_u32 s14, s14, 1
	global_load_ubyte v4, v6, s[18:19]
	s_addc_u32 s15, s15, 0
	s_waitcnt vmcnt(0)
	v_and_b32_e32 v5, 0xffff, v4
	v_lshlrev_b64 v[4:5], s12, v[5:6]
	s_add_u32 s12, s12, 8
	s_addc_u32 s13, s13, 0
	s_cmp_lg_u32 s17, s14
	v_or_b32_e32 v19, v4, v19
	v_or_b32_e32 v20, v5, v20
	s_cbranch_scc1 .LBB7_1608
.LBB7_1609:                             ;   in Loop: Header=BB7_1577 Depth=1
	s_mov_b32 s16, 0
	s_cbranch_execz .LBB7_1611
	s_branch .LBB7_1612
.LBB7_1610:                             ;   in Loop: Header=BB7_1577 Depth=1
                                        ; implicit-def: $sgpr16
.LBB7_1611:                             ;   in Loop: Header=BB7_1577 Depth=1
	global_load_dwordx2 v[19:20], v6, s[4:5]
	s_add_i32 s16, s17, -8
	s_add_u32 s4, s4, 8
	s_addc_u32 s5, s5, 0
.LBB7_1612:                             ;   in Loop: Header=BB7_1577 Depth=1
	s_cmp_gt_u32 s16, 7
	s_cbranch_scc1 .LBB7_1617
; %bb.1613:                             ;   in Loop: Header=BB7_1577 Depth=1
	v_mov_b32_e32 v21, 0
	v_mov_b32_e32 v22, 0
	s_cmp_eq_u32 s16, 0
	s_cbranch_scc1 .LBB7_1616
; %bb.1614:                             ;   in Loop: Header=BB7_1577 Depth=1
	s_mov_b64 s[12:13], 0
	s_mov_b64 s[14:15], 0
.LBB7_1615:                             ;   Parent Loop BB7_1577 Depth=1
                                        ; =>  This Inner Loop Header: Depth=2
	s_add_u32 s18, s4, s14
	s_addc_u32 s19, s5, s15
	s_add_u32 s14, s14, 1
	global_load_ubyte v4, v6, s[18:19]
	s_addc_u32 s15, s15, 0
	s_waitcnt vmcnt(0)
	v_and_b32_e32 v5, 0xffff, v4
	v_lshlrev_b64 v[4:5], s12, v[5:6]
	s_add_u32 s12, s12, 8
	s_addc_u32 s13, s13, 0
	s_cmp_lg_u32 s16, s14
	v_or_b32_e32 v21, v4, v21
	v_or_b32_e32 v22, v5, v22
	s_cbranch_scc1 .LBB7_1615
.LBB7_1616:                             ;   in Loop: Header=BB7_1577 Depth=1
	s_mov_b32 s17, 0
	s_cbranch_execz .LBB7_1618
	s_branch .LBB7_1619
.LBB7_1617:                             ;   in Loop: Header=BB7_1577 Depth=1
                                        ; implicit-def: $vgpr21_vgpr22
                                        ; implicit-def: $sgpr17
.LBB7_1618:                             ;   in Loop: Header=BB7_1577 Depth=1
	global_load_dwordx2 v[21:22], v6, s[4:5]
	s_add_i32 s17, s16, -8
	s_add_u32 s4, s4, 8
	s_addc_u32 s5, s5, 0
.LBB7_1619:                             ;   in Loop: Header=BB7_1577 Depth=1
	s_cmp_gt_u32 s17, 7
	s_cbranch_scc1 .LBB7_1624
; %bb.1620:                             ;   in Loop: Header=BB7_1577 Depth=1
	v_mov_b32_e32 v23, 0
	v_mov_b32_e32 v24, 0
	s_cmp_eq_u32 s17, 0
	s_cbranch_scc1 .LBB7_1623
; %bb.1621:                             ;   in Loop: Header=BB7_1577 Depth=1
	s_mov_b64 s[12:13], 0
	s_mov_b64 s[14:15], s[4:5]
.LBB7_1622:                             ;   Parent Loop BB7_1577 Depth=1
                                        ; =>  This Inner Loop Header: Depth=2
	global_load_ubyte v4, v6, s[14:15]
	s_add_i32 s17, s17, -1
	s_waitcnt vmcnt(0)
	v_and_b32_e32 v5, 0xffff, v4
	v_lshlrev_b64 v[4:5], s12, v[5:6]
	s_add_u32 s12, s12, 8
	s_addc_u32 s13, s13, 0
	s_add_u32 s14, s14, 1
	s_addc_u32 s15, s15, 0
	s_cmp_lg_u32 s17, 0
	v_or_b32_e32 v23, v4, v23
	v_or_b32_e32 v24, v5, v24
	s_cbranch_scc1 .LBB7_1622
.LBB7_1623:                             ;   in Loop: Header=BB7_1577 Depth=1
	s_cbranch_execz .LBB7_1625
	s_branch .LBB7_1626
.LBB7_1624:                             ;   in Loop: Header=BB7_1577 Depth=1
.LBB7_1625:                             ;   in Loop: Header=BB7_1577 Depth=1
	global_load_dwordx2 v[23:24], v6, s[4:5]
.LBB7_1626:                             ;   in Loop: Header=BB7_1577 Depth=1
	v_readfirstlane_b32 s4, v38
	s_waitcnt vmcnt(0)
	v_mov_b32_e32 v4, 0
	v_mov_b32_e32 v5, 0
	v_cmp_eq_u32_e64 s4, s4, v38
	s_and_saveexec_b32 s5, s4
	s_cbranch_execz .LBB7_1632
; %bb.1627:                             ;   in Loop: Header=BB7_1577 Depth=1
	global_load_dwordx2 v[27:28], v6, s[26:27] offset:24 glc dlc
	s_waitcnt vmcnt(0)
	buffer_gl1_inv
	buffer_gl0_inv
	s_clause 0x1
	global_load_dwordx2 v[4:5], v6, s[26:27] offset:40
	global_load_dwordx2 v[9:10], v6, s[26:27]
	s_mov_b32 s12, exec_lo
	s_waitcnt vmcnt(1)
	v_and_b32_e32 v5, v5, v28
	v_and_b32_e32 v4, v4, v27
	v_mul_lo_u32 v5, v5, 24
	v_mul_hi_u32 v25, v4, 24
	v_mul_lo_u32 v4, v4, 24
	v_add_nc_u32_e32 v5, v25, v5
	s_waitcnt vmcnt(0)
	v_add_co_u32 v4, vcc_lo, v9, v4
	v_add_co_ci_u32_e32 v5, vcc_lo, v10, v5, vcc_lo
	global_load_dwordx2 v[25:26], v[4:5], off glc dlc
	s_waitcnt vmcnt(0)
	global_atomic_cmpswap_x2 v[4:5], v6, v[25:28], s[26:27] offset:24 glc
	s_waitcnt vmcnt(0)
	buffer_gl1_inv
	buffer_gl0_inv
	v_cmpx_ne_u64_e64 v[4:5], v[27:28]
	s_cbranch_execz .LBB7_1631
; %bb.1628:                             ;   in Loop: Header=BB7_1577 Depth=1
	s_mov_b32 s13, 0
	.p2align	6
.LBB7_1629:                             ;   Parent Loop BB7_1577 Depth=1
                                        ; =>  This Inner Loop Header: Depth=2
	s_sleep 1
	s_clause 0x1
	global_load_dwordx2 v[9:10], v6, s[26:27] offset:40
	global_load_dwordx2 v[25:26], v6, s[26:27]
	v_mov_b32_e32 v28, v5
	v_mov_b32_e32 v27, v4
	s_waitcnt vmcnt(1)
	v_and_b32_e32 v4, v9, v27
	v_and_b32_e32 v9, v10, v28
	s_waitcnt vmcnt(0)
	v_mad_u64_u32 v[4:5], null, v4, 24, v[25:26]
	v_mad_u64_u32 v[9:10], null, v9, 24, v[5:6]
	v_mov_b32_e32 v5, v9
	global_load_dwordx2 v[25:26], v[4:5], off glc dlc
	s_waitcnt vmcnt(0)
	global_atomic_cmpswap_x2 v[4:5], v6, v[25:28], s[26:27] offset:24 glc
	s_waitcnt vmcnt(0)
	buffer_gl1_inv
	buffer_gl0_inv
	v_cmp_eq_u64_e32 vcc_lo, v[4:5], v[27:28]
	s_or_b32 s13, vcc_lo, s13
	s_andn2_b32 exec_lo, exec_lo, s13
	s_cbranch_execnz .LBB7_1629
; %bb.1630:                             ;   in Loop: Header=BB7_1577 Depth=1
	s_or_b32 exec_lo, exec_lo, s13
.LBB7_1631:                             ;   in Loop: Header=BB7_1577 Depth=1
	s_or_b32 exec_lo, exec_lo, s12
.LBB7_1632:                             ;   in Loop: Header=BB7_1577 Depth=1
	s_or_b32 exec_lo, exec_lo, s5
	s_clause 0x1
	global_load_dwordx2 v[9:10], v6, s[26:27] offset:40
	global_load_dwordx4 v[25:28], v6, s[26:27]
	v_readfirstlane_b32 s12, v4
	v_readfirstlane_b32 s13, v5
	s_mov_b32 s5, exec_lo
	s_waitcnt vmcnt(1)
	v_readfirstlane_b32 s14, v9
	v_readfirstlane_b32 s15, v10
	s_and_b64 s[14:15], s[12:13], s[14:15]
	s_mul_i32 s16, s15, 24
	s_mul_hi_u32 s17, s14, 24
	s_mul_i32 s18, s14, 24
	s_add_i32 s17, s17, s16
	s_waitcnt vmcnt(0)
	v_add_co_u32 v29, vcc_lo, v25, s18
	v_add_co_ci_u32_e32 v30, vcc_lo, s17, v26, vcc_lo
	s_and_saveexec_b32 s16, s4
	s_cbranch_execz .LBB7_1634
; %bb.1633:                             ;   in Loop: Header=BB7_1577 Depth=1
	v_mov_b32_e32 v5, s5
	global_store_dwordx4 v[29:30], v[5:8], off offset:8
.LBB7_1634:                             ;   in Loop: Header=BB7_1577 Depth=1
	s_or_b32 exec_lo, exec_lo, s16
	s_lshl_b64 s[14:15], s[14:15], 12
	v_cmp_gt_u64_e64 vcc_lo, s[8:9], 56
	v_or_b32_e32 v5, v2, v31
	v_add_co_u32 v27, s5, v27, s14
	v_add_co_ci_u32_e64 v28, s5, s15, v28, s5
	s_lshl_b32 s5, s10, 2
	v_or_b32_e32 v4, 0, v3
	v_cndmask_b32_e32 v2, v5, v2, vcc_lo
	s_add_i32 s5, s5, 28
	v_readfirstlane_b32 s14, v27
	s_and_b32 s5, s5, 0x1e0
	v_cndmask_b32_e32 v10, v4, v3, vcc_lo
	v_readfirstlane_b32 s15, v28
	v_and_or_b32 v9, 0xffffff1f, v2, s5
	global_store_dwordx4 v37, v[9:12], s[14:15]
	global_store_dwordx4 v37, v[13:16], s[14:15] offset:16
	global_store_dwordx4 v37, v[17:20], s[14:15] offset:32
	global_store_dwordx4 v37, v[21:24], s[14:15] offset:48
	s_and_saveexec_b32 s5, s4
	s_cbranch_execz .LBB7_1642
; %bb.1635:                             ;   in Loop: Header=BB7_1577 Depth=1
	s_clause 0x1
	global_load_dwordx2 v[13:14], v6, s[26:27] offset:32 glc dlc
	global_load_dwordx2 v[2:3], v6, s[26:27] offset:40
	v_mov_b32_e32 v11, s12
	v_mov_b32_e32 v12, s13
	s_waitcnt vmcnt(0)
	v_readfirstlane_b32 s14, v2
	v_readfirstlane_b32 s15, v3
	s_and_b64 s[14:15], s[14:15], s[12:13]
	s_mul_i32 s15, s15, 24
	s_mul_hi_u32 s16, s14, 24
	s_mul_i32 s14, s14, 24
	s_add_i32 s16, s16, s15
	v_add_co_u32 v9, vcc_lo, v25, s14
	v_add_co_ci_u32_e32 v10, vcc_lo, s16, v26, vcc_lo
	s_mov_b32 s14, exec_lo
	global_store_dwordx2 v[9:10], v[13:14], off
	s_waitcnt_vscnt null, 0x0
	global_atomic_cmpswap_x2 v[4:5], v6, v[11:14], s[26:27] offset:32 glc
	s_waitcnt vmcnt(0)
	v_cmpx_ne_u64_e64 v[4:5], v[13:14]
	s_cbranch_execz .LBB7_1638
; %bb.1636:                             ;   in Loop: Header=BB7_1577 Depth=1
	s_mov_b32 s15, 0
.LBB7_1637:                             ;   Parent Loop BB7_1577 Depth=1
                                        ; =>  This Inner Loop Header: Depth=2
	v_mov_b32_e32 v2, s12
	v_mov_b32_e32 v3, s13
	s_sleep 1
	global_store_dwordx2 v[9:10], v[4:5], off
	s_waitcnt_vscnt null, 0x0
	global_atomic_cmpswap_x2 v[2:3], v6, v[2:5], s[26:27] offset:32 glc
	s_waitcnt vmcnt(0)
	v_cmp_eq_u64_e32 vcc_lo, v[2:3], v[4:5]
	v_mov_b32_e32 v5, v3
	v_mov_b32_e32 v4, v2
	s_or_b32 s15, vcc_lo, s15
	s_andn2_b32 exec_lo, exec_lo, s15
	s_cbranch_execnz .LBB7_1637
.LBB7_1638:                             ;   in Loop: Header=BB7_1577 Depth=1
	s_or_b32 exec_lo, exec_lo, s14
	global_load_dwordx2 v[2:3], v6, s[26:27] offset:16
	s_mov_b32 s15, exec_lo
	s_mov_b32 s14, exec_lo
	v_mbcnt_lo_u32_b32 v4, s15, 0
	v_cmpx_eq_u32_e32 0, v4
	s_cbranch_execz .LBB7_1640
; %bb.1639:                             ;   in Loop: Header=BB7_1577 Depth=1
	s_bcnt1_i32_b32 s15, s15
	v_mov_b32_e32 v5, s15
	s_waitcnt vmcnt(0)
	global_atomic_add_x2 v[2:3], v[5:6], off offset:8
.LBB7_1640:                             ;   in Loop: Header=BB7_1577 Depth=1
	s_or_b32 exec_lo, exec_lo, s14
	s_waitcnt vmcnt(0)
	global_load_dwordx2 v[9:10], v[2:3], off offset:16
	s_waitcnt vmcnt(0)
	v_cmp_eq_u64_e32 vcc_lo, 0, v[9:10]
	s_cbranch_vccnz .LBB7_1642
; %bb.1641:                             ;   in Loop: Header=BB7_1577 Depth=1
	global_load_dword v5, v[2:3], off offset:24
	s_waitcnt vmcnt(0)
	v_and_b32_e32 v2, 0x7fffff, v5
	s_waitcnt_vscnt null, 0x0
	global_store_dwordx2 v[9:10], v[5:6], off
	v_readfirstlane_b32 m0, v2
	s_sendmsg sendmsg(MSG_INTERRUPT)
.LBB7_1642:                             ;   in Loop: Header=BB7_1577 Depth=1
	s_or_b32 exec_lo, exec_lo, s5
	v_add_co_u32 v2, vcc_lo, v27, v37
	v_add_co_ci_u32_e32 v3, vcc_lo, 0, v28, vcc_lo
	s_branch .LBB7_1646
	.p2align	6
.LBB7_1643:                             ;   in Loop: Header=BB7_1646 Depth=2
	s_or_b32 exec_lo, exec_lo, s5
	v_readfirstlane_b32 s5, v4
	s_cmp_eq_u32 s5, 0
	s_cbranch_scc1 .LBB7_1645
; %bb.1644:                             ;   in Loop: Header=BB7_1646 Depth=2
	s_sleep 1
	s_cbranch_execnz .LBB7_1646
	s_branch .LBB7_1648
	.p2align	6
.LBB7_1645:                             ;   in Loop: Header=BB7_1577 Depth=1
	s_branch .LBB7_1648
.LBB7_1646:                             ;   Parent Loop BB7_1577 Depth=1
                                        ; =>  This Inner Loop Header: Depth=2
	v_mov_b32_e32 v4, 1
	s_and_saveexec_b32 s5, s4
	s_cbranch_execz .LBB7_1643
; %bb.1647:                             ;   in Loop: Header=BB7_1646 Depth=2
	global_load_dword v4, v[29:30], off offset:20 glc dlc
	s_waitcnt vmcnt(0)
	buffer_gl1_inv
	buffer_gl0_inv
	v_and_b32_e32 v4, 1, v4
	s_branch .LBB7_1643
.LBB7_1648:                             ;   in Loop: Header=BB7_1577 Depth=1
	global_load_dwordx4 v[2:5], v[2:3], off
	s_and_saveexec_b32 s5, s4
	s_cbranch_execz .LBB7_1576
; %bb.1649:                             ;   in Loop: Header=BB7_1577 Depth=1
	s_clause 0x2
	global_load_dwordx2 v[4:5], v6, s[26:27] offset:40
	global_load_dwordx2 v[13:14], v6, s[26:27] offset:24 glc dlc
	global_load_dwordx2 v[11:12], v6, s[26:27]
	s_waitcnt vmcnt(2)
	v_add_co_u32 v15, vcc_lo, v4, 1
	v_add_co_ci_u32_e32 v16, vcc_lo, 0, v5, vcc_lo
	v_add_co_u32 v9, vcc_lo, v15, s12
	v_add_co_ci_u32_e32 v10, vcc_lo, s13, v16, vcc_lo
	v_cmp_eq_u64_e32 vcc_lo, 0, v[9:10]
	v_cndmask_b32_e32 v10, v10, v16, vcc_lo
	v_cndmask_b32_e32 v9, v9, v15, vcc_lo
	v_and_b32_e32 v5, v10, v5
	v_and_b32_e32 v4, v9, v4
	v_mul_lo_u32 v5, v5, 24
	v_mul_hi_u32 v15, v4, 24
	v_mul_lo_u32 v4, v4, 24
	v_add_nc_u32_e32 v5, v15, v5
	s_waitcnt vmcnt(0)
	v_add_co_u32 v4, vcc_lo, v11, v4
	v_mov_b32_e32 v11, v13
	v_add_co_ci_u32_e32 v5, vcc_lo, v12, v5, vcc_lo
	v_mov_b32_e32 v12, v14
	global_store_dwordx2 v[4:5], v[13:14], off
	s_waitcnt_vscnt null, 0x0
	global_atomic_cmpswap_x2 v[11:12], v6, v[9:12], s[26:27] offset:24 glc
	s_waitcnt vmcnt(0)
	v_cmp_ne_u64_e32 vcc_lo, v[11:12], v[13:14]
	s_and_b32 exec_lo, exec_lo, vcc_lo
	s_cbranch_execz .LBB7_1576
; %bb.1650:                             ;   in Loop: Header=BB7_1577 Depth=1
	s_mov_b32 s4, 0
.LBB7_1651:                             ;   Parent Loop BB7_1577 Depth=1
                                        ; =>  This Inner Loop Header: Depth=2
	s_sleep 1
	global_store_dwordx2 v[4:5], v[11:12], off
	s_waitcnt_vscnt null, 0x0
	global_atomic_cmpswap_x2 v[13:14], v6, v[9:12], s[26:27] offset:24 glc
	s_waitcnt vmcnt(0)
	v_cmp_eq_u64_e32 vcc_lo, v[13:14], v[11:12]
	v_mov_b32_e32 v11, v13
	v_mov_b32_e32 v12, v14
	s_or_b32 s4, vcc_lo, s4
	s_andn2_b32 exec_lo, exec_lo, s4
	s_cbranch_execnz .LBB7_1651
	s_branch .LBB7_1576
.LBB7_1652:
	s_mov_b32 s4, 0
	s_branch .LBB7_1654
.LBB7_1653:
	s_mov_b32 s4, -1
                                        ; implicit-def: $vgpr2_vgpr3
.LBB7_1654:
	s_and_b32 vcc_lo, exec_lo, s4
	s_cbranch_vccz .LBB7_1682
; %bb.1655:
	v_readfirstlane_b32 s4, v38
	v_mov_b32_e32 v8, 0
	v_mov_b32_e32 v9, 0
	v_cmp_eq_u32_e64 s4, s4, v38
	s_and_saveexec_b32 s5, s4
	s_cbranch_execz .LBB7_1661
; %bb.1656:
	s_waitcnt vmcnt(0)
	v_mov_b32_e32 v2, 0
	s_mov_b32 s6, exec_lo
	global_load_dwordx2 v[5:6], v2, s[26:27] offset:24 glc dlc
	s_waitcnt vmcnt(0)
	buffer_gl1_inv
	buffer_gl0_inv
	s_clause 0x1
	global_load_dwordx2 v[3:4], v2, s[26:27] offset:40
	global_load_dwordx2 v[7:8], v2, s[26:27]
	s_waitcnt vmcnt(1)
	v_and_b32_e32 v4, v4, v6
	v_and_b32_e32 v3, v3, v5
	v_mul_lo_u32 v4, v4, 24
	v_mul_hi_u32 v9, v3, 24
	v_mul_lo_u32 v3, v3, 24
	v_add_nc_u32_e32 v4, v9, v4
	s_waitcnt vmcnt(0)
	v_add_co_u32 v3, vcc_lo, v7, v3
	v_add_co_ci_u32_e32 v4, vcc_lo, v8, v4, vcc_lo
	global_load_dwordx2 v[3:4], v[3:4], off glc dlc
	s_waitcnt vmcnt(0)
	global_atomic_cmpswap_x2 v[8:9], v2, v[3:6], s[26:27] offset:24 glc
	s_waitcnt vmcnt(0)
	buffer_gl1_inv
	buffer_gl0_inv
	v_cmpx_ne_u64_e64 v[8:9], v[5:6]
	s_cbranch_execz .LBB7_1660
; %bb.1657:
	s_mov_b32 s7, 0
.LBB7_1658:                             ; =>This Inner Loop Header: Depth=1
	s_sleep 1
	s_clause 0x1
	global_load_dwordx2 v[3:4], v2, s[26:27] offset:40
	global_load_dwordx2 v[10:11], v2, s[26:27]
	v_mov_b32_e32 v5, v8
	v_mov_b32_e32 v6, v9
	s_waitcnt vmcnt(1)
	v_and_b32_e32 v3, v3, v5
	v_and_b32_e32 v4, v4, v6
	s_waitcnt vmcnt(0)
	v_mad_u64_u32 v[7:8], null, v3, 24, v[10:11]
	v_mov_b32_e32 v3, v8
	v_mad_u64_u32 v[3:4], null, v4, 24, v[3:4]
	v_mov_b32_e32 v8, v3
	global_load_dwordx2 v[3:4], v[7:8], off glc dlc
	s_waitcnt vmcnt(0)
	global_atomic_cmpswap_x2 v[8:9], v2, v[3:6], s[26:27] offset:24 glc
	s_waitcnt vmcnt(0)
	buffer_gl1_inv
	buffer_gl0_inv
	v_cmp_eq_u64_e32 vcc_lo, v[8:9], v[5:6]
	s_or_b32 s7, vcc_lo, s7
	s_andn2_b32 exec_lo, exec_lo, s7
	s_cbranch_execnz .LBB7_1658
; %bb.1659:
	s_or_b32 exec_lo, exec_lo, s7
.LBB7_1660:
	s_or_b32 exec_lo, exec_lo, s6
.LBB7_1661:
	s_or_b32 exec_lo, exec_lo, s5
	s_waitcnt vmcnt(0)
	v_mov_b32_e32 v2, 0
	v_readfirstlane_b32 s6, v8
	v_readfirstlane_b32 s7, v9
	s_mov_b32 s5, exec_lo
	s_clause 0x1
	global_load_dwordx2 v[10:11], v2, s[26:27] offset:40
	global_load_dwordx4 v[4:7], v2, s[26:27]
	s_waitcnt vmcnt(1)
	v_readfirstlane_b32 s8, v10
	v_readfirstlane_b32 s9, v11
	s_and_b64 s[8:9], s[6:7], s[8:9]
	s_mul_i32 s10, s9, 24
	s_mul_hi_u32 s11, s8, 24
	s_mul_i32 s12, s8, 24
	s_add_i32 s11, s11, s10
	s_waitcnt vmcnt(0)
	v_add_co_u32 v8, vcc_lo, v4, s12
	v_add_co_ci_u32_e32 v9, vcc_lo, s11, v5, vcc_lo
	s_and_saveexec_b32 s10, s4
	s_cbranch_execz .LBB7_1663
; %bb.1662:
	v_mov_b32_e32 v10, s5
	v_mov_b32_e32 v11, v2
	;; [unrolled: 1-line block ×4, first 2 shown]
	global_store_dwordx4 v[8:9], v[10:13], off offset:8
.LBB7_1663:
	s_or_b32 exec_lo, exec_lo, s10
	s_lshl_b64 s[8:9], s[8:9], 12
	v_and_or_b32 v0, 0xffffff1f, v0, 32
	v_add_co_u32 v6, vcc_lo, v6, s8
	v_add_co_ci_u32_e32 v7, vcc_lo, s9, v7, vcc_lo
	s_mov_b32 s8, 0
	v_readfirstlane_b32 s12, v6
	s_mov_b32 s11, s8
	v_add_co_u32 v6, vcc_lo, v6, v37
	s_mov_b32 s9, s8
	s_mov_b32 s10, s8
	v_mov_b32_e32 v3, v2
	v_readfirstlane_b32 s13, v7
	v_mov_b32_e32 v13, s11
	v_add_co_ci_u32_e32 v7, vcc_lo, 0, v7, vcc_lo
	v_mov_b32_e32 v12, s10
	v_mov_b32_e32 v11, s9
	v_mov_b32_e32 v10, s8
	global_store_dwordx4 v37, v[0:3], s[12:13]
	global_store_dwordx4 v37, v[10:13], s[12:13] offset:16
	global_store_dwordx4 v37, v[10:13], s[12:13] offset:32
	;; [unrolled: 1-line block ×3, first 2 shown]
	s_and_saveexec_b32 s5, s4
	s_cbranch_execz .LBB7_1671
; %bb.1664:
	v_mov_b32_e32 v10, 0
	v_mov_b32_e32 v11, s6
	;; [unrolled: 1-line block ×3, first 2 shown]
	s_clause 0x1
	global_load_dwordx2 v[13:14], v10, s[26:27] offset:32 glc dlc
	global_load_dwordx2 v[0:1], v10, s[26:27] offset:40
	s_waitcnt vmcnt(0)
	v_readfirstlane_b32 s8, v0
	v_readfirstlane_b32 s9, v1
	s_and_b64 s[8:9], s[8:9], s[6:7]
	s_mul_i32 s9, s9, 24
	s_mul_hi_u32 s10, s8, 24
	s_mul_i32 s8, s8, 24
	s_add_i32 s10, s10, s9
	v_add_co_u32 v4, vcc_lo, v4, s8
	v_add_co_ci_u32_e32 v5, vcc_lo, s10, v5, vcc_lo
	s_mov_b32 s8, exec_lo
	global_store_dwordx2 v[4:5], v[13:14], off
	s_waitcnt_vscnt null, 0x0
	global_atomic_cmpswap_x2 v[2:3], v10, v[11:14], s[26:27] offset:32 glc
	s_waitcnt vmcnt(0)
	v_cmpx_ne_u64_e64 v[2:3], v[13:14]
	s_cbranch_execz .LBB7_1667
; %bb.1665:
	s_mov_b32 s9, 0
.LBB7_1666:                             ; =>This Inner Loop Header: Depth=1
	v_mov_b32_e32 v0, s6
	v_mov_b32_e32 v1, s7
	s_sleep 1
	global_store_dwordx2 v[4:5], v[2:3], off
	s_waitcnt_vscnt null, 0x0
	global_atomic_cmpswap_x2 v[0:1], v10, v[0:3], s[26:27] offset:32 glc
	s_waitcnt vmcnt(0)
	v_cmp_eq_u64_e32 vcc_lo, v[0:1], v[2:3]
	v_mov_b32_e32 v3, v1
	v_mov_b32_e32 v2, v0
	s_or_b32 s9, vcc_lo, s9
	s_andn2_b32 exec_lo, exec_lo, s9
	s_cbranch_execnz .LBB7_1666
.LBB7_1667:
	s_or_b32 exec_lo, exec_lo, s8
	v_mov_b32_e32 v3, 0
	s_mov_b32 s9, exec_lo
	s_mov_b32 s8, exec_lo
	v_mbcnt_lo_u32_b32 v2, s9, 0
	global_load_dwordx2 v[0:1], v3, s[26:27] offset:16
	v_cmpx_eq_u32_e32 0, v2
	s_cbranch_execz .LBB7_1669
; %bb.1668:
	s_bcnt1_i32_b32 s9, s9
	v_mov_b32_e32 v2, s9
	s_waitcnt vmcnt(0)
	global_atomic_add_x2 v[0:1], v[2:3], off offset:8
.LBB7_1669:
	s_or_b32 exec_lo, exec_lo, s8
	s_waitcnt vmcnt(0)
	global_load_dwordx2 v[2:3], v[0:1], off offset:16
	s_waitcnt vmcnt(0)
	v_cmp_eq_u64_e32 vcc_lo, 0, v[2:3]
	s_cbranch_vccnz .LBB7_1671
; %bb.1670:
	global_load_dword v0, v[0:1], off offset:24
	v_mov_b32_e32 v1, 0
	s_waitcnt vmcnt(0)
	v_and_b32_e32 v4, 0x7fffff, v0
	s_waitcnt_vscnt null, 0x0
	global_store_dwordx2 v[2:3], v[0:1], off
	v_readfirstlane_b32 m0, v4
	s_sendmsg sendmsg(MSG_INTERRUPT)
.LBB7_1671:
	s_or_b32 exec_lo, exec_lo, s5
	s_branch .LBB7_1675
	.p2align	6
.LBB7_1672:                             ;   in Loop: Header=BB7_1675 Depth=1
	s_or_b32 exec_lo, exec_lo, s5
	v_readfirstlane_b32 s5, v0
	s_cmp_eq_u32 s5, 0
	s_cbranch_scc1 .LBB7_1674
; %bb.1673:                             ;   in Loop: Header=BB7_1675 Depth=1
	s_sleep 1
	s_cbranch_execnz .LBB7_1675
	s_branch .LBB7_1677
.LBB7_1674:
	s_branch .LBB7_1677
.LBB7_1675:                             ; =>This Inner Loop Header: Depth=1
	v_mov_b32_e32 v0, 1
	s_and_saveexec_b32 s5, s4
	s_cbranch_execz .LBB7_1672
; %bb.1676:                             ;   in Loop: Header=BB7_1675 Depth=1
	global_load_dword v0, v[8:9], off offset:20 glc dlc
	s_waitcnt vmcnt(0)
	buffer_gl1_inv
	buffer_gl0_inv
	v_and_b32_e32 v0, 1, v0
	s_branch .LBB7_1672
.LBB7_1677:
	global_load_dwordx2 v[2:3], v[6:7], off
	s_and_saveexec_b32 s5, s4
	s_cbranch_execz .LBB7_1681
; %bb.1678:
	v_mov_b32_e32 v8, 0
	s_clause 0x2
	global_load_dwordx2 v[0:1], v8, s[26:27] offset:40
	global_load_dwordx2 v[9:10], v8, s[26:27] offset:24 glc dlc
	global_load_dwordx2 v[6:7], v8, s[26:27]
	s_waitcnt vmcnt(2)
	v_add_co_u32 v11, vcc_lo, v0, 1
	v_add_co_ci_u32_e32 v12, vcc_lo, 0, v1, vcc_lo
	v_add_co_u32 v4, vcc_lo, v11, s6
	v_add_co_ci_u32_e32 v5, vcc_lo, s7, v12, vcc_lo
	v_cmp_eq_u64_e32 vcc_lo, 0, v[4:5]
	v_cndmask_b32_e32 v5, v5, v12, vcc_lo
	v_cndmask_b32_e32 v4, v4, v11, vcc_lo
	v_and_b32_e32 v1, v5, v1
	v_and_b32_e32 v0, v4, v0
	v_mul_lo_u32 v1, v1, 24
	v_mul_hi_u32 v11, v0, 24
	v_mul_lo_u32 v0, v0, 24
	v_add_nc_u32_e32 v1, v11, v1
	s_waitcnt vmcnt(0)
	v_add_co_u32 v0, vcc_lo, v6, v0
	v_mov_b32_e32 v6, v9
	v_add_co_ci_u32_e32 v1, vcc_lo, v7, v1, vcc_lo
	v_mov_b32_e32 v7, v10
	global_store_dwordx2 v[0:1], v[9:10], off
	s_waitcnt_vscnt null, 0x0
	global_atomic_cmpswap_x2 v[6:7], v8, v[4:7], s[26:27] offset:24 glc
	s_waitcnt vmcnt(0)
	v_cmp_ne_u64_e32 vcc_lo, v[6:7], v[9:10]
	s_and_b32 exec_lo, exec_lo, vcc_lo
	s_cbranch_execz .LBB7_1681
; %bb.1679:
	s_mov_b32 s4, 0
.LBB7_1680:                             ; =>This Inner Loop Header: Depth=1
	s_sleep 1
	global_store_dwordx2 v[0:1], v[6:7], off
	s_waitcnt_vscnt null, 0x0
	global_atomic_cmpswap_x2 v[9:10], v8, v[4:7], s[26:27] offset:24 glc
	s_waitcnt vmcnt(0)
	v_cmp_eq_u64_e32 vcc_lo, v[9:10], v[6:7]
	v_mov_b32_e32 v6, v9
	v_mov_b32_e32 v7, v10
	s_or_b32 s4, vcc_lo, s4
	s_andn2_b32 exec_lo, exec_lo, s4
	s_cbranch_execnz .LBB7_1680
.LBB7_1681:
	s_or_b32 exec_lo, exec_lo, s5
.LBB7_1682:
	v_readfirstlane_b32 s4, v38
	s_waitcnt vmcnt(0)
	v_mov_b32_e32 v0, 0
	v_mov_b32_e32 v1, 0
	v_cmp_eq_u32_e64 s4, s4, v38
	s_and_saveexec_b32 s5, s4
	s_cbranch_execz .LBB7_1688
; %bb.1683:
	v_mov_b32_e32 v4, 0
	s_mov_b32 s6, exec_lo
	global_load_dwordx2 v[7:8], v4, s[26:27] offset:24 glc dlc
	s_waitcnt vmcnt(0)
	buffer_gl1_inv
	buffer_gl0_inv
	s_clause 0x1
	global_load_dwordx2 v[0:1], v4, s[26:27] offset:40
	global_load_dwordx2 v[5:6], v4, s[26:27]
	s_waitcnt vmcnt(1)
	v_and_b32_e32 v1, v1, v8
	v_and_b32_e32 v0, v0, v7
	v_mul_lo_u32 v1, v1, 24
	v_mul_hi_u32 v9, v0, 24
	v_mul_lo_u32 v0, v0, 24
	v_add_nc_u32_e32 v1, v9, v1
	s_waitcnt vmcnt(0)
	v_add_co_u32 v0, vcc_lo, v5, v0
	v_add_co_ci_u32_e32 v1, vcc_lo, v6, v1, vcc_lo
	global_load_dwordx2 v[5:6], v[0:1], off glc dlc
	s_waitcnt vmcnt(0)
	global_atomic_cmpswap_x2 v[0:1], v4, v[5:8], s[26:27] offset:24 glc
	s_waitcnt vmcnt(0)
	buffer_gl1_inv
	buffer_gl0_inv
	v_cmpx_ne_u64_e64 v[0:1], v[7:8]
	s_cbranch_execz .LBB7_1687
; %bb.1684:
	s_mov_b32 s7, 0
.LBB7_1685:                             ; =>This Inner Loop Header: Depth=1
	s_sleep 1
	s_clause 0x1
	global_load_dwordx2 v[5:6], v4, s[26:27] offset:40
	global_load_dwordx2 v[9:10], v4, s[26:27]
	v_mov_b32_e32 v8, v1
	v_mov_b32_e32 v7, v0
	s_waitcnt vmcnt(1)
	v_and_b32_e32 v0, v5, v7
	v_and_b32_e32 v5, v6, v8
	s_waitcnt vmcnt(0)
	v_mad_u64_u32 v[0:1], null, v0, 24, v[9:10]
	v_mad_u64_u32 v[5:6], null, v5, 24, v[1:2]
	v_mov_b32_e32 v1, v5
	global_load_dwordx2 v[5:6], v[0:1], off glc dlc
	s_waitcnt vmcnt(0)
	global_atomic_cmpswap_x2 v[0:1], v4, v[5:8], s[26:27] offset:24 glc
	s_waitcnt vmcnt(0)
	buffer_gl1_inv
	buffer_gl0_inv
	v_cmp_eq_u64_e32 vcc_lo, v[0:1], v[7:8]
	s_or_b32 s7, vcc_lo, s7
	s_andn2_b32 exec_lo, exec_lo, s7
	s_cbranch_execnz .LBB7_1685
; %bb.1686:
	s_or_b32 exec_lo, exec_lo, s7
.LBB7_1687:
	s_or_b32 exec_lo, exec_lo, s6
.LBB7_1688:
	s_or_b32 exec_lo, exec_lo, s5
	v_mov_b32_e32 v5, 0
	v_readfirstlane_b32 s6, v0
	v_readfirstlane_b32 s7, v1
	s_mov_b32 s5, exec_lo
	s_clause 0x1
	global_load_dwordx2 v[10:11], v5, s[26:27] offset:40
	global_load_dwordx4 v[6:9], v5, s[26:27]
	s_waitcnt vmcnt(1)
	v_readfirstlane_b32 s8, v10
	v_readfirstlane_b32 s9, v11
	s_and_b64 s[8:9], s[6:7], s[8:9]
	s_mul_i32 s10, s9, 24
	s_mul_hi_u32 s11, s8, 24
	s_mul_i32 s12, s8, 24
	s_add_i32 s11, s11, s10
	s_waitcnt vmcnt(0)
	v_add_co_u32 v10, vcc_lo, v6, s12
	v_add_co_ci_u32_e32 v11, vcc_lo, s11, v7, vcc_lo
	s_and_saveexec_b32 s10, s4
	s_cbranch_execz .LBB7_1690
; %bb.1689:
	v_mov_b32_e32 v4, s5
	v_mov_b32_e32 v13, v5
	;; [unrolled: 1-line block ×5, first 2 shown]
	global_store_dwordx4 v[10:11], v[12:15], off offset:8
.LBB7_1690:
	s_or_b32 exec_lo, exec_lo, s10
	s_lshl_b64 s[8:9], s[8:9], 12
	v_and_or_b32 v2, 0xffffff1d, v2, 34
	v_add_co_u32 v0, vcc_lo, v8, s8
	v_add_co_ci_u32_e32 v1, vcc_lo, s9, v9, vcc_lo
	s_mov_b32 s8, 0
	v_mov_b32_e32 v4, 10
	s_mov_b32 s11, s8
	s_mov_b32 s9, s8
	;; [unrolled: 1-line block ×3, first 2 shown]
	v_readfirstlane_b32 s12, v0
	v_readfirstlane_b32 s13, v1
	v_mov_b32_e32 v15, s11
	v_mov_b32_e32 v14, s10
	;; [unrolled: 1-line block ×4, first 2 shown]
	global_store_dwordx4 v37, v[2:5], s[12:13]
	global_store_dwordx4 v37, v[12:15], s[12:13] offset:16
	global_store_dwordx4 v37, v[12:15], s[12:13] offset:32
	;; [unrolled: 1-line block ×3, first 2 shown]
	s_and_saveexec_b32 s5, s4
	s_cbranch_execz .LBB7_1698
; %bb.1691:
	v_mov_b32_e32 v8, 0
	v_mov_b32_e32 v12, s6
	;; [unrolled: 1-line block ×3, first 2 shown]
	s_clause 0x1
	global_load_dwordx2 v[14:15], v8, s[26:27] offset:32 glc dlc
	global_load_dwordx2 v[0:1], v8, s[26:27] offset:40
	s_waitcnt vmcnt(0)
	v_readfirstlane_b32 s8, v0
	v_readfirstlane_b32 s9, v1
	s_and_b64 s[8:9], s[8:9], s[6:7]
	s_mul_i32 s9, s9, 24
	s_mul_hi_u32 s10, s8, 24
	s_mul_i32 s8, s8, 24
	s_add_i32 s10, s10, s9
	v_add_co_u32 v4, vcc_lo, v6, s8
	v_add_co_ci_u32_e32 v5, vcc_lo, s10, v7, vcc_lo
	s_mov_b32 s8, exec_lo
	global_store_dwordx2 v[4:5], v[14:15], off
	s_waitcnt_vscnt null, 0x0
	global_atomic_cmpswap_x2 v[2:3], v8, v[12:15], s[26:27] offset:32 glc
	s_waitcnt vmcnt(0)
	v_cmpx_ne_u64_e64 v[2:3], v[14:15]
	s_cbranch_execz .LBB7_1694
; %bb.1692:
	s_mov_b32 s9, 0
.LBB7_1693:                             ; =>This Inner Loop Header: Depth=1
	v_mov_b32_e32 v0, s6
	v_mov_b32_e32 v1, s7
	s_sleep 1
	global_store_dwordx2 v[4:5], v[2:3], off
	s_waitcnt_vscnt null, 0x0
	global_atomic_cmpswap_x2 v[0:1], v8, v[0:3], s[26:27] offset:32 glc
	s_waitcnt vmcnt(0)
	v_cmp_eq_u64_e32 vcc_lo, v[0:1], v[2:3]
	v_mov_b32_e32 v3, v1
	v_mov_b32_e32 v2, v0
	s_or_b32 s9, vcc_lo, s9
	s_andn2_b32 exec_lo, exec_lo, s9
	s_cbranch_execnz .LBB7_1693
.LBB7_1694:
	s_or_b32 exec_lo, exec_lo, s8
	v_mov_b32_e32 v3, 0
	s_mov_b32 s9, exec_lo
	s_mov_b32 s8, exec_lo
	v_mbcnt_lo_u32_b32 v2, s9, 0
	global_load_dwordx2 v[0:1], v3, s[26:27] offset:16
	v_cmpx_eq_u32_e32 0, v2
	s_cbranch_execz .LBB7_1696
; %bb.1695:
	s_bcnt1_i32_b32 s9, s9
	v_mov_b32_e32 v2, s9
	s_waitcnt vmcnt(0)
	global_atomic_add_x2 v[0:1], v[2:3], off offset:8
.LBB7_1696:
	s_or_b32 exec_lo, exec_lo, s8
	s_waitcnt vmcnt(0)
	global_load_dwordx2 v[2:3], v[0:1], off offset:16
	s_waitcnt vmcnt(0)
	v_cmp_eq_u64_e32 vcc_lo, 0, v[2:3]
	s_cbranch_vccnz .LBB7_1698
; %bb.1697:
	global_load_dword v0, v[0:1], off offset:24
	v_mov_b32_e32 v1, 0
	s_waitcnt vmcnt(0)
	v_and_b32_e32 v4, 0x7fffff, v0
	s_waitcnt_vscnt null, 0x0
	global_store_dwordx2 v[2:3], v[0:1], off
	v_readfirstlane_b32 m0, v4
	s_sendmsg sendmsg(MSG_INTERRUPT)
.LBB7_1698:
	s_or_b32 exec_lo, exec_lo, s5
	s_branch .LBB7_1702
	.p2align	6
.LBB7_1699:                             ;   in Loop: Header=BB7_1702 Depth=1
	s_or_b32 exec_lo, exec_lo, s5
	v_readfirstlane_b32 s5, v0
	s_cmp_eq_u32 s5, 0
	s_cbranch_scc1 .LBB7_1701
; %bb.1700:                             ;   in Loop: Header=BB7_1702 Depth=1
	s_sleep 1
	s_cbranch_execnz .LBB7_1702
	s_branch .LBB7_1704
	.p2align	6
.LBB7_1701:
	s_branch .LBB7_1704
.LBB7_1702:                             ; =>This Inner Loop Header: Depth=1
	v_mov_b32_e32 v0, 1
	s_and_saveexec_b32 s5, s4
	s_cbranch_execz .LBB7_1699
; %bb.1703:                             ;   in Loop: Header=BB7_1702 Depth=1
	global_load_dword v0, v[10:11], off offset:20 glc dlc
	s_waitcnt vmcnt(0)
	buffer_gl1_inv
	buffer_gl0_inv
	v_and_b32_e32 v0, 1, v0
	s_branch .LBB7_1699
.LBB7_1704:
	s_and_saveexec_b32 s5, s4
	s_cbranch_execz .LBB7_1708
; %bb.1705:
	v_mov_b32_e32 v6, 0
	s_clause 0x2
	global_load_dwordx2 v[2:3], v6, s[26:27] offset:40
	global_load_dwordx2 v[7:8], v6, s[26:27] offset:24 glc dlc
	global_load_dwordx2 v[4:5], v6, s[26:27]
	s_waitcnt vmcnt(2)
	v_add_co_u32 v9, vcc_lo, v2, 1
	v_add_co_ci_u32_e32 v10, vcc_lo, 0, v3, vcc_lo
	v_add_co_u32 v0, vcc_lo, v9, s6
	v_add_co_ci_u32_e32 v1, vcc_lo, s7, v10, vcc_lo
	v_cmp_eq_u64_e32 vcc_lo, 0, v[0:1]
	v_cndmask_b32_e32 v1, v1, v10, vcc_lo
	v_cndmask_b32_e32 v0, v0, v9, vcc_lo
	v_and_b32_e32 v3, v1, v3
	v_and_b32_e32 v2, v0, v2
	v_mul_lo_u32 v3, v3, 24
	v_mul_hi_u32 v9, v2, 24
	v_mul_lo_u32 v2, v2, 24
	v_add_nc_u32_e32 v3, v9, v3
	s_waitcnt vmcnt(0)
	v_add_co_u32 v4, vcc_lo, v4, v2
	v_mov_b32_e32 v2, v7
	v_add_co_ci_u32_e32 v5, vcc_lo, v5, v3, vcc_lo
	v_mov_b32_e32 v3, v8
	global_store_dwordx2 v[4:5], v[7:8], off
	s_waitcnt_vscnt null, 0x0
	global_atomic_cmpswap_x2 v[2:3], v6, v[0:3], s[26:27] offset:24 glc
	s_waitcnt vmcnt(0)
	v_cmp_ne_u64_e32 vcc_lo, v[2:3], v[7:8]
	s_and_b32 exec_lo, exec_lo, vcc_lo
	s_cbranch_execz .LBB7_1708
; %bb.1706:
	s_mov_b32 s4, 0
.LBB7_1707:                             ; =>This Inner Loop Header: Depth=1
	s_sleep 1
	global_store_dwordx2 v[4:5], v[2:3], off
	s_waitcnt_vscnt null, 0x0
	global_atomic_cmpswap_x2 v[7:8], v6, v[0:3], s[26:27] offset:24 glc
	s_waitcnt vmcnt(0)
	v_cmp_eq_u64_e32 vcc_lo, v[7:8], v[2:3]
	v_mov_b32_e32 v2, v7
	v_mov_b32_e32 v3, v8
	s_or_b32 s4, vcc_lo, s4
	s_andn2_b32 exec_lo, exec_lo, s4
	s_cbranch_execnz .LBB7_1707
.LBB7_1708:
	s_or_b32 exec_lo, exec_lo, s5
	ds_read_b64 v[0:1], v41
	s_waitcnt lgkmcnt(0)
	flat_load_dword v2, v[0:1]
	s_waitcnt vmcnt(0) lgkmcnt(0)
	v_add_nc_u32_e32 v2, 1, v2
	flat_store_dword v[0:1], v2
.LBB7_1709:
	s_or_b32 exec_lo, exec_lo, s29
	s_add_u32 s8, s44, 16
	s_addc_u32 s9, s45, 0
	s_mov_b32 s12, s48
	s_mov_b32 s13, s47
	s_mov_b32 s14, s46
	s_getpc_b64 s[4:5]
	s_add_u32 s4, s4, _ZN8migraphx4test4failEv@rel32@lo+4
	s_addc_u32 s5, s5, _ZN8migraphx4test4failEv@rel32@hi+12
	s_swappc_b64 s[30:31], s[4:5]
	; divergent unreachable
.LBB7_1710:
	s_andn2_saveexec_b32 s4, s28
	s_endpgm
	.section	.rodata,"a",@progbits
	.p2align	6, 0x0
	.amdhsa_kernel gpu_test_kernel
		.amdhsa_group_segment_fixed_size 8192
		.amdhsa_private_segment_fixed_size 80
		.amdhsa_kernarg_size 272
		.amdhsa_user_sgpr_count 10
		.amdhsa_user_sgpr_private_segment_buffer 1
		.amdhsa_user_sgpr_dispatch_ptr 1
		.amdhsa_user_sgpr_queue_ptr 0
		.amdhsa_user_sgpr_kernarg_segment_ptr 1
		.amdhsa_user_sgpr_dispatch_id 0
		.amdhsa_user_sgpr_flat_scratch_init 1
		.amdhsa_user_sgpr_private_segment_size 0
		.amdhsa_wavefront_size32 1
		.amdhsa_uses_dynamic_stack 0
		.amdhsa_system_sgpr_private_segment_wavefront_offset 1
		.amdhsa_system_sgpr_workgroup_id_x 1
		.amdhsa_system_sgpr_workgroup_id_y 1
		.amdhsa_system_sgpr_workgroup_id_z 1
		.amdhsa_system_sgpr_workgroup_info 0
		.amdhsa_system_vgpr_workitem_id 2
		.amdhsa_next_free_vgpr 50
		.amdhsa_next_free_sgpr 52
		.amdhsa_reserve_vcc 1
		.amdhsa_reserve_flat_scratch 1
		.amdhsa_float_round_mode_32 0
		.amdhsa_float_round_mode_16_64 0
		.amdhsa_float_denorm_mode_32 3
		.amdhsa_float_denorm_mode_16_64 3
		.amdhsa_dx10_clamp 1
		.amdhsa_ieee_mode 1
		.amdhsa_fp16_overflow 0
		.amdhsa_workgroup_processor_mode 1
		.amdhsa_memory_ordered 1
		.amdhsa_forward_progress 0
		.amdhsa_shared_vgpr_count 0
		.amdhsa_exception_fp_ieee_invalid_op 0
		.amdhsa_exception_fp_denorm_src 0
		.amdhsa_exception_fp_ieee_div_zero 0
		.amdhsa_exception_fp_ieee_overflow 0
		.amdhsa_exception_fp_ieee_underflow 0
		.amdhsa_exception_fp_ieee_inexact 0
		.amdhsa_exception_int_div_zero 0
	.end_amdhsa_kernel
	.text
.Lfunc_end7:
	.size	gpu_test_kernel, .Lfunc_end7-gpu_test_kernel
                                        ; -- End function
	.section	.AMDGPU.csdata,"",@progbits
; Kernel info:
; codeLenInByte = 61180
; NumSgprs: 54
; NumVgprs: 50
; ScratchSize: 80
; MemoryBound: 0
; FloatMode: 240
; IeeeMode: 1
; LDSByteSize: 8192 bytes/workgroup (compile time only)
; SGPRBlocks: 6
; VGPRBlocks: 6
; NumSGPRsForWavesPerEU: 54
; NumVGPRsForWavesPerEU: 50
; Occupancy: 16
; WaveLimiterHint : 1
; COMPUTE_PGM_RSRC2:SCRATCH_EN: 1
; COMPUTE_PGM_RSRC2:USER_SGPR: 10
; COMPUTE_PGM_RSRC2:TRAP_HANDLER: 0
; COMPUTE_PGM_RSRC2:TGID_X_EN: 1
; COMPUTE_PGM_RSRC2:TGID_Y_EN: 1
; COMPUTE_PGM_RSRC2:TGID_Z_EN: 1
; COMPUTE_PGM_RSRC2:TIDIG_COMP_CNT: 2
	.text
	.p2alignl 6, 3214868480
	.fill 48, 4, 3214868480
	.type	.str,@object                    ; @.str
	.section	.rodata.str1.1,"aMS",@progbits,1
.str:
	.asciz	"result == arr.begin()"
	.size	.str, 22

	.type	__PRETTY_FUNCTION__._ZL25upper_bound_first_elementRN8migraphx4test12test_managerE,@object ; @__PRETTY_FUNCTION__._ZL25upper_bound_first_elementRN8migraphx4test12test_managerE
__PRETTY_FUNCTION__._ZL25upper_bound_first_elementRN8migraphx4test12test_managerE:
	.asciz	"void upper_bound_first_element(migraphx::test::test_manager &)"
	.size	__PRETTY_FUNCTION__._ZL25upper_bound_first_elementRN8migraphx4test12test_managerE, 63

	.type	.str.1,@object                  ; @.str.1
.str.1:
	.asciz	"/root/src/amdgpu-assembly/repos/ROCm__AMDMIGraphX/_shim/test_algorithm_18_shim.cpp"
	.size	.str.1, 83

	.type	.str.2,@object                  ; @.str.2
.str.2:
	.asciz	"    FAILED: "
	.size	.str.2, 13

	.type	.str.3,@object                  ; @.str.3
.str.3:
	.asciz	" [ "
	.size	.str.3, 4

	.type	.str.4,@object                  ; @.str.4
.str.4:
	.asciz	" ]"
	.size	.str.4, 3

	.type	.str.5,@object                  ; @.str.5
.str.5:
	.asciz	"%s"
	.size	.str.5, 3

	.type	.str.6,@object                  ; @.str.6
.str.6:
	.asciz	"%c"
	.size	.str.6, 3

	.type	.str.7,@object                  ; @.str.7
.str.7:
	.asciz	"%li"
	.size	.str.7, 4

	.type	.str.8,@object                  ; @.str.8
.str.8:
	.asciz	" "
	.size	.str.8, 2

	.type	.str.10,@object                 ; @.str.10
.str.10:
	.asciz	"=="
	.size	.str.10, 3

	.type	.str.11,@object                 ; @.str.11
.str.11:
	.asciz	"true"
	.size	.str.11, 5

	.type	.str.12,@object                 ; @.str.12
.str.12:
	.asciz	"false"
	.size	.str.12, 6

	.type	.str.13,@object                 ; @.str.13
.str.13:
	.asciz	"result == arr.end()"
	.size	.str.13, 20

	.type	__PRETTY_FUNCTION__._ZL21upper_bound_all_equalRN8migraphx4test12test_managerE,@object ; @__PRETTY_FUNCTION__._ZL21upper_bound_all_equalRN8migraphx4test12test_managerE
__PRETTY_FUNCTION__._ZL21upper_bound_all_equalRN8migraphx4test12test_managerE:
	.asciz	"void upper_bound_all_equal(migraphx::test::test_manager &)"
	.size	__PRETTY_FUNCTION__._ZL21upper_bound_all_equalRN8migraphx4test12test_managerE, 59

	.type	.str.14,@object                 ; @.str.14
.str.14:
	.asciz	"result == arr.begin() + 5"
	.size	.str.14, 26

	.type	__PRETTY_FUNCTION__._ZL31upper_bound_multiple_duplicatesRN8migraphx4test12test_managerE,@object ; @__PRETTY_FUNCTION__._ZL31upper_bound_multiple_duplicatesRN8migraphx4test12test_managerE
__PRETTY_FUNCTION__._ZL31upper_bound_multiple_duplicatesRN8migraphx4test12test_managerE:
	.asciz	"void upper_bound_multiple_duplicates(migraphx::test::test_manager &)"
	.size	__PRETTY_FUNCTION__._ZL31upper_bound_multiple_duplicatesRN8migraphx4test12test_managerE, 69

	.type	__PRETTY_FUNCTION__._ZL23upper_bound_all_smallerRN8migraphx4test12test_managerE,@object ; @__PRETTY_FUNCTION__._ZL23upper_bound_all_smallerRN8migraphx4test12test_managerE
__PRETTY_FUNCTION__._ZL23upper_bound_all_smallerRN8migraphx4test12test_managerE:
	.asciz	"void upper_bound_all_smaller(migraphx::test::test_manager &)"
	.size	__PRETTY_FUNCTION__._ZL23upper_bound_all_smallerRN8migraphx4test12test_managerE, 61

	.type	__PRETTY_FUNCTION__._ZL22upper_bound_all_largerRN8migraphx4test12test_managerE,@object ; @__PRETTY_FUNCTION__._ZL22upper_bound_all_largerRN8migraphx4test12test_managerE
__PRETTY_FUNCTION__._ZL22upper_bound_all_largerRN8migraphx4test12test_managerE:
	.asciz	"void upper_bound_all_larger(migraphx::test::test_manager &)"
	.size	__PRETTY_FUNCTION__._ZL22upper_bound_all_largerRN8migraphx4test12test_managerE, 60

	.type	__hip_cuid_61b536bcf9082489,@object ; @__hip_cuid_61b536bcf9082489
	.section	.bss,"aw",@nobits
	.globl	__hip_cuid_61b536bcf9082489
__hip_cuid_61b536bcf9082489:
	.byte	0                               ; 0x0
	.size	__hip_cuid_61b536bcf9082489, 1

	.ident	"AMD clang version 19.0.0git (https://github.com/RadeonOpenCompute/llvm-project roc-6.4.0 25133 c7fe45cf4b819c5991fe208aaa96edf142730f1d)"
	.section	".note.GNU-stack","",@progbits
	.addrsig
	.addrsig_sym __hip_cuid_61b536bcf9082489
	.amdgpu_metadata
---
amdhsa.kernels:
  - .args:
      - .offset:         0
        .size:           4
        .value_kind:     by_value
      - .address_space:  global
        .offset:         8
        .size:           8
        .value_kind:     global_buffer
      - .offset:         16
        .size:           4
        .value_kind:     hidden_block_count_x
      - .offset:         20
        .size:           4
        .value_kind:     hidden_block_count_y
      - .offset:         24
        .size:           4
        .value_kind:     hidden_block_count_z
      - .offset:         28
        .size:           2
        .value_kind:     hidden_group_size_x
      - .offset:         30
        .size:           2
        .value_kind:     hidden_group_size_y
      - .offset:         32
        .size:           2
        .value_kind:     hidden_group_size_z
      - .offset:         34
        .size:           2
        .value_kind:     hidden_remainder_x
      - .offset:         36
        .size:           2
        .value_kind:     hidden_remainder_y
      - .offset:         38
        .size:           2
        .value_kind:     hidden_remainder_z
      - .offset:         56
        .size:           8
        .value_kind:     hidden_global_offset_x
      - .offset:         64
        .size:           8
        .value_kind:     hidden_global_offset_y
      - .offset:         72
        .size:           8
        .value_kind:     hidden_global_offset_z
      - .offset:         80
        .size:           2
        .value_kind:     hidden_grid_dims
      - .offset:         96
        .size:           8
        .value_kind:     hidden_hostcall_buffer
    .group_segment_fixed_size: 8192
    .kernarg_segment_align: 8
    .kernarg_segment_size: 272
    .language:       OpenCL C
    .language_version:
      - 2
      - 0
    .max_flat_workgroup_size: 1024
    .name:           gpu_test_kernel
    .private_segment_fixed_size: 80
    .sgpr_count:     54
    .sgpr_spill_count: 0
    .symbol:         gpu_test_kernel.kd
    .uniform_work_group_size: 1
    .uses_dynamic_stack: false
    .vgpr_count:     50
    .vgpr_spill_count: 0
    .wavefront_size: 32
    .workgroup_processor_mode: 1
amdhsa.target:   amdgcn-amd-amdhsa--gfx1030
amdhsa.version:
  - 1
  - 2
...

	.end_amdgpu_metadata
